;; amdgpu-corpus repo=vllm-project/vllm kind=compiled arch=gfx90a opt=O3
	.text
	.amdgcn_target "amdgcn-amd-amdhsa--gfx90a"
	.amdhsa_code_object_version 6
	.section	.text._ZN4vllm39rms_norm_dynamic_per_token_quant_kernelIfN3c1013Float8_e4m3fnELb1EEEvPT0_PfPKT_S8_PKffiiPS6_,"axG",@progbits,_ZN4vllm39rms_norm_dynamic_per_token_quant_kernelIfN3c1013Float8_e4m3fnELb1EEEvPT0_PfPKT_S8_PKffiiPS6_,comdat
	.protected	_ZN4vllm39rms_norm_dynamic_per_token_quant_kernelIfN3c1013Float8_e4m3fnELb1EEEvPT0_PfPKT_S8_PKffiiPS6_ ; -- Begin function _ZN4vllm39rms_norm_dynamic_per_token_quant_kernelIfN3c1013Float8_e4m3fnELb1EEEvPT0_PfPKT_S8_PKffiiPS6_
	.globl	_ZN4vllm39rms_norm_dynamic_per_token_quant_kernelIfN3c1013Float8_e4m3fnELb1EEEvPT0_PfPKT_S8_PKffiiPS6_
	.p2align	8
	.type	_ZN4vllm39rms_norm_dynamic_per_token_quant_kernelIfN3c1013Float8_e4m3fnELb1EEEvPT0_PfPKT_S8_PKffiiPS6_,@function
_ZN4vllm39rms_norm_dynamic_per_token_quant_kernelIfN3c1013Float8_e4m3fnELb1EEEvPT0_PfPKT_S8_PKffiiPS6_: ; @_ZN4vllm39rms_norm_dynamic_per_token_quant_kernelIfN3c1013Float8_e4m3fnELb1EEEvPT0_PfPKT_S8_PKffiiPS6_
; %bb.0:
	s_load_dwordx4 s[36:39], s[4:5], 0x28
	s_load_dwordx2 s[22:23], s[4:5], 0x20
	s_load_dwordx8 s[24:31], s[4:5], 0x0
	s_load_dwordx2 s[40:41], s[4:5], 0x38
	s_waitcnt lgkmcnt(0)
	s_or_b32 s0, s38, s37
	s_and_b32 s0, s0, 3
	s_cmp_lg_u32 s0, 0
	s_cbranch_scc0 .LBB0_37
; %bb.1:
	v_cmp_gt_u32_e64 s[0:1], s37, v0
	v_cmp_le_u32_e64 s[2:3], s37, v0
                                        ; implicit-def: $sgpr7
                                        ; implicit-def: $sgpr10_sgpr11
	s_and_saveexec_b64 s[8:9], s[2:3]
	s_xor_b64 s[8:9], exec, s[8:9]
; %bb.2:
	s_add_u32 s10, s4, 64
	s_addc_u32 s11, s5, 0
	s_mov_b32 s7, 0
; %bb.3:
	s_or_saveexec_b64 s[8:9], s[8:9]
	v_mov_b32_e32 v5, s7
	v_pk_mov_b32 v[2:3], s[10:11], s[10:11] op_sel:[0,1]
	v_mov_b32_e32 v1, s6
	s_xor_b64 exec, exec, s[8:9]
	s_cbranch_execz .LBB0_7
; %bb.4:
	s_ashr_i32 s7, s37, 31
	s_mul_hi_u32 s10, s37, s6
	s_mul_i32 s7, s7, s6
	s_add_i32 s11, s10, s7
	s_ashr_i32 s7, s38, 31
	s_mul_hi_u32 s12, s38, s6
	s_mul_i32 s7, s7, s6
	s_add_i32 s13, s12, s7
	s_mul_i32 s12, s38, s6
	s_lshl_b64 s[12:13], s[12:13], 2
	s_mul_i32 s10, s37, s6
	s_add_u32 s7, s28, s12
	s_load_dword s12, s[4:5], 0x4c
	s_addc_u32 s16, s29, s13
	s_lshl_b64 s[10:11], s[10:11], 2
	s_add_u32 s14, s40, s10
	s_addc_u32 s17, s41, s11
	s_add_u32 s10, s4, 64
	s_addc_u32 s11, s5, 0
	s_waitcnt lgkmcnt(0)
	s_and_b32 s15, s12, 0xffff
	s_mov_b64 s[12:13], 0
	v_mov_b32_e32 v3, 0
	v_mov_b32_e32 v1, s16
	;; [unrolled: 1-line block ×5, first 2 shown]
.LBB0_5:                                ; =>This Inner Loop Header: Depth=1
	v_lshlrev_b64 v[6:7], 2, v[2:3]
	v_add_co_u32_e32 v8, vcc, s7, v6
	v_addc_co_u32_e32 v9, vcc, v1, v7, vcc
	v_add_co_u32_e32 v6, vcc, s14, v6
	v_addc_co_u32_e32 v7, vcc, v4, v7, vcc
	global_load_dword v10, v[8:9], off
	global_load_dword v11, v[6:7], off
	v_add_u32_e32 v2, s15, v2
	v_cmp_le_u32_e32 vcc, s37, v2
	s_or_b64 s[12:13], vcc, s[12:13]
	s_waitcnt vmcnt(0)
	v_add_f32_e32 v6, v10, v11
	v_fmac_f32_e32 v5, v6, v6
	s_andn2_b64 exec, exec, s[12:13]
	s_cbranch_execnz .LBB0_5
; %bb.6:
	s_or_b64 exec, exec, s[12:13]
	v_pk_mov_b32 v[2:3], s[10:11], s[10:11] op_sel:[0,1]
	v_mov_b32_e32 v1, s6
.LBB0_7:
	s_or_b64 exec, exec, s[8:9]
	global_load_dword v4, v[2:3], off
	s_waitcnt vmcnt(0)
	v_cmp_lt_u32_e32 vcc, v1, v4
	v_cndmask_b32_e64 v1, 18, 12, vcc
	v_add_co_u32_e32 v2, vcc, v2, v1
	v_addc_co_u32_e32 v3, vcc, 0, v3, vcc
	global_load_ushort v2, v[2:3], off
	v_mbcnt_lo_u32_b32 v1, -1, 0
	v_mbcnt_hi_u32_b32 v1, -1, v1
	v_and_b32_e32 v3, 63, v1
	v_cmp_ne_u32_e32 vcc, 63, v3
	v_addc_co_u32_e32 v6, vcc, 0, v1, vcc
	v_lshlrev_b32_e32 v14, 2, v6
	ds_bpermute_b32 v6, v14, v5
	v_cmp_gt_u32_e32 vcc, 62, v3
	v_cndmask_b32_e64 v12, 0, 1, vcc
	v_and_b32_e32 v4, 0x3c0, v0
	v_lshlrev_b32_e32 v12, 1, v12
	v_add_u32_e32 v7, 1, v1
	v_add_lshl_u32 v13, v12, v1, 2
	s_waitcnt lgkmcnt(0)
	v_add_f32_e32 v6, v5, v6
	v_add_u32_e32 v8, 2, v1
	v_add_u32_e32 v10, 4, v1
	;; [unrolled: 1-line block ×5, first 2 shown]
	v_cmp_eq_u32_e64 s[8:9], 0, v1
	s_waitcnt vmcnt(0)
	v_sub_u32_e64 v12, v2, v4 clamp
	v_cmp_lt_u32_e32 vcc, v7, v12
	v_cndmask_b32_e32 v5, v5, v6, vcc
	ds_bpermute_b32 v6, v13, v5
	v_cmp_gt_u32_e32 vcc, 60, v3
	v_cndmask_b32_e64 v15, 0, 1, vcc
	v_lshlrev_b32_e32 v15, 2, v15
	v_cmp_lt_u32_e32 vcc, v8, v12
	s_waitcnt lgkmcnt(0)
	v_add_f32_e32 v6, v5, v6
	v_add_lshl_u32 v15, v15, v1, 2
	v_cndmask_b32_e32 v5, v5, v6, vcc
	ds_bpermute_b32 v6, v15, v5
	v_cmp_gt_u32_e32 vcc, 56, v3
	v_cndmask_b32_e64 v16, 0, 1, vcc
	v_lshlrev_b32_e32 v16, 3, v16
	v_cmp_lt_u32_e32 vcc, v10, v12
	s_waitcnt lgkmcnt(0)
	v_add_f32_e32 v6, v5, v6
	v_add_lshl_u32 v16, v16, v1, 2
	;; [unrolled: 9-line block ×3, first 2 shown]
	v_cndmask_b32_e32 v5, v5, v6, vcc
	ds_bpermute_b32 v6, v18, v5
	v_cmp_gt_u32_e32 vcc, 32, v3
	v_cndmask_b32_e64 v3, 0, 1, vcc
	v_lshlrev_b32_e32 v3, 5, v3
	v_add_lshl_u32 v17, v3, v1, 2
	s_waitcnt lgkmcnt(0)
	v_add_f32_e32 v3, v5, v6
	v_cmp_lt_u32_e32 vcc, v9, v12
	v_cndmask_b32_e32 v3, v5, v3, vcc
	ds_bpermute_b32 v5, v17, v3
	v_cmp_lt_u32_e32 vcc, v19, v12
	s_waitcnt lgkmcnt(0)
	v_add_f32_e32 v5, v3, v5
	v_cndmask_b32_e32 v3, v3, v5, vcc
	s_and_saveexec_b64 s[10:11], s[8:9]
	s_cbranch_execz .LBB0_9
; %bb.8:
	v_lshrrev_b32_e32 v5, 4, v0
	v_and_b32_e32 v5, 60, v5
	ds_write_b32 v5, v3 offset:128
.LBB0_9:
	s_or_b64 exec, exec, s[10:11]
	v_cmp_gt_u32_e64 s[10:11], 16, v0
	v_lshlrev_b32_e32 v12, 2, v1
	v_and_b32_e32 v5, 15, v1
	s_waitcnt lgkmcnt(0)
	s_barrier
	s_and_saveexec_b64 s[14:15], s[10:11]
	s_cbranch_execz .LBB0_11
; %bb.10:
	ds_read_b32 v3, v12 offset:128
	v_cmp_ne_u32_e32 vcc, 15, v5
	v_addc_co_u32_e32 v6, vcc, 0, v1, vcc
	v_lshlrev_b32_e32 v6, 2, v6
	s_waitcnt lgkmcnt(0)
	ds_bpermute_b32 v6, v6, v3
	v_add_u32_e32 v2, 63, v2
	v_add_u32_e32 v20, 1, v5
	v_lshrrev_b32_e32 v2, 6, v2
	v_cmp_gt_u32_e64 s[12:13], 14, v5
	v_cmp_lt_u32_e32 vcc, v20, v2
	v_cndmask_b32_e64 v20, 0, 1, s[12:13]
	s_waitcnt lgkmcnt(0)
	v_add_f32_e32 v6, v3, v6
	v_lshlrev_b32_e32 v20, 1, v20
	v_cndmask_b32_e32 v6, v3, v6, vcc
	v_add_lshl_u32 v20, v20, v1, 2
	ds_bpermute_b32 v20, v20, v6
	v_add_u32_e32 v21, 2, v5
	v_cmp_lt_u32_e64 s[12:13], v21, v2
	v_add_u32_e32 v21, 4, v5
	s_waitcnt lgkmcnt(0)
	v_add_f32_e32 v20, v6, v20
	v_cndmask_b32_e64 v6, v6, v20, s[12:13]
	v_cmp_gt_u32_e64 s[12:13], 12, v5
	v_cndmask_b32_e64 v20, 0, 1, s[12:13]
	v_lshlrev_b32_e32 v20, 2, v20
	v_add_lshl_u32 v20, v20, v1, 2
	ds_bpermute_b32 v20, v20, v6
	v_cmp_lt_u32_e64 s[12:13], v21, v2
	v_add_u32_e32 v21, 8, v5
	s_waitcnt lgkmcnt(0)
	v_add_f32_e32 v20, v6, v20
	v_cndmask_b32_e64 v6, v6, v20, s[12:13]
	v_cmp_gt_u32_e64 s[12:13], 8, v5
	v_cndmask_b32_e64 v20, 0, 1, s[12:13]
	v_lshlrev_b32_e32 v20, 3, v20
	v_add_lshl_u32 v20, v20, v1, 2
	ds_bpermute_b32 v20, v20, v6
	v_cmp_lt_u32_e64 s[12:13], v21, v2
	s_waitcnt lgkmcnt(0)
	v_add_f32_e32 v20, v6, v20
	v_cndmask_b32_e64 v2, v6, v20, s[12:13]
	v_cndmask_b32_e32 v3, v3, v2, vcc
.LBB0_11:
	s_or_b64 exec, exec, s[14:15]
	s_mov_b32 s7, 0
	v_cmp_eq_u32_e64 s[12:13], 0, v0
	s_and_saveexec_b64 s[14:15], s[12:13]
	s_cbranch_execz .LBB0_13
; %bb.12:
	v_cvt_f32_i32_e32 v2, s37
	v_div_scale_f32 v6, s[16:17], v2, v2, v3
	v_rcp_f32_e32 v20, v6
	v_div_scale_f32 v21, vcc, v3, v2, v3
	s_mov_b32 s16, 0x800000
	v_fma_f32 v22, -v6, v20, 1.0
	v_fmac_f32_e32 v20, v22, v20
	v_mul_f32_e32 v22, v21, v20
	v_fma_f32 v23, -v6, v22, v21
	v_fmac_f32_e32 v22, v23, v20
	v_fma_f32 v6, -v6, v22, v21
	v_div_fmas_f32 v6, v6, v20, v22
	v_div_fixup_f32 v2, v6, v2, v3
	v_add_f32_e32 v2, s36, v2
	v_mul_f32_e32 v3, 0x4b800000, v2
	v_cmp_gt_f32_e32 vcc, s16, v2
	v_cndmask_b32_e32 v2, v2, v3, vcc
	v_rsq_f32_e32 v2, v2
	v_mul_f32_e32 v3, 0x45800000, v2
	v_cndmask_b32_e32 v2, v2, v3, vcc
	v_mov_b32_e32 v3, 0
	ds_write_b32 v3, v2 offset:264
.LBB0_13:
	s_or_b64 exec, exec, s[14:15]
	v_mov_b32_e32 v2, 0
	s_waitcnt lgkmcnt(0)
	s_barrier
	ds_read_b32 v6, v2 offset:264
	s_waitcnt lgkmcnt(0)
	s_barrier
	s_waitcnt lgkmcnt(0)
                                        ; implicit-def: $sgpr16
                                        ; implicit-def: $sgpr14_sgpr15
	s_and_saveexec_b64 s[18:19], s[2:3]
	s_xor_b64 s[2:3], exec, s[18:19]
; %bb.14:
	s_add_u32 s14, s4, 64
	s_addc_u32 s15, s5, 0
	s_mov_b32 s16, 0
; %bb.15:
	s_or_saveexec_b64 s[2:3], s[2:3]
	v_mov_b32_e32 v20, s16
	v_pk_mov_b32 v[2:3], s[14:15], s[14:15] op_sel:[0,1]
	s_mul_hi_u32 s39, s37, s6
	s_mul_i32 s34, s37, s6
	s_mul_hi_u32 s33, s38, s6
	s_mul_i32 s42, s38, s6
	s_xor_b64 exec, exec, s[2:3]
	s_cbranch_execz .LBB0_19
; %bb.16:
	s_ashr_i32 s14, s37, 31
	s_mul_i32 s14, s14, s6
	s_add_i32 s35, s39, s14
	s_ashr_i32 s14, s38, 31
	s_mul_i32 s14, s14, s6
	s_add_i32 s43, s33, s14
	s_lshl_b64 s[14:15], s[42:43], 2
	s_add_u32 s18, s28, s14
	s_load_dword s16, s[4:5], 0x4c
	s_addc_u32 s21, s29, s15
	s_lshl_b64 s[14:15], s[34:35], 2
	s_add_u32 s19, s40, s14
	s_addc_u32 s35, s41, s15
	s_add_u32 s14, s4, 64
	s_addc_u32 s15, s5, 0
	s_waitcnt lgkmcnt(0)
	s_and_b32 s20, s16, 0xffff
	s_mov_b64 s[16:17], 0
	v_mov_b32_e32 v3, 0
	v_mov_b32_e32 v21, s21
	;; [unrolled: 1-line block ×6, first 2 shown]
.LBB0_17:                               ; =>This Inner Loop Header: Depth=1
	v_lshlrev_b64 v[24:25], 2, v[2:3]
	v_add_co_u32_e32 v26, vcc, s18, v24
	v_addc_co_u32_e32 v27, vcc, v21, v25, vcc
	v_add_co_u32_e32 v28, vcc, s19, v24
	v_addc_co_u32_e32 v29, vcc, v22, v25, vcc
	v_add_co_u32_e32 v24, vcc, s30, v24
	global_load_dword v30, v[26:27], off
	global_load_dword v31, v[28:29], off
	v_addc_co_u32_e32 v25, vcc, v23, v25, vcc
	global_load_dword v24, v[24:25], off
	v_add_u32_e32 v2, s20, v2
	v_max_f32_e32 v20, v20, v20
	v_cmp_le_u32_e32 vcc, s37, v2
	s_or_b64 s[16:17], vcc, s[16:17]
	s_waitcnt vmcnt(1)
	v_add_f32_e32 v25, v30, v31
	v_mul_f32_e32 v25, v6, v25
	s_waitcnt vmcnt(0)
	v_mul_f32_e32 v24, v24, v25
	v_max_f32_e64 v20, v20, |v24|
	s_andn2_b64 exec, exec, s[16:17]
	s_cbranch_execnz .LBB0_17
; %bb.18:
	s_or_b64 exec, exec, s[16:17]
	v_pk_mov_b32 v[2:3], s[14:15], s[14:15] op_sel:[0,1]
.LBB0_19:
	s_or_b64 exec, exec, s[2:3]
	global_load_dword v21, v[2:3], off
	s_waitcnt vmcnt(0)
	v_cmp_lt_u32_e32 vcc, s6, v21
	v_cndmask_b32_e64 v21, 18, 12, vcc
	v_add_co_u32_e32 v2, vcc, v2, v21
	v_addc_co_u32_e32 v3, vcc, 0, v3, vcc
	global_load_ushort v2, v[2:3], off
	ds_bpermute_b32 v3, v14, v20
	s_waitcnt lgkmcnt(0)
	v_cmp_lt_f32_e32 vcc, v20, v3
	v_cndmask_b32_e32 v3, v20, v3, vcc
	s_waitcnt vmcnt(0)
	v_sub_u32_e64 v4, v2, v4 clamp
	v_cmp_lt_u32_e32 vcc, v7, v4
	v_cndmask_b32_e32 v3, v20, v3, vcc
	ds_bpermute_b32 v7, v13, v3
	v_cmp_lt_u32_e64 s[18:19], v19, v4
	s_waitcnt lgkmcnt(0)
	v_cmp_lt_f32_e64 s[2:3], v3, v7
	v_cndmask_b32_e64 v7, v3, v7, s[2:3]
	v_cmp_lt_u32_e64 s[2:3], v8, v4
	v_cndmask_b32_e64 v3, v3, v7, s[2:3]
	ds_bpermute_b32 v7, v15, v3
	s_or_b64 s[2:3], vcc, s[2:3]
	s_waitcnt lgkmcnt(0)
	v_cmp_lt_f32_e64 s[14:15], v3, v7
	v_cndmask_b32_e64 v7, v3, v7, s[14:15]
	v_cmp_lt_u32_e64 s[14:15], v10, v4
	v_cndmask_b32_e64 v3, v3, v7, s[14:15]
	ds_bpermute_b32 v7, v16, v3
	s_or_b64 s[2:3], s[14:15], s[2:3]
	s_waitcnt lgkmcnt(0)
	v_cmp_lt_f32_e64 s[16:17], v3, v7
	v_cndmask_b32_e64 v7, v3, v7, s[16:17]
	v_cmp_lt_u32_e64 s[16:17], v11, v4
	v_cndmask_b32_e64 v3, v3, v7, s[16:17]
	ds_bpermute_b32 v7, v18, v3
	s_or_b64 s[2:3], s[16:17], s[2:3]
	;; [unrolled: 7-line block ×3, first 2 shown]
	s_waitcnt lgkmcnt(0)
	v_cmp_lt_f32_e32 vcc, v3, v4
	s_and_b64 vcc, s[18:19], vcc
	v_cndmask_b32_e32 v3, v3, v4, vcc
	s_or_b64 vcc, s[18:19], s[2:3]
	v_cndmask_b32_e32 v3, v20, v3, vcc
	s_and_saveexec_b64 s[2:3], s[8:9]
	s_cbranch_execz .LBB0_21
; %bb.20:
	v_lshrrev_b32_e32 v4, 4, v0
	v_and_b32_e32 v4, 60, v4
	ds_write_b32 v4, v3 offset:192
.LBB0_21:
	s_or_b64 exec, exec, s[2:3]
	s_waitcnt lgkmcnt(0)
	s_barrier
	s_and_saveexec_b64 s[14:15], s[10:11]
	s_cbranch_execz .LBB0_23
; %bb.22:
	ds_read_b32 v3, v12 offset:192
	v_cmp_ne_u32_e32 vcc, 15, v5
	v_addc_co_u32_e32 v4, vcc, 0, v1, vcc
	v_lshlrev_b32_e32 v4, 2, v4
	s_waitcnt lgkmcnt(0)
	ds_bpermute_b32 v4, v4, v3
	v_add_u32_e32 v2, 63, v2
	v_add_u32_e32 v7, 1, v5
	v_lshrrev_b32_e32 v2, 6, v2
	v_cmp_gt_u32_e64 s[2:3], 14, v5
	s_waitcnt lgkmcnt(0)
	v_cmp_lt_f32_e32 vcc, v3, v4
	v_cndmask_b32_e32 v4, v3, v4, vcc
	v_cmp_lt_u32_e32 vcc, v7, v2
	v_cndmask_b32_e64 v7, 0, 1, s[2:3]
	v_lshlrev_b32_e32 v7, 1, v7
	v_cndmask_b32_e32 v4, v3, v4, vcc
	v_add_lshl_u32 v7, v7, v1, 2
	ds_bpermute_b32 v7, v7, v4
	v_add_u32_e32 v8, 2, v5
	s_waitcnt lgkmcnt(0)
	v_cmp_lt_f32_e64 s[2:3], v4, v7
	v_cndmask_b32_e64 v7, v4, v7, s[2:3]
	v_cmp_lt_u32_e64 s[2:3], v8, v2
	v_cndmask_b32_e64 v4, v4, v7, s[2:3]
	v_cmp_gt_u32_e64 s[2:3], 12, v5
	v_cndmask_b32_e64 v7, 0, 1, s[2:3]
	v_lshlrev_b32_e32 v7, 2, v7
	v_add_lshl_u32 v7, v7, v1, 2
	ds_bpermute_b32 v7, v7, v4
	v_add_u32_e32 v8, 4, v5
	s_waitcnt lgkmcnt(0)
	v_cmp_lt_f32_e64 s[2:3], v4, v7
	v_cndmask_b32_e64 v7, v4, v7, s[2:3]
	v_cmp_lt_u32_e64 s[2:3], v8, v2
	v_cndmask_b32_e64 v4, v4, v7, s[2:3]
	v_cmp_gt_u32_e64 s[2:3], 8, v5
	v_cndmask_b32_e64 v7, 0, 1, s[2:3]
	v_lshlrev_b32_e32 v7, 3, v7
	v_add_lshl_u32 v1, v7, v1, 2
	ds_bpermute_b32 v1, v1, v4
	v_add_u32_e32 v5, 8, v5
	v_cmp_lt_u32_e64 s[2:3], v5, v2
	s_waitcnt lgkmcnt(0)
	v_cmp_lt_f32_e64 s[8:9], v4, v1
	s_and_b64 s[2:3], s[2:3], s[8:9]
	v_cndmask_b32_e64 v1, v4, v1, s[2:3]
	v_cndmask_b32_e32 v3, v3, v1, vcc
.LBB0_23:
	s_or_b64 exec, exec, s[14:15]
	s_and_saveexec_b64 s[2:3], s[12:13]
	s_cbranch_execz .LBB0_27
; %bb.24:
	s_cmp_eq_u64 s[22:23], 0
	s_cbranch_scc1 .LBB0_26
; %bb.25:
	s_load_dword s8, s[22:23], 0x0
	v_max_f32_e32 v1, v3, v3
	s_waitcnt lgkmcnt(0)
	v_max_f32_e64 v2, s8, s8
	v_min_f32_e32 v3, v1, v2
.LBB0_26:
	s_mov_b32 s10, 0x43e00000
	v_div_scale_f32 v1, s[8:9], s10, s10, v3
	v_rcp_f32_e32 v2, v1
	v_div_scale_f32 v4, vcc, v3, s10, v3
	s_lshl_b64 s[8:9], s[6:7], 2
	v_fma_f32 v5, -v1, v2, 1.0
	v_fmac_f32_e32 v2, v5, v2
	v_mul_f32_e32 v5, v4, v2
	v_fma_f32 v7, -v1, v5, v4
	v_fmac_f32_e32 v5, v7, v2
	v_fma_f32 v1, -v1, v5, v4
	v_div_fmas_f32 v1, v1, v2, v5
	v_div_fixup_f32 v1, v1, s10, v3
	s_add_u32 s8, s26, s8
	v_max_f32_e32 v1, 0x36924925, v1
	v_mov_b32_e32 v2, 0
	s_addc_u32 s9, s27, s9
	ds_write_b32 v2, v1 offset:268
	global_store_dword v2, v1, s[8:9]
.LBB0_27:
	s_or_b64 exec, exec, s[2:3]
	s_waitcnt lgkmcnt(0)
	s_barrier
	s_and_saveexec_b64 s[2:3], s[0:1]
	s_cbranch_execz .LBB0_36
; %bb.28:
	s_ashr_i32 s0, s37, 31
	s_mul_i32 s0, s0, s6
	s_add_i32 s8, s39, s0
	s_ashr_i32 s0, s38, 31
	v_mov_b32_e32 v3, 0
	s_mul_i32 s0, s0, s6
	s_load_dword s9, s[4:5], 0x4c
	ds_read_b32 v1, v3 offset:268
	s_add_i32 s43, s33, s0
	s_lshl_b64 s[0:1], s[42:43], 2
	s_add_u32 s7, s28, s0
	s_addc_u32 s10, s29, s1
	s_waitcnt lgkmcnt(0)
	s_and_b32 s12, s9, 0xffff
	s_mov_b64 s[0:1], 0
	v_mov_b32_e32 v7, s10
	v_mov_b32_e32 v8, s8
	;; [unrolled: 1-line block ×4, first 2 shown]
	s_mov_b32 s13, 0x43f00000
	s_mov_b32 s14, 0x3c7fffff
	;; [unrolled: 1-line block ×4, first 2 shown]
	s_movk_i32 s17, 0x80
	v_mov_b32_e32 v11, s25
	v_mov_b32_e32 v2, v0
	s_branch .LBB0_31
.LBB0_29:                               ;   in Loop: Header=BB0_31 Depth=1
	s_or_b64 exec, exec, s[10:11]
.LBB0_30:                               ;   in Loop: Header=BB0_31 Depth=1
	s_or_b64 exec, exec, s[8:9]
	v_add_co_u32_e32 v4, vcc, s24, v4
	v_addc_co_u32_e32 v5, vcc, v11, v5, vcc
	v_add_u32_e32 v2, s12, v2
	v_lshrrev_b32_e32 v12, 24, v12
	v_cmp_le_u32_e32 vcc, s37, v2
	v_and_or_b32 v12, v12, s17, v13
	s_or_b64 s[0:1], vcc, s[0:1]
	global_store_byte v[4:5], v12, off
	s_andn2_b64 exec, exec, s[0:1]
	s_cbranch_execz .LBB0_36
.LBB0_31:                               ; =>This Inner Loop Header: Depth=1
	v_lshlrev_b64 v[12:13], 2, v[2:3]
	v_add_co_u32_e32 v4, vcc, s7, v12
	v_addc_co_u32_e32 v5, vcc, v7, v13, vcc
	global_load_dword v16, v[4:5], off
	v_add_co_u32_e32 v4, vcc, s34, v2
	v_addc_co_u32_e32 v5, vcc, 0, v8, vcc
	v_lshlrev_b64 v[14:15], 2, v[4:5]
	v_add_co_u32_e32 v14, vcc, s40, v14
	v_addc_co_u32_e32 v15, vcc, v9, v15, vcc
	global_load_dword v17, v[14:15], off
	v_add_co_u32_e32 v12, vcc, s30, v12
	v_addc_co_u32_e32 v13, vcc, v10, v13, vcc
	global_load_dword v12, v[12:13], off
	s_waitcnt vmcnt(1)
	v_add_f32_e32 v13, v16, v17
	v_mul_f32_e32 v16, v6, v13
	global_store_dword v[14:15], v13, off
	s_waitcnt vmcnt(1)
	v_mul_f32_e32 v12, v16, v12
	v_div_scale_f32 v16, s[8:9], v1, v1, v12
	v_rcp_f32_e32 v17, v16
	v_div_scale_f32 v13, vcc, v12, v1, v12
	v_fma_f32 v14, -v16, v17, 1.0
	v_fmac_f32_e32 v17, v14, v17
	v_mul_f32_e32 v14, v13, v17
	v_fma_f32 v15, -v16, v14, v13
	v_fmac_f32_e32 v14, v15, v17
	v_fma_f32 v13, -v16, v14, v13
	v_div_fmas_f32 v13, v13, v17, v14
	v_div_fixup_f32 v12, v13, v1, v12
	v_min_f32_e32 v12, 0x43e00000, v12
	v_max_f32_e32 v12, 0xc3e00000, v12
	v_and_b32_e32 v14, 0x7fffffff, v12
	v_cmp_gt_u32_e32 vcc, s13, v14
	v_mov_b32_e32 v13, 0x7f
	s_and_saveexec_b64 s[8:9], vcc
	s_cbranch_execz .LBB0_30
; %bb.32:                               ;   in Loop: Header=BB0_31 Depth=1
	v_cmp_lt_u32_e32 vcc, s14, v14
                                        ; implicit-def: $vgpr13
	s_and_saveexec_b64 s[10:11], vcc
	s_xor_b64 s[10:11], exec, s[10:11]
; %bb.33:                               ;   in Loop: Header=BB0_31 Depth=1
	v_bfe_u32 v13, v12, 20, 1
	v_add3_u32 v13, v12, v13, s15
	v_lshrrev_b32_e32 v13, 20, v13
; %bb.34:                               ;   in Loop: Header=BB0_31 Depth=1
	s_andn2_saveexec_b64 s[10:11], s[10:11]
	s_cbranch_execz .LBB0_29
; %bb.35:                               ;   in Loop: Header=BB0_31 Depth=1
	v_add_f32_e64 v13, |v12|, s16
	s_branch .LBB0_29
.LBB0_36:
	s_or_b64 exec, exec, s[2:3]
	s_branch .LBB0_177
.LBB0_37:
	s_cbranch_execz .LBB0_177
; %bb.38:
	s_ashr_i32 s0, s38, 31
	s_mul_hi_u32 s1, s38, s6
	s_mul_i32 s0, s0, s6
	s_ashr_i32 s2, s37, 31
	s_add_i32 s1, s1, s0
	s_mul_i32 s0, s38, s6
	s_mul_hi_u32 s3, s37, s6
	s_mul_i32 s2, s2, s6
	s_add_i32 s35, s3, s2
	s_lshl_b64 s[0:1], s[0:1], 2
	s_mul_i32 s34, s37, s6
	s_add_u32 s33, s28, s0
	s_addc_u32 s48, s29, s1
	s_lshl_b64 s[0:1], s[34:35], 2
	s_load_dword s18, s[4:5], 0x40
	s_add_u32 s49, s40, s0
	s_addc_u32 s50, s41, s1
	s_ashr_i32 s51, s37, 2
	s_add_u32 s19, s4, 64
	s_mov_b32 s7, 0
	v_cmp_gt_u32_e64 s[0:1], s51, v0
	s_addc_u32 s20, s5, 0
	v_mov_b32_e32 v10, 0
	s_and_saveexec_b64 s[2:3], s[0:1]
	s_cbranch_execz .LBB0_48
; %bb.39:
	s_waitcnt lgkmcnt(0)
	s_cmp_lt_u32 s6, s18
	s_cselect_b32 s4, 12, 18
	s_add_u32 s4, s19, s4
	s_addc_u32 s5, s20, 0
	v_mov_b32_e32 v3, 0
	global_load_ushort v1, v3, s[4:5]
	s_mov_b64 s[4:5], 0
	v_mov_b32_e32 v8, s48
	v_mov_b32_e32 v9, s50
	;; [unrolled: 1-line block ×4, first 2 shown]
                                        ; implicit-def: $sgpr8_sgpr9
	s_waitcnt vmcnt(0)
	v_mul_lo_u32 v11, v1, 3
	v_lshlrev_b32_e32 v12, 1, v1
	s_branch .LBB0_43
.LBB0_40:                               ;   in Loop: Header=BB0_43 Depth=1
	s_or_b64 exec, exec, s[14:15]
	s_orn2_b64 s[14:15], s[16:17], exec
.LBB0_41:                               ;   in Loop: Header=BB0_43 Depth=1
	s_or_b64 exec, exec, s[12:13]
	s_andn2_b64 s[8:9], s[8:9], exec
	s_and_b64 s[12:13], s[14:15], exec
	s_or_b64 s[8:9], s[8:9], s[12:13]
.LBB0_42:                               ;   in Loop: Header=BB0_43 Depth=1
	s_or_b64 exec, exec, s[10:11]
	s_and_b64 s[10:11], exec, s[8:9]
	s_or_b64 s[4:5], s[10:11], s[4:5]
	s_andn2_b64 exec, exec, s[4:5]
	s_cbranch_execz .LBB0_47
.LBB0_43:                               ; =>This Inner Loop Header: Depth=1
	v_lshlrev_b64 v[4:5], 4, v[2:3]
	v_add_co_u32_e32 v6, vcc, s33, v4
	v_addc_co_u32_e32 v7, vcc, v8, v5, vcc
	v_add_co_u32_e32 v4, vcc, s49, v4
	v_addc_co_u32_e32 v5, vcc, v9, v5, vcc
	global_load_dwordx4 v[14:17], v[6:7], off
	global_load_dwordx4 v[18:21], v[4:5], off
	v_add_u32_e32 v4, v2, v1
	v_cmp_gt_u32_e32 vcc, s51, v4
	s_or_b64 s[8:9], s[8:9], exec
	s_waitcnt vmcnt(0)
	v_pk_add_f32 v[6:7], v[14:15], v[18:19]
	v_pk_mul_f32 v[6:7], v[6:7], v[6:7]
	v_pk_add_f32 v[14:15], v[16:17], v[20:21]
	v_add_f32_e32 v5, v10, v6
	v_pk_mul_f32 v[14:15], v[14:15], v[14:15]
	v_add_f32_e32 v5, v5, v7
	v_add_f32_e32 v5, v5, v14
	;; [unrolled: 1-line block ×3, first 2 shown]
	s_and_saveexec_b64 s[10:11], vcc
	s_cbranch_execz .LBB0_42
; %bb.44:                               ;   in Loop: Header=BB0_43 Depth=1
	v_mov_b32_e32 v5, v3
	v_lshlrev_b64 v[6:7], 4, v[4:5]
	v_add_co_u32_e32 v22, vcc, s33, v6
	v_addc_co_u32_e32 v23, vcc, v8, v7, vcc
	v_add_co_u32_e32 v6, vcc, s49, v6
	v_addc_co_u32_e32 v7, vcc, v9, v7, vcc
	global_load_dwordx4 v[14:17], v[22:23], off
	global_load_dwordx4 v[18:21], v[6:7], off
	v_add_u32_e32 v6, v12, v2
	v_cmp_gt_u32_e32 vcc, s51, v6
	s_mov_b64 s[14:15], -1
	s_waitcnt vmcnt(0)
	v_pk_add_f32 v[14:15], v[14:15], v[18:19]
	v_pk_mul_f32 v[14:15], v[14:15], v[14:15]
	v_pk_add_f32 v[16:17], v[16:17], v[20:21]
	v_add_f32_e32 v5, v10, v14
	v_pk_mul_f32 v[16:17], v[16:17], v[16:17]
	v_add_f32_e32 v5, v5, v15
	v_add_f32_e32 v5, v5, v16
	;; [unrolled: 1-line block ×3, first 2 shown]
	s_and_saveexec_b64 s[12:13], vcc
	s_cbranch_execz .LBB0_41
; %bb.45:                               ;   in Loop: Header=BB0_43 Depth=1
	v_mov_b32_e32 v7, v3
	v_lshlrev_b64 v[6:7], 4, v[6:7]
	v_add_co_u32_e32 v22, vcc, s33, v6
	v_addc_co_u32_e32 v23, vcc, v8, v7, vcc
	v_add_co_u32_e32 v6, vcc, s49, v6
	v_addc_co_u32_e32 v7, vcc, v9, v7, vcc
	global_load_dwordx4 v[14:17], v[22:23], off
	global_load_dwordx4 v[18:21], v[6:7], off
	v_add_u32_e32 v2, v11, v2
	v_cmp_gt_u32_e32 vcc, s51, v2
	s_mov_b64 s[16:17], -1
	s_waitcnt vmcnt(0)
	v_pk_add_f32 v[6:7], v[14:15], v[18:19]
	v_pk_mul_f32 v[6:7], v[6:7], v[6:7]
	v_pk_add_f32 v[14:15], v[16:17], v[20:21]
	v_add_f32_e32 v5, v10, v6
	v_pk_mul_f32 v[14:15], v[14:15], v[14:15]
	v_add_f32_e32 v5, v5, v7
	v_add_f32_e32 v5, v5, v14
	;; [unrolled: 1-line block ×3, first 2 shown]
	s_and_saveexec_b64 s[14:15], vcc
	s_xor_b64 s[14:15], exec, s[14:15]
	s_cbranch_execz .LBB0_40
; %bb.46:                               ;   in Loop: Header=BB0_43 Depth=1
	v_lshlrev_b64 v[6:7], 4, v[2:3]
	v_mov_b32_e32 v2, s48
	v_add_co_u32_e32 v22, vcc, s33, v6
	v_addc_co_u32_e32 v23, vcc, v2, v7, vcc
	v_mov_b32_e32 v2, s50
	v_add_co_u32_e32 v6, vcc, s49, v6
	v_addc_co_u32_e32 v7, vcc, v2, v7, vcc
	global_load_dwordx4 v[14:17], v[22:23], off
	global_load_dwordx4 v[18:21], v[6:7], off
	v_add_u32_e32 v2, v1, v1
	v_add_u32_e32 v2, v2, v1
	;; [unrolled: 1-line block ×3, first 2 shown]
	v_cmp_le_u32_e32 vcc, s51, v2
	s_orn2_b64 s[16:17], vcc, exec
	s_waitcnt vmcnt(0)
	v_pk_add_f32 v[4:5], v[14:15], v[18:19]
	v_pk_mul_f32 v[4:5], v[4:5], v[4:5]
	v_pk_add_f32 v[6:7], v[16:17], v[20:21]
	v_add_f32_e32 v4, v10, v4
	v_pk_mul_f32 v[6:7], v[6:7], v[6:7]
	v_add_f32_e32 v4, v4, v5
	v_add_f32_e32 v4, v4, v6
	;; [unrolled: 1-line block ×3, first 2 shown]
	s_branch .LBB0_40
.LBB0_47:
	s_or_b64 exec, exec, s[4:5]
.LBB0_48:
	s_or_b64 exec, exec, s[2:3]
	s_waitcnt lgkmcnt(0)
	s_cmp_lt_u32 s6, s18
	s_cselect_b32 s2, 12, 18
	s_add_u32 s2, s19, s2
	s_addc_u32 s3, s20, 0
	v_mov_b32_e32 v1, 0
	global_load_ushort v2, v1, s[2:3]
	v_mbcnt_lo_u32_b32 v1, -1, 0
	v_mbcnt_hi_u32_b32 v1, -1, v1
	v_and_b32_e32 v4, 63, v1
	v_cmp_ne_u32_e32 vcc, 63, v4
	v_addc_co_u32_e32 v8, vcc, 0, v1, vcc
	v_lshlrev_b32_e32 v8, 2, v8
	ds_bpermute_b32 v11, v8, v10
	v_and_b32_e32 v3, 0x3c0, v0
	v_cmp_gt_u32_e32 vcc, 62, v4
	v_add_u32_e32 v5, 1, v1
	v_cndmask_b32_e64 v9, 0, 1, vcc
	v_lshlrev_b32_e32 v9, 1, v9
	s_waitcnt lgkmcnt(0)
	v_add_f32_e32 v11, v10, v11
	v_add_lshl_u32 v9, v9, v1, 2
	v_cmp_gt_u32_e32 vcc, 60, v4
	v_add_u32_e32 v6, 2, v1
	v_add_u32_e32 v7, 4, v1
	;; [unrolled: 1-line block ×4, first 2 shown]
	v_cmp_eq_u32_e64 s[14:15], 0, v1
	s_waitcnt vmcnt(0)
	v_sub_u32_e64 v3, v2, v3 clamp
	v_cmp_lt_u32_e64 s[2:3], v5, v3
	v_cndmask_b32_e64 v5, v10, v11, s[2:3]
	ds_bpermute_b32 v11, v9, v5
	v_cndmask_b32_e64 v10, 0, 1, vcc
	v_lshlrev_b32_e32 v10, 2, v10
	v_cmp_lt_u32_e64 s[4:5], v6, v3
	v_add_lshl_u32 v10, v10, v1, 2
	s_waitcnt lgkmcnt(0)
	v_add_f32_e32 v11, v5, v11
	v_cndmask_b32_e64 v5, v5, v11, s[4:5]
	ds_bpermute_b32 v6, v10, v5
	v_cmp_gt_u32_e32 vcc, 56, v4
	v_cndmask_b32_e64 v11, 0, 1, vcc
	v_lshlrev_b32_e32 v11, 3, v11
	v_cmp_lt_u32_e64 s[8:9], v7, v3
	s_waitcnt lgkmcnt(0)
	v_add_f32_e32 v6, v5, v6
	v_add_lshl_u32 v11, v11, v1, 2
	v_cndmask_b32_e64 v5, v5, v6, s[8:9]
	ds_bpermute_b32 v6, v11, v5
	v_cmp_gt_u32_e32 vcc, 48, v4
	v_cndmask_b32_e64 v7, 0, 1, vcc
	v_lshlrev_b32_e32 v7, 4, v7
	v_cmp_lt_u32_e64 s[10:11], v13, v3
	s_waitcnt lgkmcnt(0)
	v_add_f32_e32 v6, v5, v6
	v_add_lshl_u32 v12, v7, v1, 2
	v_cndmask_b32_e64 v5, v5, v6, s[10:11]
	ds_bpermute_b32 v6, v12, v5
	v_cmp_gt_u32_e32 vcc, 32, v4
	v_cndmask_b32_e64 v4, 0, 1, vcc
	v_lshlrev_b32_e32 v4, 5, v4
	v_add_lshl_u32 v13, v4, v1, 2
	s_waitcnt lgkmcnt(0)
	v_add_f32_e32 v4, v5, v6
	v_cmp_lt_u32_e64 s[12:13], v14, v3
	v_cndmask_b32_e64 v4, v5, v4, s[12:13]
	ds_bpermute_b32 v5, v13, v4
	v_add_u32_e32 v6, 32, v1
	v_readfirstlane_b32 s52, v2
	v_cmp_lt_u32_e64 s[20:21], v6, v3
	s_waitcnt lgkmcnt(0)
	v_add_f32_e32 v2, v4, v5
	v_cndmask_b32_e64 v2, v4, v2, s[20:21]
	s_and_saveexec_b64 s[16:17], s[14:15]
	s_cbranch_execz .LBB0_50
; %bb.49:
	v_lshrrev_b32_e32 v3, 4, v0
	v_and_b32_e32 v3, 60, v3
	ds_write_b32 v3, v2
.LBB0_50:
	s_or_b64 exec, exec, s[16:17]
	v_cmp_gt_u32_e64 s[16:17], 16, v0
	s_waitcnt lgkmcnt(0)
	s_barrier
	s_and_saveexec_b64 s[28:29], s[16:17]
	s_cbranch_execz .LBB0_52
; %bb.51:
	v_lshlrev_b32_e32 v2, 2, v1
	ds_read_b32 v2, v2
	v_and_b32_e32 v3, 15, v1
	v_cmp_ne_u32_e32 vcc, 15, v3
	v_addc_co_u32_e32 v4, vcc, 0, v1, vcc
	v_lshlrev_b32_e32 v4, 2, v4
	s_waitcnt lgkmcnt(0)
	ds_bpermute_b32 v4, v4, v2
	s_add_i32 s18, s52, 63
	s_lshr_b32 s38, s18, 6
	v_add_u32_e32 v5, 1, v3
	v_cmp_gt_u32_e64 s[18:19], 14, v3
	v_cmp_gt_u32_e32 vcc, s38, v5
	v_cndmask_b32_e64 v5, 0, 1, s[18:19]
	s_waitcnt lgkmcnt(0)
	v_add_f32_e32 v4, v2, v4
	v_lshlrev_b32_e32 v5, 1, v5
	v_cndmask_b32_e32 v4, v2, v4, vcc
	v_add_lshl_u32 v5, v5, v1, 2
	ds_bpermute_b32 v5, v5, v4
	v_add_u32_e32 v6, 2, v3
	v_cmp_gt_u32_e64 s[18:19], s38, v6
	v_add_u32_e32 v6, 4, v3
	s_waitcnt lgkmcnt(0)
	v_add_f32_e32 v5, v4, v5
	v_cndmask_b32_e64 v4, v4, v5, s[18:19]
	v_cmp_gt_u32_e64 s[18:19], 12, v3
	v_cndmask_b32_e64 v5, 0, 1, s[18:19]
	v_lshlrev_b32_e32 v5, 2, v5
	v_add_lshl_u32 v5, v5, v1, 2
	ds_bpermute_b32 v5, v5, v4
	v_cmp_gt_u32_e64 s[18:19], s38, v6
	s_waitcnt lgkmcnt(0)
	v_add_f32_e32 v5, v4, v5
	v_cndmask_b32_e64 v4, v4, v5, s[18:19]
	v_cmp_gt_u32_e64 s[18:19], 8, v3
	v_cndmask_b32_e64 v5, 0, 1, s[18:19]
	v_lshlrev_b32_e32 v5, 3, v5
	v_add_lshl_u32 v5, v5, v1, 2
	ds_bpermute_b32 v5, v5, v4
	v_add_u32_e32 v3, 8, v3
	v_cmp_gt_u32_e64 s[18:19], s38, v3
	s_waitcnt lgkmcnt(0)
	v_add_f32_e32 v5, v4, v5
	v_cndmask_b32_e64 v3, v4, v5, s[18:19]
	v_cndmask_b32_e32 v2, v2, v3, vcc
.LBB0_52:
	s_or_b64 exec, exec, s[28:29]
	v_cmp_eq_u32_e64 s[18:19], 0, v0
	s_and_saveexec_b64 s[28:29], s[18:19]
	s_cbranch_execz .LBB0_54
; %bb.53:
	v_cvt_f32_i32_e32 v3, s37
	s_mov_b32 s37, 0x800000
	v_div_scale_f32 v4, s[38:39], v3, v3, v2
	v_rcp_f32_e32 v5, v4
	v_div_scale_f32 v6, vcc, v2, v3, v2
	v_fma_f32 v7, -v4, v5, 1.0
	v_fmac_f32_e32 v5, v7, v5
	v_mul_f32_e32 v7, v6, v5
	v_fma_f32 v14, -v4, v7, v6
	v_fmac_f32_e32 v7, v14, v5
	v_fma_f32 v4, -v4, v7, v6
	v_div_fmas_f32 v4, v4, v5, v7
	v_div_fixup_f32 v2, v4, v3, v2
	v_add_f32_e32 v2, s36, v2
	v_mul_f32_e32 v3, 0x4b800000, v2
	v_cmp_gt_f32_e32 vcc, s37, v2
	v_cndmask_b32_e32 v2, v2, v3, vcc
	v_rsq_f32_e32 v2, v2
	v_mul_f32_e32 v3, 0x45800000, v2
	v_cndmask_b32_e32 v2, v2, v3, vcc
	v_mov_b32_e32 v3, 0
	ds_write_b32 v3, v2 offset:256
.LBB0_54:
	s_or_b64 exec, exec, s[28:29]
	v_mov_b32_e32 v15, 0
	s_waitcnt lgkmcnt(0)
	s_barrier
	ds_read_b32 v14, v15 offset:256
	s_and_saveexec_b64 s[28:29], s[0:1]
	s_cbranch_execz .LBB0_64
; %bb.55:
	s_add_i32 s55, s52, s52
	s_mul_i32 s53, s52, 3
	s_lshl_b32 s54, s52, 1
	s_mov_b64 s[36:37], 0
	v_mov_b32_e32 v3, 0
	v_mov_b32_e32 v16, s48
	v_mov_b32_e32 v17, s31
	v_mov_b32_e32 v18, s50
	s_add_i32 s55, s55, s52
	v_mov_b32_e32 v15, 0
	v_mov_b32_e32 v2, v0
                                        ; implicit-def: $sgpr38_sgpr39
	s_branch .LBB0_59
.LBB0_56:                               ;   in Loop: Header=BB0_59 Depth=1
	s_or_b64 exec, exec, s[44:45]
	s_orn2_b64 s[44:45], s[46:47], exec
.LBB0_57:                               ;   in Loop: Header=BB0_59 Depth=1
	s_or_b64 exec, exec, s[42:43]
	s_andn2_b64 s[38:39], s[38:39], exec
	s_and_b64 s[42:43], s[44:45], exec
	s_or_b64 s[38:39], s[38:39], s[42:43]
.LBB0_58:                               ;   in Loop: Header=BB0_59 Depth=1
	s_or_b64 exec, exec, s[40:41]
	s_and_b64 s[40:41], exec, s[38:39]
	s_or_b64 s[36:37], s[40:41], s[36:37]
	s_andn2_b64 exec, exec, s[36:37]
	s_cbranch_execz .LBB0_63
.LBB0_59:                               ; =>This Inner Loop Header: Depth=1
	v_lshlrev_b64 v[4:5], 4, v[2:3]
	v_add_co_u32_e32 v6, vcc, s33, v4
	v_addc_co_u32_e32 v7, vcc, v16, v5, vcc
	global_load_dwordx4 v[20:23], v[6:7], off
	v_add_co_u32_e32 v6, vcc, s49, v4
	v_addc_co_u32_e32 v7, vcc, v18, v5, vcc
	global_load_dwordx4 v[24:27], v[6:7], off
	;; [unrolled: 3-line block ×3, first 2 shown]
	v_add_u32_e32 v4, s52, v2
	v_cmp_gt_u32_e32 vcc, s51, v4
	s_or_b64 s[38:39], s[38:39], exec
	s_waitcnt vmcnt(1)
	v_add_f32_e32 v5, v20, v24
	v_add_f32_e32 v6, v21, v25
	;; [unrolled: 1-line block ×4, first 2 shown]
	s_waitcnt lgkmcnt(0)
	v_mul_f32_e32 v5, v14, v5
	v_mul_f32_e32 v6, v14, v6
	;; [unrolled: 1-line block ×4, first 2 shown]
	s_waitcnt vmcnt(0)
	v_mul_f32_e32 v5, v28, v5
	v_mul_f32_e32 v6, v29, v6
	;; [unrolled: 1-line block ×4, first 2 shown]
	v_max3_f32 v5, v15, |v5|, |v6|
	v_max3_f32 v15, v5, |v7|, |v19|
	s_and_saveexec_b64 s[40:41], vcc
	s_cbranch_execz .LBB0_58
; %bb.60:                               ;   in Loop: Header=BB0_59 Depth=1
	v_mov_b32_e32 v5, v3
	v_lshlrev_b64 v[6:7], 4, v[4:5]
	v_add_co_u32_e32 v20, vcc, s33, v6
	v_addc_co_u32_e32 v21, vcc, v16, v7, vcc
	v_add_co_u32_e32 v24, vcc, s49, v6
	v_addc_co_u32_e32 v25, vcc, v18, v7, vcc
	global_load_dwordx4 v[20:23], v[20:21], off
	v_add_co_u32_e32 v6, vcc, s30, v6
	global_load_dwordx4 v[24:27], v[24:25], off
	v_addc_co_u32_e32 v7, vcc, v17, v7, vcc
	global_load_dwordx4 v[28:31], v[6:7], off
	v_add_u32_e32 v6, s54, v2
	v_cmp_gt_u32_e32 vcc, s51, v6
	s_mov_b64 s[44:45], -1
	s_waitcnt vmcnt(1)
	v_add_f32_e32 v5, v20, v24
	v_add_f32_e32 v7, v21, v25
	;; [unrolled: 1-line block ×4, first 2 shown]
	v_mul_f32_e32 v5, v14, v5
	v_mul_f32_e32 v7, v14, v7
	;; [unrolled: 1-line block ×4, first 2 shown]
	s_waitcnt vmcnt(0)
	v_mul_f32_e32 v5, v28, v5
	v_mul_f32_e32 v7, v29, v7
	;; [unrolled: 1-line block ×4, first 2 shown]
	v_max3_f32 v5, v15, |v5|, |v7|
	v_max3_f32 v15, v5, |v19|, |v20|
	s_and_saveexec_b64 s[42:43], vcc
	s_cbranch_execz .LBB0_57
; %bb.61:                               ;   in Loop: Header=BB0_59 Depth=1
	v_mov_b32_e32 v7, v3
	v_lshlrev_b64 v[6:7], 4, v[6:7]
	v_add_co_u32_e32 v20, vcc, s33, v6
	v_addc_co_u32_e32 v21, vcc, v16, v7, vcc
	v_add_co_u32_e32 v24, vcc, s49, v6
	v_addc_co_u32_e32 v25, vcc, v18, v7, vcc
	global_load_dwordx4 v[20:23], v[20:21], off
	v_add_co_u32_e32 v6, vcc, s30, v6
	global_load_dwordx4 v[24:27], v[24:25], off
	v_addc_co_u32_e32 v7, vcc, v17, v7, vcc
	global_load_dwordx4 v[28:31], v[6:7], off
	v_add_u32_e32 v2, s53, v2
	v_cmp_gt_u32_e32 vcc, s51, v2
	s_mov_b64 s[46:47], -1
	s_waitcnt vmcnt(1)
	v_add_f32_e32 v5, v20, v24
	v_add_f32_e32 v6, v21, v25
	;; [unrolled: 1-line block ×4, first 2 shown]
	v_mul_f32_e32 v5, v14, v5
	v_mul_f32_e32 v6, v14, v6
	;; [unrolled: 1-line block ×4, first 2 shown]
	s_waitcnt vmcnt(0)
	v_mul_f32_e32 v5, v28, v5
	v_mul_f32_e32 v6, v29, v6
	;; [unrolled: 1-line block ×4, first 2 shown]
	v_max3_f32 v5, v15, |v5|, |v6|
	v_max3_f32 v15, v5, |v7|, |v19|
	s_and_saveexec_b64 s[44:45], vcc
	s_xor_b64 s[44:45], exec, s[44:45]
	s_cbranch_execz .LBB0_56
; %bb.62:                               ;   in Loop: Header=BB0_59 Depth=1
	v_lshlrev_b64 v[6:7], 4, v[2:3]
	v_mov_b32_e32 v2, s48
	v_add_co_u32_e32 v20, vcc, s33, v6
	v_addc_co_u32_e32 v21, vcc, v2, v7, vcc
	v_mov_b32_e32 v2, s50
	v_add_co_u32_e32 v24, vcc, s49, v6
	v_addc_co_u32_e32 v25, vcc, v2, v7, vcc
	global_load_dwordx4 v[20:23], v[20:21], off
	v_mov_b32_e32 v2, s31
	global_load_dwordx4 v[24:27], v[24:25], off
	v_add_co_u32_e32 v6, vcc, s30, v6
	v_addc_co_u32_e32 v7, vcc, v2, v7, vcc
	global_load_dwordx4 v[28:31], v[6:7], off
	v_add_u32_e32 v2, s55, v4
	v_cmp_le_u32_e32 vcc, s51, v2
	s_orn2_b64 s[46:47], vcc, exec
	s_waitcnt vmcnt(1)
	v_add_f32_e32 v4, v20, v24
	v_add_f32_e32 v5, v21, v25
	;; [unrolled: 1-line block ×4, first 2 shown]
	v_mul_f32_e32 v4, v14, v4
	v_mul_f32_e32 v5, v14, v5
	;; [unrolled: 1-line block ×4, first 2 shown]
	s_waitcnt vmcnt(0)
	v_mul_f32_e32 v4, v28, v4
	v_mul_f32_e32 v5, v29, v5
	;; [unrolled: 1-line block ×4, first 2 shown]
	v_max3_f32 v4, v15, |v4|, |v5|
	v_max3_f32 v15, v4, |v6|, |v7|
	s_branch .LBB0_56
.LBB0_63:
	s_or_b64 exec, exec, s[36:37]
.LBB0_64:
	s_or_b64 exec, exec, s[28:29]
	ds_bpermute_b32 v2, v8, v15
	s_waitcnt lgkmcnt(0)
	v_cmp_lt_f32_e32 vcc, v15, v2
	v_cndmask_b32_e32 v2, v15, v2, vcc
	v_cndmask_b32_e64 v2, v15, v2, s[2:3]
	ds_bpermute_b32 v3, v9, v2
	s_or_b64 s[2:3], s[2:3], s[4:5]
	s_or_b64 s[2:3], s[8:9], s[2:3]
	;; [unrolled: 1-line block ×4, first 2 shown]
	s_waitcnt lgkmcnt(0)
	v_cmp_lt_f32_e32 vcc, v2, v3
	v_cndmask_b32_e32 v3, v2, v3, vcc
	v_cndmask_b32_e64 v2, v2, v3, s[4:5]
	ds_bpermute_b32 v3, v10, v2
	s_waitcnt lgkmcnt(0)
	v_cmp_lt_f32_e32 vcc, v2, v3
	v_cndmask_b32_e32 v3, v2, v3, vcc
	v_cndmask_b32_e64 v2, v2, v3, s[8:9]
	ds_bpermute_b32 v3, v11, v2
	;; [unrolled: 5-line block ×4, first 2 shown]
	s_waitcnt lgkmcnt(0)
	v_cmp_lt_f32_e32 vcc, v2, v3
	s_and_b64 vcc, s[20:21], vcc
	v_cndmask_b32_e32 v2, v2, v3, vcc
	s_or_b64 vcc, s[20:21], s[2:3]
	v_cndmask_b32_e32 v2, v15, v2, vcc
	s_and_saveexec_b64 s[2:3], s[14:15]
	s_cbranch_execz .LBB0_66
; %bb.65:
	v_lshrrev_b32_e32 v3, 4, v0
	v_and_b32_e32 v3, 60, v3
	ds_write_b32 v3, v2 offset:64
.LBB0_66:
	s_or_b64 exec, exec, s[2:3]
	s_waitcnt lgkmcnt(0)
	s_barrier
	s_and_saveexec_b64 s[8:9], s[16:17]
	s_cbranch_execz .LBB0_68
; %bb.67:
	v_lshlrev_b32_e32 v2, 2, v1
	ds_read_b32 v2, v2 offset:64
	v_and_b32_e32 v3, 15, v1
	v_cmp_ne_u32_e32 vcc, 15, v3
	v_addc_co_u32_e32 v4, vcc, 0, v1, vcc
	v_lshlrev_b32_e32 v4, 2, v4
	s_waitcnt lgkmcnt(0)
	ds_bpermute_b32 v4, v4, v2
	s_add_i32 s2, s52, 63
	s_lshr_b32 s4, s2, 6
	v_add_u32_e32 v5, 1, v3
	v_cmp_gt_u32_e64 s[2:3], 14, v3
	s_waitcnt lgkmcnt(0)
	v_cmp_lt_f32_e32 vcc, v2, v4
	v_cndmask_b32_e32 v4, v2, v4, vcc
	v_cmp_gt_u32_e32 vcc, s4, v5
	v_cndmask_b32_e64 v5, 0, 1, s[2:3]
	v_lshlrev_b32_e32 v5, 1, v5
	v_cndmask_b32_e32 v4, v2, v4, vcc
	v_add_lshl_u32 v5, v5, v1, 2
	ds_bpermute_b32 v5, v5, v4
	v_add_u32_e32 v6, 2, v3
	s_waitcnt lgkmcnt(0)
	v_cmp_lt_f32_e64 s[2:3], v4, v5
	v_cndmask_b32_e64 v5, v4, v5, s[2:3]
	v_cmp_gt_u32_e64 s[2:3], s4, v6
	v_cndmask_b32_e64 v4, v4, v5, s[2:3]
	v_cmp_gt_u32_e64 s[2:3], 12, v3
	v_cndmask_b32_e64 v5, 0, 1, s[2:3]
	v_lshlrev_b32_e32 v5, 2, v5
	v_add_lshl_u32 v5, v5, v1, 2
	ds_bpermute_b32 v5, v5, v4
	v_add_u32_e32 v6, 4, v3
	s_waitcnt lgkmcnt(0)
	v_cmp_lt_f32_e64 s[2:3], v4, v5
	v_cndmask_b32_e64 v5, v4, v5, s[2:3]
	v_cmp_gt_u32_e64 s[2:3], s4, v6
	v_cndmask_b32_e64 v4, v4, v5, s[2:3]
	v_cmp_gt_u32_e64 s[2:3], 8, v3
	v_cndmask_b32_e64 v5, 0, 1, s[2:3]
	v_lshlrev_b32_e32 v5, 3, v5
	v_add_lshl_u32 v1, v5, v1, 2
	ds_bpermute_b32 v1, v1, v4
	v_add_u32_e32 v3, 8, v3
	v_cmp_gt_u32_e64 s[2:3], s4, v3
	s_waitcnt lgkmcnt(0)
	v_cmp_lt_f32_e64 s[4:5], v4, v1
	s_and_b64 s[2:3], s[2:3], s[4:5]
	v_cndmask_b32_e64 v1, v4, v1, s[2:3]
	v_cndmask_b32_e32 v2, v2, v1, vcc
.LBB0_68:
	s_or_b64 exec, exec, s[8:9]
	s_and_saveexec_b64 s[2:3], s[18:19]
	s_cbranch_execz .LBB0_72
; %bb.69:
	s_cmp_eq_u64 s[22:23], 0
	s_cbranch_scc1 .LBB0_71
; %bb.70:
	s_load_dword s4, s[22:23], 0x0
	v_max_f32_e32 v1, v2, v2
	s_waitcnt lgkmcnt(0)
	v_max_f32_e64 v2, s4, s4
	v_min_f32_e32 v2, v1, v2
.LBB0_71:
	s_mov_b32 s8, 0x43e00000
	v_div_scale_f32 v1, s[4:5], s8, s8, v2
	v_rcp_f32_e32 v3, v1
	v_div_scale_f32 v4, vcc, v2, s8, v2
	s_lshl_b64 s[4:5], s[6:7], 2
	v_fma_f32 v5, -v1, v3, 1.0
	v_fmac_f32_e32 v3, v5, v3
	v_mul_f32_e32 v5, v4, v3
	v_fma_f32 v6, -v1, v5, v4
	v_fmac_f32_e32 v5, v6, v3
	v_fma_f32 v1, -v1, v5, v4
	v_div_fmas_f32 v1, v1, v3, v5
	v_div_fixup_f32 v1, v1, s8, v2
	s_add_u32 s4, s26, s4
	v_max_f32_e32 v1, 0x36924925, v1
	v_mov_b32_e32 v2, 0
	s_addc_u32 s5, s27, s5
	ds_write_b32 v2, v1 offset:260
	global_store_dword v2, v1, s[4:5]
.LBB0_72:
	s_or_b64 exec, exec, s[2:3]
	s_waitcnt lgkmcnt(0)
	s_barrier
	s_and_saveexec_b64 s[2:3], s[0:1]
	s_cbranch_execz .LBB0_177
; %bb.73:
	v_mov_b32_e32 v1, 0
	ds_read_b32 v15, v1 offset:260
	s_add_u32 s12, s24, s34
	s_addc_u32 s13, s25, s35
	s_mul_i32 s14, s52, 3
	s_lshl_b32 s15, s52, 1
	s_mov_b64 s[0:1], 0
	v_mov_b32_e32 v16, s48
	v_mov_b32_e32 v17, s31
	;; [unrolled: 1-line block ×3, first 2 shown]
	s_mov_b32 s16, 0x43f00000
	s_mov_b32 s17, 0x3c7fffff
	;; [unrolled: 1-line block ×4, first 2 shown]
	s_movk_i32 s20, 0x80
	s_movk_i32 s21, 0xff
	s_branch .LBB0_79
.LBB0_74:                               ;   in Loop: Header=BB0_79 Depth=1
	s_or_b64 exec, exec, s[10:11]
.LBB0_75:                               ;   in Loop: Header=BB0_79 Depth=1
	s_or_b64 exec, exec, s[8:9]
	v_and_b32_sdwa v12, v8, s20 dst_sel:DWORD dst_unused:UNUSED_PAD src0_sel:BYTE_3 src1_sel:DWORD
	v_lshlrev_b64 v[8:9], 2, v[0:1]
	v_and_b32_sdwa v3, v3, s20 dst_sel:DWORD dst_unused:UNUSED_PAD src0_sel:BYTE_3 src1_sel:DWORD
	v_mov_b32_e32 v0, s13
	v_add_co_u32_e32 v8, vcc, s12, v8
	v_and_or_b32 v4, v4, s21, v12
	v_lshrrev_b32_e32 v6, 24, v6
	v_addc_co_u32_e32 v9, vcc, v0, v9, vcc
	v_lshlrev_b32_e32 v0, 24, v7
	v_and_b32_e32 v5, 0x80000000, v5
	v_lshlrev_b32_e32 v4, 16, v4
	v_and_or_b32 v3, v11, s21, v3
	v_and_b32_e32 v2, 0xff, v2
	v_or3_b32 v0, v5, v0, v4
	v_lshlrev_b32_e32 v3, 8, v3
	v_and_or_b32 v2, v6, s20, v2
	s_add_i32 s8, s52, s52
	v_or3_b32 v0, v0, v3, v2
	s_add_i32 s8, s8, s52
	global_store_dword v[8:9], v0, off
	v_add_u32_e32 v0, s8, v10
	v_cmp_le_u32_e32 vcc, s51, v0
	s_orn2_b64 s[8:9], vcc, exec
.LBB0_76:                               ;   in Loop: Header=BB0_79 Depth=1
	s_or_b64 exec, exec, s[6:7]
	s_orn2_b64 s[6:7], s[8:9], exec
.LBB0_77:                               ;   in Loop: Header=BB0_79 Depth=1
	s_or_b64 exec, exec, s[4:5]
	s_orn2_b64 s[4:5], s[6:7], exec
.LBB0_78:                               ;   in Loop: Header=BB0_79 Depth=1
	s_or_b64 exec, exec, s[2:3]
	s_and_b64 s[2:3], exec, s[4:5]
	s_or_b64 s[0:1], s[2:3], s[0:1]
	s_andn2_b64 exec, exec, s[0:1]
	s_cbranch_execz .LBB0_177
.LBB0_79:                               ; =>This Inner Loop Header: Depth=1
	v_lshlrev_b64 v[2:3], 4, v[0:1]
	v_add_co_u32_e32 v4, vcc, s33, v2
	v_addc_co_u32_e32 v5, vcc, v16, v3, vcc
	v_add_co_u32_e32 v12, vcc, s49, v2
	v_addc_co_u32_e32 v13, vcc, v18, v3, vcc
	global_load_dwordx4 v[6:9], v[4:5], off
	global_load_dwordx4 v[20:23], v[12:13], off
	v_add_co_u32_e32 v2, vcc, s30, v2
	v_addc_co_u32_e32 v3, vcc, v17, v3, vcc
	global_load_dwordx4 v[2:5], v[2:3], off
	v_mov_b32_e32 v10, 0x7f
	s_waitcnt vmcnt(1)
	v_pk_add_f32 v[6:7], v[6:7], v[20:21]
	v_mul_f32_e32 v11, v14, v6
	v_pk_add_f32 v[8:9], v[8:9], v[22:23]
	global_store_dwordx4 v[12:13], v[6:9], off
	s_waitcnt vmcnt(1)
	v_mul_f32_e32 v2, v2, v11
	s_waitcnt lgkmcnt(0)
	v_div_scale_f32 v11, s[2:3], v15, v15, v2
	v_rcp_f32_e32 v19, v11
	v_div_scale_f32 v6, vcc, v2, v15, v2
	v_fma_f32 v12, -v11, v19, 1.0
	v_fmac_f32_e32 v19, v12, v19
	v_mul_f32_e32 v12, v6, v19
	v_fma_f32 v13, -v11, v12, v6
	v_fmac_f32_e32 v12, v13, v19
	v_fma_f32 v6, -v11, v12, v6
	v_div_fmas_f32 v6, v6, v19, v12
	v_div_fixup_f32 v2, v6, v15, v2
	v_min_f32_e32 v2, 0x43e00000, v2
	v_max_f32_e32 v6, 0xc3e00000, v2
	v_and_b32_e32 v11, 0x7fffffff, v6
	v_cmp_gt_u32_e32 vcc, s16, v11
	v_mov_b32_e32 v2, 0x7f
	s_and_saveexec_b64 s[2:3], vcc
	s_cbranch_execz .LBB0_85
; %bb.80:                               ;   in Loop: Header=BB0_79 Depth=1
	v_cmp_lt_u32_e32 vcc, s17, v11
                                        ; implicit-def: $vgpr2
	s_and_saveexec_b64 s[4:5], vcc
	s_xor_b64 s[4:5], exec, s[4:5]
; %bb.81:                               ;   in Loop: Header=BB0_79 Depth=1
	v_bfe_u32 v2, v6, 20, 1
	v_add3_u32 v2, v6, v2, s18
	v_lshrrev_b32_e32 v2, 20, v2
; %bb.82:                               ;   in Loop: Header=BB0_79 Depth=1
	s_andn2_saveexec_b64 s[4:5], s[4:5]
; %bb.83:                               ;   in Loop: Header=BB0_79 Depth=1
	v_add_f32_e64 v2, |v6|, s19
; %bb.84:                               ;   in Loop: Header=BB0_79 Depth=1
	s_or_b64 exec, exec, s[4:5]
.LBB0_85:                               ;   in Loop: Header=BB0_79 Depth=1
	s_or_b64 exec, exec, s[2:3]
	v_mul_f32_e32 v7, v14, v7
	v_mul_f32_e32 v3, v3, v7
	v_div_scale_f32 v7, s[2:3], v15, v15, v3
	v_rcp_f32_e32 v11, v7
	v_div_scale_f32 v12, vcc, v3, v15, v3
	v_fma_f32 v13, -v7, v11, 1.0
	v_fmac_f32_e32 v11, v13, v11
	v_mul_f32_e32 v13, v12, v11
	v_fma_f32 v19, -v7, v13, v12
	v_fmac_f32_e32 v13, v19, v11
	v_fma_f32 v7, -v7, v13, v12
	v_div_fmas_f32 v7, v7, v11, v13
	v_div_fixup_f32 v3, v7, v15, v3
	v_min_f32_e32 v3, 0x43e00000, v3
	v_max_f32_e32 v3, 0xc3e00000, v3
	v_and_b32_e32 v7, 0x7fffffff, v3
	v_cmp_gt_u32_e32 vcc, s16, v7
	s_and_saveexec_b64 s[2:3], vcc
	s_cbranch_execz .LBB0_91
; %bb.86:                               ;   in Loop: Header=BB0_79 Depth=1
	v_cmp_lt_u32_e32 vcc, s17, v7
                                        ; implicit-def: $vgpr10
	s_and_saveexec_b64 s[4:5], vcc
	s_xor_b64 s[4:5], exec, s[4:5]
; %bb.87:                               ;   in Loop: Header=BB0_79 Depth=1
	v_bfe_u32 v7, v3, 20, 1
	v_add3_u32 v7, v3, v7, s18
	v_lshrrev_b32_e32 v10, 20, v7
; %bb.88:                               ;   in Loop: Header=BB0_79 Depth=1
	s_andn2_saveexec_b64 s[4:5], s[4:5]
; %bb.89:                               ;   in Loop: Header=BB0_79 Depth=1
	v_add_f32_e64 v10, |v3|, s19
; %bb.90:                               ;   in Loop: Header=BB0_79 Depth=1
	s_or_b64 exec, exec, s[4:5]
.LBB0_91:                               ;   in Loop: Header=BB0_79 Depth=1
	s_or_b64 exec, exec, s[2:3]
	v_mul_f32_e32 v7, v14, v8
	v_mul_f32_e32 v4, v4, v7
	v_div_scale_f32 v7, s[2:3], v15, v15, v4
	v_rcp_f32_e32 v8, v7
	v_div_scale_f32 v11, vcc, v4, v15, v4
	v_fma_f32 v12, -v7, v8, 1.0
	v_fmac_f32_e32 v8, v12, v8
	v_mul_f32_e32 v12, v11, v8
	v_fma_f32 v13, -v7, v12, v11
	v_fmac_f32_e32 v12, v13, v8
	v_fma_f32 v7, -v7, v12, v11
	v_div_fmas_f32 v7, v7, v8, v12
	v_div_fixup_f32 v4, v7, v15, v4
	v_min_f32_e32 v4, 0x43e00000, v4
	v_max_f32_e32 v8, 0xc3e00000, v4
	v_and_b32_e32 v11, 0x7fffffff, v8
	v_cmp_gt_u32_e32 vcc, s16, v11
	v_mov_b32_e32 v7, 0x7f
	v_mov_b32_e32 v4, 0x7f
	s_and_saveexec_b64 s[2:3], vcc
	s_cbranch_execz .LBB0_97
; %bb.92:                               ;   in Loop: Header=BB0_79 Depth=1
	v_cmp_lt_u32_e32 vcc, s17, v11
                                        ; implicit-def: $vgpr4
	s_and_saveexec_b64 s[4:5], vcc
	s_xor_b64 s[4:5], exec, s[4:5]
; %bb.93:                               ;   in Loop: Header=BB0_79 Depth=1
	v_bfe_u32 v4, v8, 20, 1
	v_add3_u32 v4, v8, v4, s18
	v_lshrrev_b32_e32 v4, 20, v4
; %bb.94:                               ;   in Loop: Header=BB0_79 Depth=1
	s_andn2_saveexec_b64 s[4:5], s[4:5]
; %bb.95:                               ;   in Loop: Header=BB0_79 Depth=1
	v_add_f32_e64 v4, |v8|, s19
; %bb.96:                               ;   in Loop: Header=BB0_79 Depth=1
	s_or_b64 exec, exec, s[4:5]
.LBB0_97:                               ;   in Loop: Header=BB0_79 Depth=1
	s_or_b64 exec, exec, s[2:3]
	v_mul_f32_e32 v9, v14, v9
	v_mul_f32_e32 v5, v5, v9
	v_div_scale_f32 v9, s[2:3], v15, v15, v5
	v_rcp_f32_e32 v11, v9
	v_div_scale_f32 v12, vcc, v5, v15, v5
	v_fma_f32 v13, -v9, v11, 1.0
	v_fmac_f32_e32 v11, v13, v11
	v_mul_f32_e32 v13, v12, v11
	v_fma_f32 v19, -v9, v13, v12
	v_fmac_f32_e32 v13, v19, v11
	v_fma_f32 v9, -v9, v13, v12
	v_div_fmas_f32 v9, v9, v11, v13
	v_div_fixup_f32 v5, v9, v15, v5
	v_min_f32_e32 v5, 0x43e00000, v5
	v_max_f32_e32 v5, 0xc3e00000, v5
	v_and_b32_e32 v9, 0x7fffffff, v5
	v_cmp_gt_u32_e32 vcc, s16, v9
	s_and_saveexec_b64 s[2:3], vcc
	s_cbranch_execz .LBB0_103
; %bb.98:                               ;   in Loop: Header=BB0_79 Depth=1
	v_cmp_lt_u32_e32 vcc, s17, v9
                                        ; implicit-def: $vgpr7
	s_and_saveexec_b64 s[4:5], vcc
	s_xor_b64 s[4:5], exec, s[4:5]
; %bb.99:                               ;   in Loop: Header=BB0_79 Depth=1
	v_bfe_u32 v7, v5, 20, 1
	v_add3_u32 v7, v5, v7, s18
	v_lshrrev_b32_e32 v7, 20, v7
; %bb.100:                              ;   in Loop: Header=BB0_79 Depth=1
	s_andn2_saveexec_b64 s[4:5], s[4:5]
; %bb.101:                              ;   in Loop: Header=BB0_79 Depth=1
	v_add_f32_e64 v7, |v5|, s19
; %bb.102:                              ;   in Loop: Header=BB0_79 Depth=1
	s_or_b64 exec, exec, s[4:5]
.LBB0_103:                              ;   in Loop: Header=BB0_79 Depth=1
	s_or_b64 exec, exec, s[2:3]
	v_and_b32_sdwa v11, v8, s20 dst_sel:DWORD dst_unused:UNUSED_PAD src0_sel:BYTE_3 src1_sel:DWORD
	v_and_b32_sdwa v3, v3, s20 dst_sel:DWORD dst_unused:UNUSED_PAD src0_sel:BYTE_3 src1_sel:DWORD
	v_lshlrev_b64 v[8:9], 2, v[0:1]
	v_and_or_b32 v4, v4, s21, v11
	v_lshrrev_b32_e32 v6, 24, v6
	v_mov_b32_e32 v12, s13
	v_add_co_u32_e32 v8, vcc, s12, v8
	v_lshlrev_b32_e32 v7, 24, v7
	v_and_b32_e32 v5, 0x80000000, v5
	v_lshlrev_b32_e32 v4, 16, v4
	v_and_or_b32 v3, v10, s21, v3
	v_and_b32_e32 v2, 0xff, v2
	v_addc_co_u32_e32 v9, vcc, v12, v9, vcc
	v_or3_b32 v4, v5, v7, v4
	v_lshlrev_b32_e32 v3, 8, v3
	v_and_or_b32 v2, v6, s20, v2
	v_add_u32_e32 v10, s52, v0
	v_or3_b32 v2, v4, v3, v2
	v_cmp_gt_u32_e32 vcc, s51, v10
	s_mov_b64 s[4:5], -1
	global_store_dword v[8:9], v2, off
	s_and_saveexec_b64 s[2:3], vcc
	s_cbranch_execz .LBB0_78
; %bb.104:                              ;   in Loop: Header=BB0_79 Depth=1
	v_mov_b32_e32 v11, v1
	v_lshlrev_b64 v[2:3], 4, v[10:11]
	v_mov_b32_e32 v5, s48
	v_add_co_u32_e32 v4, vcc, s33, v2
	v_addc_co_u32_e32 v5, vcc, v5, v3, vcc
	v_mov_b32_e32 v6, s50
	v_add_co_u32_e32 v24, vcc, s49, v2
	v_addc_co_u32_e32 v25, vcc, v6, v3, vcc
	v_mov_b32_e32 v12, s31
	global_load_dwordx4 v[6:9], v[4:5], off
	global_load_dwordx4 v[20:23], v[24:25], off
	v_add_co_u32_e32 v2, vcc, s30, v2
	v_addc_co_u32_e32 v3, vcc, v12, v3, vcc
	global_load_dwordx4 v[2:5], v[2:3], off
	v_mov_b32_e32 v12, 0x7f
	s_waitcnt vmcnt(1)
	v_pk_add_f32 v[6:7], v[6:7], v[20:21]
	v_mul_f32_e32 v13, v14, v6
	v_pk_add_f32 v[8:9], v[8:9], v[22:23]
	global_store_dwordx4 v[24:25], v[6:9], off
	s_waitcnt vmcnt(1)
	v_mul_f32_e32 v2, v2, v13
	v_div_scale_f32 v13, s[4:5], v15, v15, v2
	v_rcp_f32_e32 v19, v13
	v_div_scale_f32 v6, vcc, v2, v15, v2
	v_fma_f32 v20, -v13, v19, 1.0
	v_fmac_f32_e32 v19, v20, v19
	v_mul_f32_e32 v20, v6, v19
	v_fma_f32 v21, -v13, v20, v6
	v_fmac_f32_e32 v20, v21, v19
	v_fma_f32 v6, -v13, v20, v6
	v_div_fmas_f32 v6, v6, v19, v20
	v_div_fixup_f32 v2, v6, v15, v2
	v_min_f32_e32 v2, 0x43e00000, v2
	v_max_f32_e32 v6, 0xc3e00000, v2
	v_and_b32_e32 v13, 0x7fffffff, v6
	v_cmp_gt_u32_e32 vcc, s16, v13
	v_mov_b32_e32 v2, 0x7f
	s_and_saveexec_b64 s[4:5], vcc
	s_cbranch_execz .LBB0_110
; %bb.105:                              ;   in Loop: Header=BB0_79 Depth=1
	v_cmp_lt_u32_e32 vcc, s17, v13
                                        ; implicit-def: $vgpr2
	s_and_saveexec_b64 s[6:7], vcc
	s_xor_b64 s[6:7], exec, s[6:7]
; %bb.106:                              ;   in Loop: Header=BB0_79 Depth=1
	v_bfe_u32 v2, v6, 20, 1
	v_add3_u32 v2, v6, v2, s18
	v_lshrrev_b32_e32 v2, 20, v2
; %bb.107:                              ;   in Loop: Header=BB0_79 Depth=1
	s_andn2_saveexec_b64 s[6:7], s[6:7]
; %bb.108:                              ;   in Loop: Header=BB0_79 Depth=1
	v_add_f32_e64 v2, |v6|, s19
; %bb.109:                              ;   in Loop: Header=BB0_79 Depth=1
	s_or_b64 exec, exec, s[6:7]
.LBB0_110:                              ;   in Loop: Header=BB0_79 Depth=1
	s_or_b64 exec, exec, s[4:5]
	v_mul_f32_e32 v7, v14, v7
	v_mul_f32_e32 v3, v3, v7
	v_div_scale_f32 v7, s[4:5], v15, v15, v3
	v_rcp_f32_e32 v13, v7
	v_div_scale_f32 v19, vcc, v3, v15, v3
	v_fma_f32 v20, -v7, v13, 1.0
	v_fmac_f32_e32 v13, v20, v13
	v_mul_f32_e32 v20, v19, v13
	v_fma_f32 v21, -v7, v20, v19
	v_fmac_f32_e32 v20, v21, v13
	v_fma_f32 v7, -v7, v20, v19
	v_div_fmas_f32 v7, v7, v13, v20
	v_div_fixup_f32 v3, v7, v15, v3
	v_min_f32_e32 v3, 0x43e00000, v3
	v_max_f32_e32 v3, 0xc3e00000, v3
	v_and_b32_e32 v7, 0x7fffffff, v3
	v_cmp_gt_u32_e32 vcc, s16, v7
	s_and_saveexec_b64 s[4:5], vcc
	s_cbranch_execz .LBB0_116
; %bb.111:                              ;   in Loop: Header=BB0_79 Depth=1
	v_cmp_lt_u32_e32 vcc, s17, v7
                                        ; implicit-def: $vgpr12
	s_and_saveexec_b64 s[6:7], vcc
	s_xor_b64 s[6:7], exec, s[6:7]
; %bb.112:                              ;   in Loop: Header=BB0_79 Depth=1
	v_bfe_u32 v7, v3, 20, 1
	v_add3_u32 v7, v3, v7, s18
	v_lshrrev_b32_e32 v12, 20, v7
; %bb.113:                              ;   in Loop: Header=BB0_79 Depth=1
	s_andn2_saveexec_b64 s[6:7], s[6:7]
; %bb.114:                              ;   in Loop: Header=BB0_79 Depth=1
	v_add_f32_e64 v12, |v3|, s19
; %bb.115:                              ;   in Loop: Header=BB0_79 Depth=1
	s_or_b64 exec, exec, s[6:7]
.LBB0_116:                              ;   in Loop: Header=BB0_79 Depth=1
	s_or_b64 exec, exec, s[4:5]
	v_mul_f32_e32 v7, v14, v8
	v_mul_f32_e32 v4, v4, v7
	v_div_scale_f32 v7, s[4:5], v15, v15, v4
	v_rcp_f32_e32 v8, v7
	v_div_scale_f32 v13, vcc, v4, v15, v4
	v_fma_f32 v19, -v7, v8, 1.0
	v_fmac_f32_e32 v8, v19, v8
	v_mul_f32_e32 v19, v13, v8
	v_fma_f32 v20, -v7, v19, v13
	v_fmac_f32_e32 v19, v20, v8
	v_fma_f32 v7, -v7, v19, v13
	v_div_fmas_f32 v7, v7, v8, v19
	v_div_fixup_f32 v4, v7, v15, v4
	v_min_f32_e32 v4, 0x43e00000, v4
	v_max_f32_e32 v8, 0xc3e00000, v4
	v_and_b32_e32 v13, 0x7fffffff, v8
	v_cmp_gt_u32_e32 vcc, s16, v13
	v_mov_b32_e32 v7, 0x7f
	v_mov_b32_e32 v4, 0x7f
	s_and_saveexec_b64 s[4:5], vcc
	s_cbranch_execz .LBB0_122
; %bb.117:                              ;   in Loop: Header=BB0_79 Depth=1
	v_cmp_lt_u32_e32 vcc, s17, v13
                                        ; implicit-def: $vgpr4
	s_and_saveexec_b64 s[6:7], vcc
	s_xor_b64 s[6:7], exec, s[6:7]
; %bb.118:                              ;   in Loop: Header=BB0_79 Depth=1
	v_bfe_u32 v4, v8, 20, 1
	v_add3_u32 v4, v8, v4, s18
	v_lshrrev_b32_e32 v4, 20, v4
; %bb.119:                              ;   in Loop: Header=BB0_79 Depth=1
	s_andn2_saveexec_b64 s[6:7], s[6:7]
; %bb.120:                              ;   in Loop: Header=BB0_79 Depth=1
	v_add_f32_e64 v4, |v8|, s19
; %bb.121:                              ;   in Loop: Header=BB0_79 Depth=1
	s_or_b64 exec, exec, s[6:7]
.LBB0_122:                              ;   in Loop: Header=BB0_79 Depth=1
	s_or_b64 exec, exec, s[4:5]
	v_mul_f32_e32 v9, v14, v9
	v_mul_f32_e32 v5, v5, v9
	v_div_scale_f32 v9, s[4:5], v15, v15, v5
	v_rcp_f32_e32 v13, v9
	v_div_scale_f32 v19, vcc, v5, v15, v5
	v_fma_f32 v20, -v9, v13, 1.0
	v_fmac_f32_e32 v13, v20, v13
	v_mul_f32_e32 v20, v19, v13
	v_fma_f32 v21, -v9, v20, v19
	v_fmac_f32_e32 v20, v21, v13
	v_fma_f32 v9, -v9, v20, v19
	v_div_fmas_f32 v9, v9, v13, v20
	v_div_fixup_f32 v5, v9, v15, v5
	v_min_f32_e32 v5, 0x43e00000, v5
	v_max_f32_e32 v5, 0xc3e00000, v5
	v_and_b32_e32 v9, 0x7fffffff, v5
	v_cmp_gt_u32_e32 vcc, s16, v9
	s_and_saveexec_b64 s[4:5], vcc
	s_cbranch_execz .LBB0_128
; %bb.123:                              ;   in Loop: Header=BB0_79 Depth=1
	v_cmp_lt_u32_e32 vcc, s17, v9
                                        ; implicit-def: $vgpr7
	s_and_saveexec_b64 s[6:7], vcc
	s_xor_b64 s[6:7], exec, s[6:7]
; %bb.124:                              ;   in Loop: Header=BB0_79 Depth=1
	v_bfe_u32 v7, v5, 20, 1
	v_add3_u32 v7, v5, v7, s18
	v_lshrrev_b32_e32 v7, 20, v7
; %bb.125:                              ;   in Loop: Header=BB0_79 Depth=1
	s_andn2_saveexec_b64 s[6:7], s[6:7]
; %bb.126:                              ;   in Loop: Header=BB0_79 Depth=1
	v_add_f32_e64 v7, |v5|, s19
; %bb.127:                              ;   in Loop: Header=BB0_79 Depth=1
	s_or_b64 exec, exec, s[6:7]
.LBB0_128:                              ;   in Loop: Header=BB0_79 Depth=1
	s_or_b64 exec, exec, s[4:5]
	v_and_b32_sdwa v13, v8, s20 dst_sel:DWORD dst_unused:UNUSED_PAD src0_sel:BYTE_3 src1_sel:DWORD
	v_and_b32_sdwa v3, v3, s20 dst_sel:DWORD dst_unused:UNUSED_PAD src0_sel:BYTE_3 src1_sel:DWORD
	v_lshlrev_b64 v[8:9], 2, v[10:11]
	v_and_or_b32 v4, v4, s21, v13
	v_lshrrev_b32_e32 v6, 24, v6
	v_mov_b32_e32 v11, s13
	v_add_co_u32_e32 v8, vcc, s12, v8
	v_lshlrev_b32_e32 v7, 24, v7
	v_and_b32_e32 v5, 0x80000000, v5
	v_lshlrev_b32_e32 v4, 16, v4
	v_and_or_b32 v3, v12, s21, v3
	v_and_b32_e32 v2, 0xff, v2
	v_addc_co_u32_e32 v9, vcc, v11, v9, vcc
	v_or3_b32 v4, v5, v7, v4
	v_lshlrev_b32_e32 v3, 8, v3
	v_and_or_b32 v2, v6, s20, v2
	v_add_u32_e32 v12, s15, v0
	v_or3_b32 v2, v4, v3, v2
	v_cmp_gt_u32_e32 vcc, s51, v12
	s_mov_b64 s[6:7], -1
	global_store_dword v[8:9], v2, off
	s_and_saveexec_b64 s[4:5], vcc
	s_cbranch_execz .LBB0_77
; %bb.129:                              ;   in Loop: Header=BB0_79 Depth=1
	v_mov_b32_e32 v13, v1
	v_lshlrev_b64 v[2:3], 4, v[12:13]
	v_mov_b32_e32 v5, s48
	v_add_co_u32_e32 v4, vcc, s33, v2
	v_addc_co_u32_e32 v5, vcc, v5, v3, vcc
	v_mov_b32_e32 v6, s50
	v_add_co_u32_e32 v24, vcc, s49, v2
	v_addc_co_u32_e32 v25, vcc, v6, v3, vcc
	v_mov_b32_e32 v11, s31
	global_load_dwordx4 v[6:9], v[4:5], off
	global_load_dwordx4 v[20:23], v[24:25], off
	v_add_co_u32_e32 v2, vcc, s30, v2
	v_addc_co_u32_e32 v3, vcc, v11, v3, vcc
	global_load_dwordx4 v[2:5], v[2:3], off
	v_mov_b32_e32 v11, 0x7f
	s_waitcnt vmcnt(1)
	v_pk_add_f32 v[6:7], v[6:7], v[20:21]
	v_mul_f32_e32 v19, v14, v6
	v_pk_add_f32 v[8:9], v[8:9], v[22:23]
	global_store_dwordx4 v[24:25], v[6:9], off
	s_waitcnt vmcnt(1)
	v_mul_f32_e32 v2, v2, v19
	v_div_scale_f32 v19, s[6:7], v15, v15, v2
	v_rcp_f32_e32 v20, v19
	v_div_scale_f32 v6, vcc, v2, v15, v2
	v_fma_f32 v21, -v19, v20, 1.0
	v_fmac_f32_e32 v20, v21, v20
	v_mul_f32_e32 v21, v6, v20
	v_fma_f32 v22, -v19, v21, v6
	v_fmac_f32_e32 v21, v22, v20
	v_fma_f32 v6, -v19, v21, v6
	v_div_fmas_f32 v6, v6, v20, v21
	v_div_fixup_f32 v2, v6, v15, v2
	v_min_f32_e32 v2, 0x43e00000, v2
	v_max_f32_e32 v6, 0xc3e00000, v2
	v_and_b32_e32 v19, 0x7fffffff, v6
	v_cmp_gt_u32_e32 vcc, s16, v19
	v_mov_b32_e32 v2, 0x7f
	s_and_saveexec_b64 s[6:7], vcc
	s_cbranch_execz .LBB0_135
; %bb.130:                              ;   in Loop: Header=BB0_79 Depth=1
	v_cmp_lt_u32_e32 vcc, s17, v19
                                        ; implicit-def: $vgpr2
	s_and_saveexec_b64 s[8:9], vcc
	s_xor_b64 s[8:9], exec, s[8:9]
; %bb.131:                              ;   in Loop: Header=BB0_79 Depth=1
	v_bfe_u32 v2, v6, 20, 1
	v_add3_u32 v2, v6, v2, s18
	v_lshrrev_b32_e32 v2, 20, v2
; %bb.132:                              ;   in Loop: Header=BB0_79 Depth=1
	s_andn2_saveexec_b64 s[8:9], s[8:9]
; %bb.133:                              ;   in Loop: Header=BB0_79 Depth=1
	v_add_f32_e64 v2, |v6|, s19
; %bb.134:                              ;   in Loop: Header=BB0_79 Depth=1
	s_or_b64 exec, exec, s[8:9]
.LBB0_135:                              ;   in Loop: Header=BB0_79 Depth=1
	s_or_b64 exec, exec, s[6:7]
	v_mul_f32_e32 v7, v14, v7
	v_mul_f32_e32 v3, v3, v7
	v_div_scale_f32 v7, s[6:7], v15, v15, v3
	v_rcp_f32_e32 v19, v7
	v_div_scale_f32 v20, vcc, v3, v15, v3
	v_fma_f32 v21, -v7, v19, 1.0
	v_fmac_f32_e32 v19, v21, v19
	v_mul_f32_e32 v21, v20, v19
	v_fma_f32 v22, -v7, v21, v20
	v_fmac_f32_e32 v21, v22, v19
	v_fma_f32 v7, -v7, v21, v20
	v_div_fmas_f32 v7, v7, v19, v21
	v_div_fixup_f32 v3, v7, v15, v3
	v_min_f32_e32 v3, 0x43e00000, v3
	v_max_f32_e32 v3, 0xc3e00000, v3
	v_and_b32_e32 v7, 0x7fffffff, v3
	v_cmp_gt_u32_e32 vcc, s16, v7
	s_and_saveexec_b64 s[6:7], vcc
	s_cbranch_execz .LBB0_141
; %bb.136:                              ;   in Loop: Header=BB0_79 Depth=1
	v_cmp_lt_u32_e32 vcc, s17, v7
                                        ; implicit-def: $vgpr11
	s_and_saveexec_b64 s[8:9], vcc
	s_xor_b64 s[8:9], exec, s[8:9]
; %bb.137:                              ;   in Loop: Header=BB0_79 Depth=1
	v_bfe_u32 v7, v3, 20, 1
	v_add3_u32 v7, v3, v7, s18
	v_lshrrev_b32_e32 v11, 20, v7
; %bb.138:                              ;   in Loop: Header=BB0_79 Depth=1
	s_andn2_saveexec_b64 s[8:9], s[8:9]
; %bb.139:                              ;   in Loop: Header=BB0_79 Depth=1
	v_add_f32_e64 v11, |v3|, s19
; %bb.140:                              ;   in Loop: Header=BB0_79 Depth=1
	s_or_b64 exec, exec, s[8:9]
.LBB0_141:                              ;   in Loop: Header=BB0_79 Depth=1
	s_or_b64 exec, exec, s[6:7]
	v_mul_f32_e32 v7, v14, v8
	v_mul_f32_e32 v4, v4, v7
	v_div_scale_f32 v7, s[6:7], v15, v15, v4
	v_rcp_f32_e32 v8, v7
	v_div_scale_f32 v19, vcc, v4, v15, v4
	v_fma_f32 v20, -v7, v8, 1.0
	v_fmac_f32_e32 v8, v20, v8
	v_mul_f32_e32 v20, v19, v8
	v_fma_f32 v21, -v7, v20, v19
	v_fmac_f32_e32 v20, v21, v8
	v_fma_f32 v7, -v7, v20, v19
	v_div_fmas_f32 v7, v7, v8, v20
	v_div_fixup_f32 v4, v7, v15, v4
	v_min_f32_e32 v4, 0x43e00000, v4
	v_max_f32_e32 v8, 0xc3e00000, v4
	v_and_b32_e32 v19, 0x7fffffff, v8
	v_cmp_gt_u32_e32 vcc, s16, v19
	v_mov_b32_e32 v7, 0x7f
	v_mov_b32_e32 v4, 0x7f
	s_and_saveexec_b64 s[6:7], vcc
	s_cbranch_execz .LBB0_147
; %bb.142:                              ;   in Loop: Header=BB0_79 Depth=1
	v_cmp_lt_u32_e32 vcc, s17, v19
                                        ; implicit-def: $vgpr4
	s_and_saveexec_b64 s[8:9], vcc
	s_xor_b64 s[8:9], exec, s[8:9]
; %bb.143:                              ;   in Loop: Header=BB0_79 Depth=1
	v_bfe_u32 v4, v8, 20, 1
	v_add3_u32 v4, v8, v4, s18
	v_lshrrev_b32_e32 v4, 20, v4
; %bb.144:                              ;   in Loop: Header=BB0_79 Depth=1
	s_andn2_saveexec_b64 s[8:9], s[8:9]
; %bb.145:                              ;   in Loop: Header=BB0_79 Depth=1
	v_add_f32_e64 v4, |v8|, s19
; %bb.146:                              ;   in Loop: Header=BB0_79 Depth=1
	s_or_b64 exec, exec, s[8:9]
.LBB0_147:                              ;   in Loop: Header=BB0_79 Depth=1
	s_or_b64 exec, exec, s[6:7]
	v_mul_f32_e32 v9, v14, v9
	v_mul_f32_e32 v5, v5, v9
	v_div_scale_f32 v9, s[6:7], v15, v15, v5
	v_rcp_f32_e32 v19, v9
	v_div_scale_f32 v20, vcc, v5, v15, v5
	v_fma_f32 v21, -v9, v19, 1.0
	v_fmac_f32_e32 v19, v21, v19
	v_mul_f32_e32 v21, v20, v19
	v_fma_f32 v22, -v9, v21, v20
	v_fmac_f32_e32 v21, v22, v19
	v_fma_f32 v9, -v9, v21, v20
	v_div_fmas_f32 v9, v9, v19, v21
	v_div_fixup_f32 v5, v9, v15, v5
	v_min_f32_e32 v5, 0x43e00000, v5
	v_max_f32_e32 v5, 0xc3e00000, v5
	v_and_b32_e32 v9, 0x7fffffff, v5
	v_cmp_gt_u32_e32 vcc, s16, v9
	s_and_saveexec_b64 s[6:7], vcc
	s_cbranch_execz .LBB0_153
; %bb.148:                              ;   in Loop: Header=BB0_79 Depth=1
	v_cmp_lt_u32_e32 vcc, s17, v9
                                        ; implicit-def: $vgpr7
	s_and_saveexec_b64 s[8:9], vcc
	s_xor_b64 s[8:9], exec, s[8:9]
; %bb.149:                              ;   in Loop: Header=BB0_79 Depth=1
	v_bfe_u32 v7, v5, 20, 1
	v_add3_u32 v7, v5, v7, s18
	v_lshrrev_b32_e32 v7, 20, v7
; %bb.150:                              ;   in Loop: Header=BB0_79 Depth=1
	s_andn2_saveexec_b64 s[8:9], s[8:9]
; %bb.151:                              ;   in Loop: Header=BB0_79 Depth=1
	v_add_f32_e64 v7, |v5|, s19
; %bb.152:                              ;   in Loop: Header=BB0_79 Depth=1
	s_or_b64 exec, exec, s[8:9]
.LBB0_153:                              ;   in Loop: Header=BB0_79 Depth=1
	s_or_b64 exec, exec, s[6:7]
	v_and_b32_sdwa v19, v8, s20 dst_sel:DWORD dst_unused:UNUSED_PAD src0_sel:BYTE_3 src1_sel:DWORD
	v_and_b32_sdwa v3, v3, s20 dst_sel:DWORD dst_unused:UNUSED_PAD src0_sel:BYTE_3 src1_sel:DWORD
	v_lshlrev_b64 v[8:9], 2, v[12:13]
	v_and_or_b32 v4, v4, s21, v19
	v_lshrrev_b32_e32 v6, 24, v6
	v_mov_b32_e32 v12, s13
	v_add_co_u32_e32 v8, vcc, s12, v8
	v_lshlrev_b32_e32 v7, 24, v7
	v_and_b32_e32 v5, 0x80000000, v5
	v_lshlrev_b32_e32 v4, 16, v4
	v_and_or_b32 v3, v11, s21, v3
	v_and_b32_e32 v2, 0xff, v2
	v_addc_co_u32_e32 v9, vcc, v12, v9, vcc
	v_or3_b32 v4, v5, v7, v4
	v_lshlrev_b32_e32 v3, 8, v3
	v_and_or_b32 v2, v6, s20, v2
	v_add_u32_e32 v0, s14, v0
	v_or3_b32 v2, v4, v3, v2
	v_cmp_gt_u32_e32 vcc, s51, v0
	s_mov_b64 s[8:9], -1
	global_store_dword v[8:9], v2, off
	s_and_saveexec_b64 s[6:7], vcc
	s_cbranch_execz .LBB0_76
; %bb.154:                              ;   in Loop: Header=BB0_79 Depth=1
	v_lshlrev_b64 v[2:3], 4, v[0:1]
	v_mov_b32_e32 v5, s48
	v_add_co_u32_e32 v4, vcc, s33, v2
	v_addc_co_u32_e32 v5, vcc, v5, v3, vcc
	v_mov_b32_e32 v6, s50
	v_add_co_u32_e32 v12, vcc, s49, v2
	v_addc_co_u32_e32 v13, vcc, v6, v3, vcc
	v_mov_b32_e32 v11, s31
	global_load_dwordx4 v[6:9], v[4:5], off
	global_load_dwordx4 v[20:23], v[12:13], off
	v_add_co_u32_e32 v2, vcc, s30, v2
	v_addc_co_u32_e32 v3, vcc, v11, v3, vcc
	global_load_dwordx4 v[2:5], v[2:3], off
	v_mov_b32_e32 v11, 0x7f
	s_waitcnt vmcnt(1)
	v_pk_add_f32 v[6:7], v[6:7], v[20:21]
	v_mul_f32_e32 v19, v14, v6
	v_pk_add_f32 v[8:9], v[8:9], v[22:23]
	global_store_dwordx4 v[12:13], v[6:9], off
	s_waitcnt vmcnt(1)
	v_mul_f32_e32 v2, v2, v19
	v_div_scale_f32 v19, s[8:9], v15, v15, v2
	v_rcp_f32_e32 v20, v19
	v_div_scale_f32 v6, vcc, v2, v15, v2
	v_fma_f32 v12, -v19, v20, 1.0
	v_fmac_f32_e32 v20, v12, v20
	v_mul_f32_e32 v12, v6, v20
	v_fma_f32 v13, -v19, v12, v6
	v_fmac_f32_e32 v12, v13, v20
	v_fma_f32 v6, -v19, v12, v6
	v_div_fmas_f32 v6, v6, v20, v12
	v_div_fixup_f32 v2, v6, v15, v2
	v_min_f32_e32 v2, 0x43e00000, v2
	v_max_f32_e32 v6, 0xc3e00000, v2
	v_and_b32_e32 v12, 0x7fffffff, v6
	v_cmp_gt_u32_e32 vcc, s16, v12
	v_mov_b32_e32 v2, 0x7f
	s_and_saveexec_b64 s[8:9], vcc
	s_cbranch_execz .LBB0_160
; %bb.155:                              ;   in Loop: Header=BB0_79 Depth=1
	v_cmp_lt_u32_e32 vcc, s17, v12
                                        ; implicit-def: $vgpr2
	s_and_saveexec_b64 s[10:11], vcc
	s_xor_b64 s[10:11], exec, s[10:11]
; %bb.156:                              ;   in Loop: Header=BB0_79 Depth=1
	v_bfe_u32 v2, v6, 20, 1
	v_add3_u32 v2, v6, v2, s18
	v_lshrrev_b32_e32 v2, 20, v2
; %bb.157:                              ;   in Loop: Header=BB0_79 Depth=1
	s_andn2_saveexec_b64 s[10:11], s[10:11]
; %bb.158:                              ;   in Loop: Header=BB0_79 Depth=1
	v_add_f32_e64 v2, |v6|, s19
; %bb.159:                              ;   in Loop: Header=BB0_79 Depth=1
	s_or_b64 exec, exec, s[10:11]
.LBB0_160:                              ;   in Loop: Header=BB0_79 Depth=1
	s_or_b64 exec, exec, s[8:9]
	v_mul_f32_e32 v7, v14, v7
	v_mul_f32_e32 v3, v3, v7
	v_div_scale_f32 v7, s[8:9], v15, v15, v3
	v_rcp_f32_e32 v12, v7
	v_div_scale_f32 v13, vcc, v3, v15, v3
	v_fma_f32 v19, -v7, v12, 1.0
	v_fmac_f32_e32 v12, v19, v12
	v_mul_f32_e32 v19, v13, v12
	v_fma_f32 v20, -v7, v19, v13
	v_fmac_f32_e32 v19, v20, v12
	v_fma_f32 v7, -v7, v19, v13
	v_div_fmas_f32 v7, v7, v12, v19
	v_div_fixup_f32 v3, v7, v15, v3
	v_min_f32_e32 v3, 0x43e00000, v3
	v_max_f32_e32 v3, 0xc3e00000, v3
	v_and_b32_e32 v7, 0x7fffffff, v3
	v_cmp_gt_u32_e32 vcc, s16, v7
	s_and_saveexec_b64 s[8:9], vcc
	s_cbranch_execz .LBB0_166
; %bb.161:                              ;   in Loop: Header=BB0_79 Depth=1
	v_cmp_lt_u32_e32 vcc, s17, v7
                                        ; implicit-def: $vgpr11
	s_and_saveexec_b64 s[10:11], vcc
	s_xor_b64 s[10:11], exec, s[10:11]
; %bb.162:                              ;   in Loop: Header=BB0_79 Depth=1
	v_bfe_u32 v7, v3, 20, 1
	v_add3_u32 v7, v3, v7, s18
	v_lshrrev_b32_e32 v11, 20, v7
; %bb.163:                              ;   in Loop: Header=BB0_79 Depth=1
	s_andn2_saveexec_b64 s[10:11], s[10:11]
; %bb.164:                              ;   in Loop: Header=BB0_79 Depth=1
	v_add_f32_e64 v11, |v3|, s19
; %bb.165:                              ;   in Loop: Header=BB0_79 Depth=1
	s_or_b64 exec, exec, s[10:11]
.LBB0_166:                              ;   in Loop: Header=BB0_79 Depth=1
	s_or_b64 exec, exec, s[8:9]
	v_mul_f32_e32 v7, v14, v8
	v_mul_f32_e32 v4, v4, v7
	v_div_scale_f32 v7, s[8:9], v15, v15, v4
	v_rcp_f32_e32 v8, v7
	v_div_scale_f32 v12, vcc, v4, v15, v4
	v_fma_f32 v13, -v7, v8, 1.0
	v_fmac_f32_e32 v8, v13, v8
	v_mul_f32_e32 v13, v12, v8
	v_fma_f32 v19, -v7, v13, v12
	v_fmac_f32_e32 v13, v19, v8
	v_fma_f32 v7, -v7, v13, v12
	v_div_fmas_f32 v7, v7, v8, v13
	v_div_fixup_f32 v4, v7, v15, v4
	v_min_f32_e32 v4, 0x43e00000, v4
	v_max_f32_e32 v8, 0xc3e00000, v4
	v_and_b32_e32 v12, 0x7fffffff, v8
	v_cmp_gt_u32_e32 vcc, s16, v12
	v_mov_b32_e32 v7, 0x7f
	v_mov_b32_e32 v4, 0x7f
	s_and_saveexec_b64 s[8:9], vcc
	s_cbranch_execz .LBB0_172
; %bb.167:                              ;   in Loop: Header=BB0_79 Depth=1
	v_cmp_lt_u32_e32 vcc, s17, v12
                                        ; implicit-def: $vgpr4
	s_and_saveexec_b64 s[10:11], vcc
	s_xor_b64 s[10:11], exec, s[10:11]
; %bb.168:                              ;   in Loop: Header=BB0_79 Depth=1
	v_bfe_u32 v4, v8, 20, 1
	v_add3_u32 v4, v8, v4, s18
	v_lshrrev_b32_e32 v4, 20, v4
; %bb.169:                              ;   in Loop: Header=BB0_79 Depth=1
	s_andn2_saveexec_b64 s[10:11], s[10:11]
; %bb.170:                              ;   in Loop: Header=BB0_79 Depth=1
	v_add_f32_e64 v4, |v8|, s19
; %bb.171:                              ;   in Loop: Header=BB0_79 Depth=1
	s_or_b64 exec, exec, s[10:11]
.LBB0_172:                              ;   in Loop: Header=BB0_79 Depth=1
	s_or_b64 exec, exec, s[8:9]
	v_mul_f32_e32 v9, v14, v9
	v_mul_f32_e32 v5, v5, v9
	v_div_scale_f32 v9, s[8:9], v15, v15, v5
	v_rcp_f32_e32 v12, v9
	v_div_scale_f32 v13, vcc, v5, v15, v5
	v_fma_f32 v19, -v9, v12, 1.0
	v_fmac_f32_e32 v12, v19, v12
	v_mul_f32_e32 v19, v13, v12
	v_fma_f32 v20, -v9, v19, v13
	v_fmac_f32_e32 v19, v20, v12
	v_fma_f32 v9, -v9, v19, v13
	v_div_fmas_f32 v9, v9, v12, v19
	v_div_fixup_f32 v5, v9, v15, v5
	v_min_f32_e32 v5, 0x43e00000, v5
	v_max_f32_e32 v5, 0xc3e00000, v5
	v_and_b32_e32 v9, 0x7fffffff, v5
	v_cmp_gt_u32_e32 vcc, s16, v9
	s_and_saveexec_b64 s[8:9], vcc
	s_cbranch_execz .LBB0_75
; %bb.173:                              ;   in Loop: Header=BB0_79 Depth=1
	v_cmp_lt_u32_e32 vcc, s17, v9
                                        ; implicit-def: $vgpr7
	s_and_saveexec_b64 s[10:11], vcc
	s_xor_b64 s[10:11], exec, s[10:11]
; %bb.174:                              ;   in Loop: Header=BB0_79 Depth=1
	v_bfe_u32 v7, v5, 20, 1
	v_add3_u32 v7, v5, v7, s18
	v_lshrrev_b32_e32 v7, 20, v7
; %bb.175:                              ;   in Loop: Header=BB0_79 Depth=1
	s_andn2_saveexec_b64 s[10:11], s[10:11]
	s_cbranch_execz .LBB0_74
; %bb.176:                              ;   in Loop: Header=BB0_79 Depth=1
	v_add_f32_e64 v7, |v5|, s19
	s_branch .LBB0_74
.LBB0_177:
	s_endpgm
	.section	.rodata,"a",@progbits
	.p2align	6, 0x0
	.amdhsa_kernel _ZN4vllm39rms_norm_dynamic_per_token_quant_kernelIfN3c1013Float8_e4m3fnELb1EEEvPT0_PfPKT_S8_PKffiiPS6_
		.amdhsa_group_segment_fixed_size 272
		.amdhsa_private_segment_fixed_size 0
		.amdhsa_kernarg_size 320
		.amdhsa_user_sgpr_count 6
		.amdhsa_user_sgpr_private_segment_buffer 1
		.amdhsa_user_sgpr_dispatch_ptr 0
		.amdhsa_user_sgpr_queue_ptr 0
		.amdhsa_user_sgpr_kernarg_segment_ptr 1
		.amdhsa_user_sgpr_dispatch_id 0
		.amdhsa_user_sgpr_flat_scratch_init 0
		.amdhsa_user_sgpr_kernarg_preload_length 0
		.amdhsa_user_sgpr_kernarg_preload_offset 0
		.amdhsa_user_sgpr_private_segment_size 0
		.amdhsa_uses_dynamic_stack 0
		.amdhsa_system_sgpr_private_segment_wavefront_offset 0
		.amdhsa_system_sgpr_workgroup_id_x 1
		.amdhsa_system_sgpr_workgroup_id_y 0
		.amdhsa_system_sgpr_workgroup_id_z 0
		.amdhsa_system_sgpr_workgroup_info 0
		.amdhsa_system_vgpr_workitem_id 0
		.amdhsa_next_free_vgpr 32
		.amdhsa_next_free_sgpr 56
		.amdhsa_accum_offset 32
		.amdhsa_reserve_vcc 1
		.amdhsa_reserve_flat_scratch 0
		.amdhsa_float_round_mode_32 0
		.amdhsa_float_round_mode_16_64 0
		.amdhsa_float_denorm_mode_32 3
		.amdhsa_float_denorm_mode_16_64 3
		.amdhsa_dx10_clamp 1
		.amdhsa_ieee_mode 1
		.amdhsa_fp16_overflow 0
		.amdhsa_tg_split 0
		.amdhsa_exception_fp_ieee_invalid_op 0
		.amdhsa_exception_fp_denorm_src 0
		.amdhsa_exception_fp_ieee_div_zero 0
		.amdhsa_exception_fp_ieee_overflow 0
		.amdhsa_exception_fp_ieee_underflow 0
		.amdhsa_exception_fp_ieee_inexact 0
		.amdhsa_exception_int_div_zero 0
	.end_amdhsa_kernel
	.section	.text._ZN4vllm39rms_norm_dynamic_per_token_quant_kernelIfN3c1013Float8_e4m3fnELb1EEEvPT0_PfPKT_S8_PKffiiPS6_,"axG",@progbits,_ZN4vllm39rms_norm_dynamic_per_token_quant_kernelIfN3c1013Float8_e4m3fnELb1EEEvPT0_PfPKT_S8_PKffiiPS6_,comdat
.Lfunc_end0:
	.size	_ZN4vllm39rms_norm_dynamic_per_token_quant_kernelIfN3c1013Float8_e4m3fnELb1EEEvPT0_PfPKT_S8_PKffiiPS6_, .Lfunc_end0-_ZN4vllm39rms_norm_dynamic_per_token_quant_kernelIfN3c1013Float8_e4m3fnELb1EEEvPT0_PfPKT_S8_PKffiiPS6_
                                        ; -- End function
	.section	.AMDGPU.csdata,"",@progbits
; Kernel info:
; codeLenInByte = 9784
; NumSgprs: 60
; NumVgprs: 32
; NumAgprs: 0
; TotalNumVgprs: 32
; ScratchSize: 0
; MemoryBound: 0
; FloatMode: 240
; IeeeMode: 1
; LDSByteSize: 272 bytes/workgroup (compile time only)
; SGPRBlocks: 7
; VGPRBlocks: 3
; NumSGPRsForWavesPerEU: 60
; NumVGPRsForWavesPerEU: 32
; AccumOffset: 32
; Occupancy: 8
; WaveLimiterHint : 0
; COMPUTE_PGM_RSRC2:SCRATCH_EN: 0
; COMPUTE_PGM_RSRC2:USER_SGPR: 6
; COMPUTE_PGM_RSRC2:TRAP_HANDLER: 0
; COMPUTE_PGM_RSRC2:TGID_X_EN: 1
; COMPUTE_PGM_RSRC2:TGID_Y_EN: 0
; COMPUTE_PGM_RSRC2:TGID_Z_EN: 0
; COMPUTE_PGM_RSRC2:TIDIG_COMP_CNT: 0
; COMPUTE_PGM_RSRC3_GFX90A:ACCUM_OFFSET: 7
; COMPUTE_PGM_RSRC3_GFX90A:TG_SPLIT: 0
	.section	.text._ZN4vllm39rms_norm_dynamic_per_token_quant_kernelIfN3c1015Float8_e4m3fnuzELb1EEEvPT0_PfPKT_S8_PKffiiPS6_,"axG",@progbits,_ZN4vllm39rms_norm_dynamic_per_token_quant_kernelIfN3c1015Float8_e4m3fnuzELb1EEEvPT0_PfPKT_S8_PKffiiPS6_,comdat
	.protected	_ZN4vllm39rms_norm_dynamic_per_token_quant_kernelIfN3c1015Float8_e4m3fnuzELb1EEEvPT0_PfPKT_S8_PKffiiPS6_ ; -- Begin function _ZN4vllm39rms_norm_dynamic_per_token_quant_kernelIfN3c1015Float8_e4m3fnuzELb1EEEvPT0_PfPKT_S8_PKffiiPS6_
	.globl	_ZN4vllm39rms_norm_dynamic_per_token_quant_kernelIfN3c1015Float8_e4m3fnuzELb1EEEvPT0_PfPKT_S8_PKffiiPS6_
	.p2align	8
	.type	_ZN4vllm39rms_norm_dynamic_per_token_quant_kernelIfN3c1015Float8_e4m3fnuzELb1EEEvPT0_PfPKT_S8_PKffiiPS6_,@function
_ZN4vllm39rms_norm_dynamic_per_token_quant_kernelIfN3c1015Float8_e4m3fnuzELb1EEEvPT0_PfPKT_S8_PKffiiPS6_: ; @_ZN4vllm39rms_norm_dynamic_per_token_quant_kernelIfN3c1015Float8_e4m3fnuzELb1EEEvPT0_PfPKT_S8_PKffiiPS6_
; %bb.0:
	s_load_dwordx4 s[36:39], s[4:5], 0x28
	s_load_dwordx2 s[22:23], s[4:5], 0x20
	s_load_dwordx8 s[24:31], s[4:5], 0x0
	s_load_dwordx2 s[40:41], s[4:5], 0x38
	s_waitcnt lgkmcnt(0)
	s_or_b32 s0, s38, s37
	s_and_b32 s0, s0, 3
	s_cmp_lg_u32 s0, 0
	s_cbranch_scc0 .LBB1_39
; %bb.1:
	v_cmp_gt_u32_e64 s[0:1], s37, v0
	v_cmp_le_u32_e64 s[2:3], s37, v0
                                        ; implicit-def: $sgpr7
                                        ; implicit-def: $sgpr10_sgpr11
	s_and_saveexec_b64 s[8:9], s[2:3]
	s_xor_b64 s[8:9], exec, s[8:9]
; %bb.2:
	s_add_u32 s10, s4, 64
	s_addc_u32 s11, s5, 0
	s_mov_b32 s7, 0
; %bb.3:
	s_or_saveexec_b64 s[8:9], s[8:9]
	v_mov_b32_e32 v6, s7
	v_pk_mov_b32 v[2:3], s[10:11], s[10:11] op_sel:[0,1]
	v_mov_b32_e32 v1, s6
	s_xor_b64 exec, exec, s[8:9]
	s_cbranch_execz .LBB1_7
; %bb.4:
	s_ashr_i32 s7, s37, 31
	s_mul_hi_u32 s10, s37, s6
	s_mul_i32 s7, s7, s6
	s_add_i32 s11, s10, s7
	s_ashr_i32 s7, s38, 31
	s_mul_hi_u32 s12, s38, s6
	s_mul_i32 s7, s7, s6
	s_add_i32 s13, s12, s7
	s_mul_i32 s12, s38, s6
	s_lshl_b64 s[12:13], s[12:13], 2
	s_mul_i32 s10, s37, s6
	s_add_u32 s7, s28, s12
	s_load_dword s12, s[4:5], 0x4c
	s_addc_u32 s16, s29, s13
	s_lshl_b64 s[10:11], s[10:11], 2
	s_add_u32 s14, s40, s10
	s_addc_u32 s17, s41, s11
	s_add_u32 s10, s4, 64
	s_addc_u32 s11, s5, 0
	s_waitcnt lgkmcnt(0)
	s_and_b32 s15, s12, 0xffff
	s_mov_b64 s[12:13], 0
	v_mov_b32_e32 v3, 0
	v_mov_b32_e32 v1, s16
	;; [unrolled: 1-line block ×5, first 2 shown]
.LBB1_5:                                ; =>This Inner Loop Header: Depth=1
	v_lshlrev_b64 v[8:9], 2, v[2:3]
	v_add_co_u32_e32 v10, vcc, s7, v8
	v_addc_co_u32_e32 v11, vcc, v1, v9, vcc
	v_add_co_u32_e32 v8, vcc, s14, v8
	v_addc_co_u32_e32 v9, vcc, v4, v9, vcc
	global_load_dword v5, v[10:11], off
	global_load_dword v7, v[8:9], off
	v_add_u32_e32 v2, s15, v2
	v_cmp_le_u32_e32 vcc, s37, v2
	s_or_b64 s[12:13], vcc, s[12:13]
	s_waitcnt vmcnt(0)
	v_add_f32_e32 v5, v5, v7
	v_fmac_f32_e32 v6, v5, v5
	s_andn2_b64 exec, exec, s[12:13]
	s_cbranch_execnz .LBB1_5
; %bb.6:
	s_or_b64 exec, exec, s[12:13]
	v_pk_mov_b32 v[2:3], s[10:11], s[10:11] op_sel:[0,1]
	v_mov_b32_e32 v1, s6
.LBB1_7:
	s_or_b64 exec, exec, s[8:9]
	global_load_dword v4, v[2:3], off
	v_and_b32_e32 v5, 0x3c0, v0
	s_waitcnt vmcnt(0)
	v_cmp_lt_u32_e32 vcc, v1, v4
	v_cndmask_b32_e64 v1, 18, 12, vcc
	v_add_co_u32_e32 v2, vcc, v2, v1
	v_addc_co_u32_e32 v3, vcc, 0, v3, vcc
	global_load_ushort v1, v[2:3], off
	v_mbcnt_lo_u32_b32 v2, -1, 0
	v_mbcnt_hi_u32_b32 v4, -1, v2
	v_and_b32_e32 v2, 63, v4
	v_cmp_ne_u32_e32 vcc, 63, v2
	v_addc_co_u32_e32 v3, vcc, 0, v4, vcc
	v_lshlrev_b32_e32 v14, 2, v3
	ds_bpermute_b32 v3, v14, v6
	v_cmp_gt_u32_e32 vcc, 62, v2
	v_cndmask_b32_e64 v12, 0, 1, vcc
	v_lshlrev_b32_e32 v12, 1, v12
	v_add_u32_e32 v7, 1, v4
	v_add_lshl_u32 v13, v12, v4, 2
	s_waitcnt lgkmcnt(0)
	v_add_f32_e32 v3, v6, v3
	v_add_u32_e32 v8, 2, v4
	v_add_u32_e32 v10, 4, v4
	;; [unrolled: 1-line block ×5, first 2 shown]
	v_cmp_eq_u32_e64 s[8:9], 0, v4
	s_waitcnt vmcnt(0)
	v_sub_u32_e64 v12, v1, v5 clamp
	v_cmp_lt_u32_e32 vcc, v7, v12
	v_cndmask_b32_e32 v3, v6, v3, vcc
	ds_bpermute_b32 v6, v13, v3
	v_cmp_gt_u32_e32 vcc, 60, v2
	v_cndmask_b32_e64 v15, 0, 1, vcc
	v_lshlrev_b32_e32 v15, 2, v15
	v_cmp_lt_u32_e32 vcc, v8, v12
	s_waitcnt lgkmcnt(0)
	v_add_f32_e32 v6, v3, v6
	v_add_lshl_u32 v15, v15, v4, 2
	v_cndmask_b32_e32 v3, v3, v6, vcc
	ds_bpermute_b32 v6, v15, v3
	v_cmp_gt_u32_e32 vcc, 56, v2
	v_cndmask_b32_e64 v16, 0, 1, vcc
	v_lshlrev_b32_e32 v16, 3, v16
	v_cmp_lt_u32_e32 vcc, v10, v12
	s_waitcnt lgkmcnt(0)
	v_add_f32_e32 v6, v3, v6
	v_add_lshl_u32 v16, v16, v4, 2
	;; [unrolled: 9-line block ×3, first 2 shown]
	v_cndmask_b32_e32 v3, v3, v6, vcc
	ds_bpermute_b32 v6, v18, v3
	v_cmp_gt_u32_e32 vcc, 32, v2
	v_cndmask_b32_e64 v2, 0, 1, vcc
	v_lshlrev_b32_e32 v2, 5, v2
	v_add_lshl_u32 v17, v2, v4, 2
	s_waitcnt lgkmcnt(0)
	v_add_f32_e32 v2, v3, v6
	v_cmp_lt_u32_e32 vcc, v9, v12
	v_cndmask_b32_e32 v2, v3, v2, vcc
	ds_bpermute_b32 v3, v17, v2
	v_cmp_lt_u32_e32 vcc, v19, v12
	s_waitcnt lgkmcnt(0)
	v_add_f32_e32 v3, v2, v3
	v_cndmask_b32_e32 v2, v2, v3, vcc
	s_and_saveexec_b64 s[10:11], s[8:9]
	s_cbranch_execz .LBB1_9
; %bb.8:
	v_lshrrev_b32_e32 v3, 4, v0
	v_and_b32_e32 v3, 60, v3
	ds_write_b32 v3, v2 offset:128
.LBB1_9:
	s_or_b64 exec, exec, s[10:11]
	v_cmp_gt_u32_e64 s[10:11], 16, v0
	v_lshlrev_b32_e32 v12, 2, v4
	v_and_b32_e32 v6, 15, v4
	s_waitcnt lgkmcnt(0)
	s_barrier
	s_and_saveexec_b64 s[14:15], s[10:11]
	s_cbranch_execz .LBB1_11
; %bb.10:
	ds_read_b32 v2, v12 offset:128
	v_cmp_ne_u32_e32 vcc, 15, v6
	v_addc_co_u32_e32 v3, vcc, 0, v4, vcc
	v_lshlrev_b32_e32 v3, 2, v3
	s_waitcnt lgkmcnt(0)
	ds_bpermute_b32 v3, v3, v2
	v_add_u32_e32 v1, 63, v1
	v_add_u32_e32 v20, 1, v6
	v_lshrrev_b32_e32 v1, 6, v1
	v_cmp_gt_u32_e64 s[12:13], 14, v6
	v_cmp_lt_u32_e32 vcc, v20, v1
	v_cndmask_b32_e64 v20, 0, 1, s[12:13]
	s_waitcnt lgkmcnt(0)
	v_add_f32_e32 v3, v2, v3
	v_lshlrev_b32_e32 v20, 1, v20
	v_cndmask_b32_e32 v3, v2, v3, vcc
	v_add_lshl_u32 v20, v20, v4, 2
	ds_bpermute_b32 v20, v20, v3
	v_add_u32_e32 v21, 2, v6
	v_cmp_lt_u32_e64 s[12:13], v21, v1
	v_add_u32_e32 v21, 4, v6
	s_waitcnt lgkmcnt(0)
	v_add_f32_e32 v20, v3, v20
	v_cndmask_b32_e64 v3, v3, v20, s[12:13]
	v_cmp_gt_u32_e64 s[12:13], 12, v6
	v_cndmask_b32_e64 v20, 0, 1, s[12:13]
	v_lshlrev_b32_e32 v20, 2, v20
	v_add_lshl_u32 v20, v20, v4, 2
	ds_bpermute_b32 v20, v20, v3
	v_cmp_lt_u32_e64 s[12:13], v21, v1
	v_add_u32_e32 v21, 8, v6
	s_waitcnt lgkmcnt(0)
	v_add_f32_e32 v20, v3, v20
	v_cndmask_b32_e64 v3, v3, v20, s[12:13]
	v_cmp_gt_u32_e64 s[12:13], 8, v6
	v_cndmask_b32_e64 v20, 0, 1, s[12:13]
	v_lshlrev_b32_e32 v20, 3, v20
	v_add_lshl_u32 v20, v20, v4, 2
	ds_bpermute_b32 v20, v20, v3
	v_cmp_lt_u32_e64 s[12:13], v21, v1
	s_waitcnt lgkmcnt(0)
	v_add_f32_e32 v20, v3, v20
	v_cndmask_b32_e64 v1, v3, v20, s[12:13]
	v_cndmask_b32_e32 v2, v2, v1, vcc
.LBB1_11:
	s_or_b64 exec, exec, s[14:15]
	s_mov_b32 s7, 0
	v_cmp_eq_u32_e64 s[12:13], 0, v0
	s_and_saveexec_b64 s[14:15], s[12:13]
	s_cbranch_execz .LBB1_13
; %bb.12:
	v_cvt_f32_i32_e32 v1, s37
	v_div_scale_f32 v3, s[16:17], v1, v1, v2
	v_rcp_f32_e32 v20, v3
	v_div_scale_f32 v21, vcc, v2, v1, v2
	s_mov_b32 s16, 0x800000
	v_fma_f32 v22, -v3, v20, 1.0
	v_fmac_f32_e32 v20, v22, v20
	v_mul_f32_e32 v22, v21, v20
	v_fma_f32 v23, -v3, v22, v21
	v_fmac_f32_e32 v22, v23, v20
	v_fma_f32 v3, -v3, v22, v21
	v_div_fmas_f32 v3, v3, v20, v22
	v_div_fixup_f32 v1, v3, v1, v2
	v_add_f32_e32 v1, s36, v1
	v_mul_f32_e32 v2, 0x4b800000, v1
	v_cmp_gt_f32_e32 vcc, s16, v1
	v_cndmask_b32_e32 v1, v1, v2, vcc
	v_rsq_f32_e32 v1, v1
	v_mul_f32_e32 v2, 0x45800000, v1
	v_cndmask_b32_e32 v1, v1, v2, vcc
	v_mov_b32_e32 v2, 0
	ds_write_b32 v2, v1 offset:264
.LBB1_13:
	s_or_b64 exec, exec, s[14:15]
	v_mov_b32_e32 v1, 0
	s_waitcnt lgkmcnt(0)
	s_barrier
	ds_read_b32 v1, v1 offset:264
	s_waitcnt lgkmcnt(0)
	s_barrier
	s_waitcnt lgkmcnt(0)
                                        ; implicit-def: $sgpr16
                                        ; implicit-def: $sgpr14_sgpr15
	s_and_saveexec_b64 s[18:19], s[2:3]
	s_xor_b64 s[2:3], exec, s[18:19]
; %bb.14:
	s_add_u32 s14, s4, 64
	s_addc_u32 s15, s5, 0
	s_mov_b32 s16, 0
; %bb.15:
	s_or_saveexec_b64 s[2:3], s[2:3]
	v_mov_b32_e32 v20, s16
	v_pk_mov_b32 v[2:3], s[14:15], s[14:15] op_sel:[0,1]
	s_mul_hi_u32 s39, s37, s6
	s_mul_i32 s34, s37, s6
	s_mul_hi_u32 s33, s38, s6
	s_mul_i32 s42, s38, s6
	s_xor_b64 exec, exec, s[2:3]
	s_cbranch_execz .LBB1_19
; %bb.16:
	s_ashr_i32 s14, s37, 31
	s_mul_i32 s14, s14, s6
	s_add_i32 s35, s39, s14
	s_ashr_i32 s14, s38, 31
	s_mul_i32 s14, s14, s6
	s_add_i32 s43, s33, s14
	s_lshl_b64 s[14:15], s[42:43], 2
	s_add_u32 s18, s28, s14
	s_load_dword s16, s[4:5], 0x4c
	s_addc_u32 s21, s29, s15
	s_lshl_b64 s[14:15], s[34:35], 2
	s_add_u32 s19, s40, s14
	s_addc_u32 s35, s41, s15
	s_add_u32 s14, s4, 64
	s_addc_u32 s15, s5, 0
	s_waitcnt lgkmcnt(0)
	s_and_b32 s20, s16, 0xffff
	s_mov_b64 s[16:17], 0
	v_mov_b32_e32 v3, 0
	v_mov_b32_e32 v21, s21
	;; [unrolled: 1-line block ×6, first 2 shown]
.LBB1_17:                               ; =>This Inner Loop Header: Depth=1
	v_lshlrev_b64 v[24:25], 2, v[2:3]
	v_add_co_u32_e32 v26, vcc, s18, v24
	v_addc_co_u32_e32 v27, vcc, v21, v25, vcc
	v_add_co_u32_e32 v28, vcc, s19, v24
	v_addc_co_u32_e32 v29, vcc, v22, v25, vcc
	v_add_co_u32_e32 v24, vcc, s30, v24
	global_load_dword v30, v[26:27], off
	global_load_dword v31, v[28:29], off
	v_addc_co_u32_e32 v25, vcc, v23, v25, vcc
	global_load_dword v24, v[24:25], off
	v_add_u32_e32 v2, s20, v2
	v_max_f32_e32 v20, v20, v20
	v_cmp_le_u32_e32 vcc, s37, v2
	s_or_b64 s[16:17], vcc, s[16:17]
	s_waitcnt vmcnt(1)
	v_add_f32_e32 v25, v30, v31
	v_mul_f32_e32 v25, v1, v25
	s_waitcnt vmcnt(0)
	v_mul_f32_e32 v24, v24, v25
	v_max_f32_e64 v20, v20, |v24|
	s_andn2_b64 exec, exec, s[16:17]
	s_cbranch_execnz .LBB1_17
; %bb.18:
	s_or_b64 exec, exec, s[16:17]
	v_pk_mov_b32 v[2:3], s[14:15], s[14:15] op_sel:[0,1]
.LBB1_19:
	s_or_b64 exec, exec, s[2:3]
	global_load_dword v21, v[2:3], off
	s_waitcnt vmcnt(0)
	v_cmp_lt_u32_e32 vcc, s6, v21
	v_cndmask_b32_e64 v21, 18, 12, vcc
	v_add_co_u32_e32 v2, vcc, v2, v21
	v_addc_co_u32_e32 v3, vcc, 0, v3, vcc
	global_load_ushort v2, v[2:3], off
	ds_bpermute_b32 v3, v14, v20
	s_waitcnt lgkmcnt(0)
	v_cmp_lt_f32_e32 vcc, v20, v3
	v_cndmask_b32_e32 v3, v20, v3, vcc
	s_waitcnt vmcnt(0)
	v_sub_u32_e64 v5, v2, v5 clamp
	v_cmp_lt_u32_e32 vcc, v7, v5
	v_cndmask_b32_e32 v3, v20, v3, vcc
	ds_bpermute_b32 v7, v13, v3
	v_cmp_lt_u32_e64 s[18:19], v19, v5
	s_waitcnt lgkmcnt(0)
	v_cmp_lt_f32_e64 s[2:3], v3, v7
	v_cndmask_b32_e64 v7, v3, v7, s[2:3]
	v_cmp_lt_u32_e64 s[2:3], v8, v5
	v_cndmask_b32_e64 v3, v3, v7, s[2:3]
	ds_bpermute_b32 v7, v15, v3
	s_or_b64 s[2:3], vcc, s[2:3]
	s_waitcnt lgkmcnt(0)
	v_cmp_lt_f32_e64 s[14:15], v3, v7
	v_cndmask_b32_e64 v7, v3, v7, s[14:15]
	v_cmp_lt_u32_e64 s[14:15], v10, v5
	v_cndmask_b32_e64 v3, v3, v7, s[14:15]
	ds_bpermute_b32 v7, v16, v3
	s_or_b64 s[2:3], s[14:15], s[2:3]
	s_waitcnt lgkmcnt(0)
	v_cmp_lt_f32_e64 s[16:17], v3, v7
	v_cndmask_b32_e64 v7, v3, v7, s[16:17]
	v_cmp_lt_u32_e64 s[16:17], v11, v5
	v_cndmask_b32_e64 v3, v3, v7, s[16:17]
	ds_bpermute_b32 v7, v18, v3
	s_or_b64 s[2:3], s[16:17], s[2:3]
	;; [unrolled: 7-line block ×3, first 2 shown]
	s_waitcnt lgkmcnt(0)
	v_cmp_lt_f32_e32 vcc, v3, v5
	s_and_b64 vcc, s[18:19], vcc
	v_cndmask_b32_e32 v3, v3, v5, vcc
	s_or_b64 vcc, s[18:19], s[2:3]
	v_cndmask_b32_e32 v3, v20, v3, vcc
	s_and_saveexec_b64 s[2:3], s[8:9]
	s_cbranch_execz .LBB1_21
; %bb.20:
	v_lshrrev_b32_e32 v5, 4, v0
	v_and_b32_e32 v5, 60, v5
	ds_write_b32 v5, v3 offset:192
.LBB1_21:
	s_or_b64 exec, exec, s[2:3]
	s_waitcnt lgkmcnt(0)
	s_barrier
	s_and_saveexec_b64 s[14:15], s[10:11]
	s_cbranch_execz .LBB1_23
; %bb.22:
	ds_read_b32 v3, v12 offset:192
	v_cmp_ne_u32_e32 vcc, 15, v6
	v_addc_co_u32_e32 v5, vcc, 0, v4, vcc
	v_lshlrev_b32_e32 v5, 2, v5
	s_waitcnt lgkmcnt(0)
	ds_bpermute_b32 v5, v5, v3
	v_add_u32_e32 v2, 63, v2
	v_add_u32_e32 v7, 1, v6
	v_lshrrev_b32_e32 v2, 6, v2
	v_cmp_gt_u32_e64 s[2:3], 14, v6
	s_waitcnt lgkmcnt(0)
	v_cmp_lt_f32_e32 vcc, v3, v5
	v_cndmask_b32_e32 v5, v3, v5, vcc
	v_cmp_lt_u32_e32 vcc, v7, v2
	v_cndmask_b32_e64 v7, 0, 1, s[2:3]
	v_lshlrev_b32_e32 v7, 1, v7
	v_cndmask_b32_e32 v5, v3, v5, vcc
	v_add_lshl_u32 v7, v7, v4, 2
	ds_bpermute_b32 v7, v7, v5
	v_add_u32_e32 v8, 2, v6
	s_waitcnt lgkmcnt(0)
	v_cmp_lt_f32_e64 s[2:3], v5, v7
	v_cndmask_b32_e64 v7, v5, v7, s[2:3]
	v_cmp_lt_u32_e64 s[2:3], v8, v2
	v_cndmask_b32_e64 v5, v5, v7, s[2:3]
	v_cmp_gt_u32_e64 s[2:3], 12, v6
	v_cndmask_b32_e64 v7, 0, 1, s[2:3]
	v_lshlrev_b32_e32 v7, 2, v7
	v_add_lshl_u32 v7, v7, v4, 2
	ds_bpermute_b32 v7, v7, v5
	v_add_u32_e32 v8, 4, v6
	s_waitcnt lgkmcnt(0)
	v_cmp_lt_f32_e64 s[2:3], v5, v7
	v_cndmask_b32_e64 v7, v5, v7, s[2:3]
	v_cmp_lt_u32_e64 s[2:3], v8, v2
	v_cndmask_b32_e64 v5, v5, v7, s[2:3]
	v_cmp_gt_u32_e64 s[2:3], 8, v6
	v_cndmask_b32_e64 v7, 0, 1, s[2:3]
	v_lshlrev_b32_e32 v7, 3, v7
	v_add_lshl_u32 v4, v7, v4, 2
	ds_bpermute_b32 v4, v4, v5
	v_add_u32_e32 v6, 8, v6
	v_cmp_lt_u32_e64 s[2:3], v6, v2
	s_waitcnt lgkmcnt(0)
	v_cmp_lt_f32_e64 s[8:9], v5, v4
	s_and_b64 s[2:3], s[2:3], s[8:9]
	v_cndmask_b32_e64 v2, v5, v4, s[2:3]
	v_cndmask_b32_e32 v3, v3, v2, vcc
.LBB1_23:
	s_or_b64 exec, exec, s[14:15]
	s_and_saveexec_b64 s[2:3], s[12:13]
	s_cbranch_execz .LBB1_27
; %bb.24:
	s_cmp_eq_u64 s[22:23], 0
	s_cbranch_scc1 .LBB1_26
; %bb.25:
	s_load_dword s8, s[22:23], 0x0
	v_max_f32_e32 v2, v3, v3
	s_waitcnt lgkmcnt(0)
	v_max_f32_e64 v3, s8, s8
	v_min_f32_e32 v3, v2, v3
.LBB1_26:
	s_mov_b32 s10, 0x43600000
	v_div_scale_f32 v2, s[8:9], s10, s10, v3
	v_rcp_f32_e32 v4, v2
	v_div_scale_f32 v5, vcc, v3, s10, v3
	s_lshl_b64 s[8:9], s[6:7], 2
	v_fma_f32 v6, -v2, v4, 1.0
	v_fmac_f32_e32 v4, v6, v4
	v_mul_f32_e32 v6, v5, v4
	v_fma_f32 v7, -v2, v6, v5
	v_fmac_f32_e32 v6, v7, v4
	v_fma_f32 v2, -v2, v6, v5
	v_div_fmas_f32 v2, v2, v4, v6
	v_div_fixup_f32 v2, v2, s10, v3
	s_add_u32 s8, s26, s8
	v_max_f32_e32 v2, 0x37124925, v2
	v_mov_b32_e32 v3, 0
	s_addc_u32 s9, s27, s9
	ds_write_b32 v3, v2 offset:268
	global_store_dword v3, v2, s[8:9]
.LBB1_27:
	s_or_b64 exec, exec, s[2:3]
	s_waitcnt lgkmcnt(0)
	s_barrier
	s_and_saveexec_b64 s[2:3], s[0:1]
	s_cbranch_execz .LBB1_38
; %bb.28:
	s_ashr_i32 s0, s37, 31
	s_mul_i32 s0, s0, s6
	s_add_i32 s8, s39, s0
	s_ashr_i32 s0, s38, 31
	v_mov_b32_e32 v3, 0
	s_mul_i32 s0, s0, s6
	s_load_dword s9, s[4:5], 0x4c
	ds_read_b32 v6, v3 offset:268
	s_add_i32 s43, s33, s0
	s_lshl_b64 s[0:1], s[42:43], 2
	s_add_u32 s7, s28, s0
	s_addc_u32 s10, s29, s1
	s_waitcnt lgkmcnt(0)
	s_and_b32 s14, s9, 0xffff
	s_mov_b64 s[0:1], 0
	v_mov_b32_e32 v7, s10
	v_mov_b32_e32 v8, s8
	;; [unrolled: 1-line block ×4, first 2 shown]
	s_mov_b32 s15, 0x43800000
	s_mov_b32 s16, 0x3bffffff
	;; [unrolled: 1-line block ×4, first 2 shown]
	s_movk_i32 s19, 0x80
	v_mov_b32_e32 v11, s25
	v_mov_b32_e32 v2, v0
	s_branch .LBB1_31
.LBB1_29:                               ;   in Loop: Header=BB1_31 Depth=1
	s_or_b64 exec, exec, s[12:13]
.LBB1_30:                               ;   in Loop: Header=BB1_31 Depth=1
	s_or_b64 exec, exec, s[8:9]
	v_add_co_u32_e32 v4, vcc, s24, v4
	v_addc_co_u32_e32 v5, vcc, v11, v5, vcc
	v_add_u32_e32 v2, s14, v2
	v_cmp_le_u32_e32 vcc, s37, v2
	s_or_b64 s[0:1], vcc, s[0:1]
	global_store_byte v[4:5], v14, off
	s_andn2_b64 exec, exec, s[0:1]
	s_cbranch_execz .LBB1_38
.LBB1_31:                               ; =>This Inner Loop Header: Depth=1
	v_lshlrev_b64 v[12:13], 2, v[2:3]
	v_add_co_u32_e32 v4, vcc, s7, v12
	v_addc_co_u32_e32 v5, vcc, v7, v13, vcc
	global_load_dword v16, v[4:5], off
	v_add_co_u32_e32 v4, vcc, s34, v2
	v_addc_co_u32_e32 v5, vcc, 0, v8, vcc
	v_lshlrev_b64 v[14:15], 2, v[4:5]
	v_add_co_u32_e32 v14, vcc, s40, v14
	v_addc_co_u32_e32 v15, vcc, v9, v15, vcc
	global_load_dword v17, v[14:15], off
	v_add_co_u32_e32 v12, vcc, s30, v12
	v_addc_co_u32_e32 v13, vcc, v10, v13, vcc
	global_load_dword v12, v[12:13], off
	s_waitcnt vmcnt(1)
	v_add_f32_e32 v13, v16, v17
	v_mul_f32_e32 v16, v1, v13
	global_store_dword v[14:15], v13, off
	s_waitcnt vmcnt(1)
	v_mul_f32_e32 v12, v16, v12
	v_div_scale_f32 v16, s[8:9], v6, v6, v12
	v_rcp_f32_e32 v17, v16
	v_div_scale_f32 v13, vcc, v12, v6, v12
	v_fma_f32 v14, -v16, v17, 1.0
	v_fmac_f32_e32 v17, v14, v17
	v_mul_f32_e32 v14, v13, v17
	v_fma_f32 v15, -v16, v14, v13
	v_fmac_f32_e32 v14, v15, v17
	v_fma_f32 v13, -v16, v14, v13
	v_div_fmas_f32 v13, v13, v17, v14
	v_div_fixup_f32 v12, v13, v6, v12
	v_min_f32_e32 v12, 0x43600000, v12
	v_max_f32_e32 v12, 0xc3600000, v12
	v_and_b32_e32 v13, 0x7fffffff, v12
	v_cmp_gt_u32_e32 vcc, s15, v13
	v_mov_b32_e32 v14, 0x80
	s_and_saveexec_b64 s[8:9], vcc
	s_cbranch_execz .LBB1_30
; %bb.32:                               ;   in Loop: Header=BB1_31 Depth=1
	v_cmp_lt_u32_e32 vcc, s16, v13
	s_mov_b64 s[10:11], 0
                                        ; implicit-def: $vgpr13
	s_and_saveexec_b64 s[12:13], vcc
	s_xor_b64 s[12:13], exec, s[12:13]
	s_cbranch_execnz .LBB1_35
; %bb.33:                               ;   in Loop: Header=BB1_31 Depth=1
	s_or_saveexec_b64 s[12:13], s[12:13]
                                        ; implicit-def: $sgpr20
	s_xor_b64 exec, exec, s[12:13]
	s_cbranch_execnz .LBB1_36
.LBB1_34:                               ;   in Loop: Header=BB1_31 Depth=1
	s_or_b64 exec, exec, s[12:13]
	v_mov_b32_e32 v14, s20
	s_and_saveexec_b64 s[12:13], s[10:11]
	s_cbranch_execz .LBB1_29
	s_branch .LBB1_37
.LBB1_35:                               ;   in Loop: Header=BB1_31 Depth=1
	v_bfe_u32 v13, v12, 20, 1
	v_add3_u32 v13, v12, v13, s17
	s_mov_b64 s[10:11], exec
	v_lshrrev_b32_e32 v13, 20, v13
	s_or_saveexec_b64 s[12:13], s[12:13]
                                        ; implicit-def: $sgpr20
	s_xor_b64 exec, exec, s[12:13]
	s_cbranch_execz .LBB1_34
.LBB1_36:                               ;   in Loop: Header=BB1_31 Depth=1
	v_add_f32_e64 v13, |v12|, s18
	v_and_b32_e32 v13, 0xff, v13
	v_cmp_ne_u32_e32 vcc, 0, v13
	s_andn2_b64 s[10:11], s[10:11], exec
	s_and_b64 s[42:43], vcc, exec
	s_mov_b32 s20, 0
	s_or_b64 s[10:11], s[10:11], s[42:43]
	s_or_b64 exec, exec, s[12:13]
	v_mov_b32_e32 v14, s20
	s_and_saveexec_b64 s[12:13], s[10:11]
	s_cbranch_execz .LBB1_29
.LBB1_37:                               ;   in Loop: Header=BB1_31 Depth=1
	v_lshrrev_b32_e32 v12, 24, v12
	v_and_or_b32 v14, v12, s19, v13
	s_branch .LBB1_29
.LBB1_38:
	s_or_b64 exec, exec, s[2:3]
	s_branch .LBB1_211
.LBB1_39:
	s_cbranch_execz .LBB1_211
; %bb.40:
	s_ashr_i32 s0, s38, 31
	s_mul_hi_u32 s1, s38, s6
	s_mul_i32 s0, s0, s6
	s_ashr_i32 s2, s37, 31
	s_add_i32 s1, s1, s0
	s_mul_i32 s0, s38, s6
	s_mul_hi_u32 s3, s37, s6
	s_mul_i32 s2, s2, s6
	s_add_i32 s35, s3, s2
	s_lshl_b64 s[0:1], s[0:1], 2
	s_mul_i32 s34, s37, s6
	s_add_u32 s33, s28, s0
	s_addc_u32 s48, s29, s1
	s_lshl_b64 s[0:1], s[34:35], 2
	s_load_dword s18, s[4:5], 0x40
	s_add_u32 s49, s40, s0
	s_addc_u32 s50, s41, s1
	s_ashr_i32 s51, s37, 2
	s_add_u32 s19, s4, 64
	s_mov_b32 s7, 0
	v_cmp_gt_u32_e64 s[0:1], s51, v0
	s_addc_u32 s20, s5, 0
	v_mov_b32_e32 v10, 0
	s_and_saveexec_b64 s[2:3], s[0:1]
	s_cbranch_execz .LBB1_50
; %bb.41:
	s_waitcnt lgkmcnt(0)
	s_cmp_lt_u32 s6, s18
	s_cselect_b32 s4, 12, 18
	s_add_u32 s4, s19, s4
	s_addc_u32 s5, s20, 0
	v_mov_b32_e32 v3, 0
	global_load_ushort v1, v3, s[4:5]
	s_mov_b64 s[4:5], 0
	v_mov_b32_e32 v8, s48
	v_mov_b32_e32 v9, s50
	v_mov_b32_e32 v2, v0
	v_mov_b32_e32 v10, v3
                                        ; implicit-def: $sgpr8_sgpr9
	s_waitcnt vmcnt(0)
	v_mul_lo_u32 v11, v1, 3
	v_lshlrev_b32_e32 v12, 1, v1
	s_branch .LBB1_45
.LBB1_42:                               ;   in Loop: Header=BB1_45 Depth=1
	s_or_b64 exec, exec, s[14:15]
	s_orn2_b64 s[14:15], s[16:17], exec
.LBB1_43:                               ;   in Loop: Header=BB1_45 Depth=1
	s_or_b64 exec, exec, s[12:13]
	s_andn2_b64 s[8:9], s[8:9], exec
	s_and_b64 s[12:13], s[14:15], exec
	s_or_b64 s[8:9], s[8:9], s[12:13]
.LBB1_44:                               ;   in Loop: Header=BB1_45 Depth=1
	s_or_b64 exec, exec, s[10:11]
	s_and_b64 s[10:11], exec, s[8:9]
	s_or_b64 s[4:5], s[10:11], s[4:5]
	s_andn2_b64 exec, exec, s[4:5]
	s_cbranch_execz .LBB1_49
.LBB1_45:                               ; =>This Inner Loop Header: Depth=1
	v_lshlrev_b64 v[4:5], 4, v[2:3]
	v_add_co_u32_e32 v6, vcc, s33, v4
	v_addc_co_u32_e32 v7, vcc, v8, v5, vcc
	v_add_co_u32_e32 v4, vcc, s49, v4
	v_addc_co_u32_e32 v5, vcc, v9, v5, vcc
	global_load_dwordx4 v[14:17], v[6:7], off
	global_load_dwordx4 v[18:21], v[4:5], off
	v_add_u32_e32 v4, v2, v1
	v_cmp_gt_u32_e32 vcc, s51, v4
	s_or_b64 s[8:9], s[8:9], exec
	s_waitcnt vmcnt(0)
	v_pk_add_f32 v[6:7], v[14:15], v[18:19]
	v_pk_mul_f32 v[6:7], v[6:7], v[6:7]
	v_pk_add_f32 v[14:15], v[16:17], v[20:21]
	v_add_f32_e32 v5, v10, v6
	v_pk_mul_f32 v[14:15], v[14:15], v[14:15]
	v_add_f32_e32 v5, v5, v7
	v_add_f32_e32 v5, v5, v14
	;; [unrolled: 1-line block ×3, first 2 shown]
	s_and_saveexec_b64 s[10:11], vcc
	s_cbranch_execz .LBB1_44
; %bb.46:                               ;   in Loop: Header=BB1_45 Depth=1
	v_mov_b32_e32 v5, v3
	v_lshlrev_b64 v[6:7], 4, v[4:5]
	v_add_co_u32_e32 v22, vcc, s33, v6
	v_addc_co_u32_e32 v23, vcc, v8, v7, vcc
	v_add_co_u32_e32 v6, vcc, s49, v6
	v_addc_co_u32_e32 v7, vcc, v9, v7, vcc
	global_load_dwordx4 v[14:17], v[22:23], off
	global_load_dwordx4 v[18:21], v[6:7], off
	v_add_u32_e32 v6, v12, v2
	v_cmp_gt_u32_e32 vcc, s51, v6
	s_mov_b64 s[14:15], -1
	s_waitcnt vmcnt(0)
	v_pk_add_f32 v[14:15], v[14:15], v[18:19]
	v_pk_mul_f32 v[14:15], v[14:15], v[14:15]
	v_pk_add_f32 v[16:17], v[16:17], v[20:21]
	v_add_f32_e32 v5, v10, v14
	v_pk_mul_f32 v[16:17], v[16:17], v[16:17]
	v_add_f32_e32 v5, v5, v15
	v_add_f32_e32 v5, v5, v16
	;; [unrolled: 1-line block ×3, first 2 shown]
	s_and_saveexec_b64 s[12:13], vcc
	s_cbranch_execz .LBB1_43
; %bb.47:                               ;   in Loop: Header=BB1_45 Depth=1
	v_mov_b32_e32 v7, v3
	v_lshlrev_b64 v[6:7], 4, v[6:7]
	v_add_co_u32_e32 v22, vcc, s33, v6
	v_addc_co_u32_e32 v23, vcc, v8, v7, vcc
	v_add_co_u32_e32 v6, vcc, s49, v6
	v_addc_co_u32_e32 v7, vcc, v9, v7, vcc
	global_load_dwordx4 v[14:17], v[22:23], off
	global_load_dwordx4 v[18:21], v[6:7], off
	v_add_u32_e32 v2, v11, v2
	v_cmp_gt_u32_e32 vcc, s51, v2
	s_mov_b64 s[16:17], -1
	s_waitcnt vmcnt(0)
	v_pk_add_f32 v[6:7], v[14:15], v[18:19]
	v_pk_mul_f32 v[6:7], v[6:7], v[6:7]
	v_pk_add_f32 v[14:15], v[16:17], v[20:21]
	v_add_f32_e32 v5, v10, v6
	v_pk_mul_f32 v[14:15], v[14:15], v[14:15]
	v_add_f32_e32 v5, v5, v7
	v_add_f32_e32 v5, v5, v14
	;; [unrolled: 1-line block ×3, first 2 shown]
	s_and_saveexec_b64 s[14:15], vcc
	s_xor_b64 s[14:15], exec, s[14:15]
	s_cbranch_execz .LBB1_42
; %bb.48:                               ;   in Loop: Header=BB1_45 Depth=1
	v_lshlrev_b64 v[6:7], 4, v[2:3]
	v_mov_b32_e32 v2, s48
	v_add_co_u32_e32 v22, vcc, s33, v6
	v_addc_co_u32_e32 v23, vcc, v2, v7, vcc
	v_mov_b32_e32 v2, s50
	v_add_co_u32_e32 v6, vcc, s49, v6
	v_addc_co_u32_e32 v7, vcc, v2, v7, vcc
	global_load_dwordx4 v[14:17], v[22:23], off
	global_load_dwordx4 v[18:21], v[6:7], off
	v_add_u32_e32 v2, v1, v1
	v_add_u32_e32 v2, v2, v1
	;; [unrolled: 1-line block ×3, first 2 shown]
	v_cmp_le_u32_e32 vcc, s51, v2
	s_orn2_b64 s[16:17], vcc, exec
	s_waitcnt vmcnt(0)
	v_pk_add_f32 v[4:5], v[14:15], v[18:19]
	v_pk_mul_f32 v[4:5], v[4:5], v[4:5]
	v_pk_add_f32 v[6:7], v[16:17], v[20:21]
	v_add_f32_e32 v4, v10, v4
	v_pk_mul_f32 v[6:7], v[6:7], v[6:7]
	v_add_f32_e32 v4, v4, v5
	v_add_f32_e32 v4, v4, v6
	;; [unrolled: 1-line block ×3, first 2 shown]
	s_branch .LBB1_42
.LBB1_49:
	s_or_b64 exec, exec, s[4:5]
.LBB1_50:
	s_or_b64 exec, exec, s[2:3]
	s_waitcnt lgkmcnt(0)
	s_cmp_lt_u32 s6, s18
	s_cselect_b32 s2, 12, 18
	s_add_u32 s2, s19, s2
	s_addc_u32 s3, s20, 0
	v_mov_b32_e32 v1, 0
	global_load_ushort v2, v1, s[2:3]
	v_mbcnt_lo_u32_b32 v1, -1, 0
	v_mbcnt_hi_u32_b32 v1, -1, v1
	v_and_b32_e32 v4, 63, v1
	v_cmp_ne_u32_e32 vcc, 63, v4
	v_addc_co_u32_e32 v8, vcc, 0, v1, vcc
	v_lshlrev_b32_e32 v8, 2, v8
	ds_bpermute_b32 v11, v8, v10
	v_and_b32_e32 v3, 0x3c0, v0
	v_cmp_gt_u32_e32 vcc, 62, v4
	v_add_u32_e32 v5, 1, v1
	v_cndmask_b32_e64 v9, 0, 1, vcc
	v_lshlrev_b32_e32 v9, 1, v9
	s_waitcnt lgkmcnt(0)
	v_add_f32_e32 v11, v10, v11
	v_add_lshl_u32 v9, v9, v1, 2
	v_cmp_gt_u32_e32 vcc, 60, v4
	v_add_u32_e32 v6, 2, v1
	v_add_u32_e32 v7, 4, v1
	;; [unrolled: 1-line block ×4, first 2 shown]
	v_cmp_eq_u32_e64 s[14:15], 0, v1
	s_waitcnt vmcnt(0)
	v_sub_u32_e64 v3, v2, v3 clamp
	v_cmp_lt_u32_e64 s[2:3], v5, v3
	v_cndmask_b32_e64 v5, v10, v11, s[2:3]
	ds_bpermute_b32 v11, v9, v5
	v_cndmask_b32_e64 v10, 0, 1, vcc
	v_lshlrev_b32_e32 v10, 2, v10
	v_cmp_lt_u32_e64 s[4:5], v6, v3
	v_add_lshl_u32 v10, v10, v1, 2
	s_waitcnt lgkmcnt(0)
	v_add_f32_e32 v11, v5, v11
	v_cndmask_b32_e64 v5, v5, v11, s[4:5]
	ds_bpermute_b32 v6, v10, v5
	v_cmp_gt_u32_e32 vcc, 56, v4
	v_cndmask_b32_e64 v11, 0, 1, vcc
	v_lshlrev_b32_e32 v11, 3, v11
	v_cmp_lt_u32_e64 s[8:9], v7, v3
	s_waitcnt lgkmcnt(0)
	v_add_f32_e32 v6, v5, v6
	v_add_lshl_u32 v11, v11, v1, 2
	v_cndmask_b32_e64 v5, v5, v6, s[8:9]
	ds_bpermute_b32 v6, v11, v5
	v_cmp_gt_u32_e32 vcc, 48, v4
	v_cndmask_b32_e64 v7, 0, 1, vcc
	v_lshlrev_b32_e32 v7, 4, v7
	v_cmp_lt_u32_e64 s[10:11], v13, v3
	s_waitcnt lgkmcnt(0)
	v_add_f32_e32 v6, v5, v6
	v_add_lshl_u32 v12, v7, v1, 2
	v_cndmask_b32_e64 v5, v5, v6, s[10:11]
	ds_bpermute_b32 v6, v12, v5
	v_cmp_gt_u32_e32 vcc, 32, v4
	v_cndmask_b32_e64 v4, 0, 1, vcc
	v_lshlrev_b32_e32 v4, 5, v4
	v_add_lshl_u32 v13, v4, v1, 2
	s_waitcnt lgkmcnt(0)
	v_add_f32_e32 v4, v5, v6
	v_cmp_lt_u32_e64 s[12:13], v14, v3
	v_cndmask_b32_e64 v4, v5, v4, s[12:13]
	ds_bpermute_b32 v5, v13, v4
	v_add_u32_e32 v6, 32, v1
	v_readfirstlane_b32 s52, v2
	v_cmp_lt_u32_e64 s[20:21], v6, v3
	s_waitcnt lgkmcnt(0)
	v_add_f32_e32 v2, v4, v5
	v_cndmask_b32_e64 v2, v4, v2, s[20:21]
	s_and_saveexec_b64 s[16:17], s[14:15]
	s_cbranch_execz .LBB1_52
; %bb.51:
	v_lshrrev_b32_e32 v3, 4, v0
	v_and_b32_e32 v3, 60, v3
	ds_write_b32 v3, v2
.LBB1_52:
	s_or_b64 exec, exec, s[16:17]
	v_cmp_gt_u32_e64 s[16:17], 16, v0
	s_waitcnt lgkmcnt(0)
	s_barrier
	s_and_saveexec_b64 s[28:29], s[16:17]
	s_cbranch_execz .LBB1_54
; %bb.53:
	v_lshlrev_b32_e32 v2, 2, v1
	ds_read_b32 v2, v2
	v_and_b32_e32 v3, 15, v1
	v_cmp_ne_u32_e32 vcc, 15, v3
	v_addc_co_u32_e32 v4, vcc, 0, v1, vcc
	v_lshlrev_b32_e32 v4, 2, v4
	s_waitcnt lgkmcnt(0)
	ds_bpermute_b32 v4, v4, v2
	s_add_i32 s18, s52, 63
	s_lshr_b32 s38, s18, 6
	v_add_u32_e32 v5, 1, v3
	v_cmp_gt_u32_e64 s[18:19], 14, v3
	v_cmp_gt_u32_e32 vcc, s38, v5
	v_cndmask_b32_e64 v5, 0, 1, s[18:19]
	s_waitcnt lgkmcnt(0)
	v_add_f32_e32 v4, v2, v4
	v_lshlrev_b32_e32 v5, 1, v5
	v_cndmask_b32_e32 v4, v2, v4, vcc
	v_add_lshl_u32 v5, v5, v1, 2
	ds_bpermute_b32 v5, v5, v4
	v_add_u32_e32 v6, 2, v3
	v_cmp_gt_u32_e64 s[18:19], s38, v6
	v_add_u32_e32 v6, 4, v3
	s_waitcnt lgkmcnt(0)
	v_add_f32_e32 v5, v4, v5
	v_cndmask_b32_e64 v4, v4, v5, s[18:19]
	v_cmp_gt_u32_e64 s[18:19], 12, v3
	v_cndmask_b32_e64 v5, 0, 1, s[18:19]
	v_lshlrev_b32_e32 v5, 2, v5
	v_add_lshl_u32 v5, v5, v1, 2
	ds_bpermute_b32 v5, v5, v4
	v_cmp_gt_u32_e64 s[18:19], s38, v6
	s_waitcnt lgkmcnt(0)
	v_add_f32_e32 v5, v4, v5
	v_cndmask_b32_e64 v4, v4, v5, s[18:19]
	v_cmp_gt_u32_e64 s[18:19], 8, v3
	v_cndmask_b32_e64 v5, 0, 1, s[18:19]
	v_lshlrev_b32_e32 v5, 3, v5
	v_add_lshl_u32 v5, v5, v1, 2
	ds_bpermute_b32 v5, v5, v4
	v_add_u32_e32 v3, 8, v3
	v_cmp_gt_u32_e64 s[18:19], s38, v3
	s_waitcnt lgkmcnt(0)
	v_add_f32_e32 v5, v4, v5
	v_cndmask_b32_e64 v3, v4, v5, s[18:19]
	v_cndmask_b32_e32 v2, v2, v3, vcc
.LBB1_54:
	s_or_b64 exec, exec, s[28:29]
	v_cmp_eq_u32_e64 s[18:19], 0, v0
	s_and_saveexec_b64 s[28:29], s[18:19]
	s_cbranch_execz .LBB1_56
; %bb.55:
	v_cvt_f32_i32_e32 v3, s37
	s_mov_b32 s37, 0x800000
	v_div_scale_f32 v4, s[38:39], v3, v3, v2
	v_rcp_f32_e32 v5, v4
	v_div_scale_f32 v6, vcc, v2, v3, v2
	v_fma_f32 v7, -v4, v5, 1.0
	v_fmac_f32_e32 v5, v7, v5
	v_mul_f32_e32 v7, v6, v5
	v_fma_f32 v14, -v4, v7, v6
	v_fmac_f32_e32 v7, v14, v5
	v_fma_f32 v4, -v4, v7, v6
	v_div_fmas_f32 v4, v4, v5, v7
	v_div_fixup_f32 v2, v4, v3, v2
	v_add_f32_e32 v2, s36, v2
	v_mul_f32_e32 v3, 0x4b800000, v2
	v_cmp_gt_f32_e32 vcc, s37, v2
	v_cndmask_b32_e32 v2, v2, v3, vcc
	v_rsq_f32_e32 v2, v2
	v_mul_f32_e32 v3, 0x45800000, v2
	v_cndmask_b32_e32 v2, v2, v3, vcc
	v_mov_b32_e32 v3, 0
	ds_write_b32 v3, v2 offset:256
.LBB1_56:
	s_or_b64 exec, exec, s[28:29]
	v_mov_b32_e32 v15, 0
	s_waitcnt lgkmcnt(0)
	s_barrier
	ds_read_b32 v14, v15 offset:256
	s_and_saveexec_b64 s[28:29], s[0:1]
	s_cbranch_execz .LBB1_66
; %bb.57:
	s_add_i32 s55, s52, s52
	s_mul_i32 s53, s52, 3
	s_lshl_b32 s54, s52, 1
	s_mov_b64 s[36:37], 0
	v_mov_b32_e32 v3, 0
	v_mov_b32_e32 v16, s48
	;; [unrolled: 1-line block ×4, first 2 shown]
	s_add_i32 s55, s55, s52
	v_mov_b32_e32 v15, 0
	v_mov_b32_e32 v2, v0
                                        ; implicit-def: $sgpr38_sgpr39
	s_branch .LBB1_61
.LBB1_58:                               ;   in Loop: Header=BB1_61 Depth=1
	s_or_b64 exec, exec, s[44:45]
	s_orn2_b64 s[44:45], s[46:47], exec
.LBB1_59:                               ;   in Loop: Header=BB1_61 Depth=1
	s_or_b64 exec, exec, s[42:43]
	s_andn2_b64 s[38:39], s[38:39], exec
	s_and_b64 s[42:43], s[44:45], exec
	s_or_b64 s[38:39], s[38:39], s[42:43]
.LBB1_60:                               ;   in Loop: Header=BB1_61 Depth=1
	s_or_b64 exec, exec, s[40:41]
	s_and_b64 s[40:41], exec, s[38:39]
	s_or_b64 s[36:37], s[40:41], s[36:37]
	s_andn2_b64 exec, exec, s[36:37]
	s_cbranch_execz .LBB1_65
.LBB1_61:                               ; =>This Inner Loop Header: Depth=1
	v_lshlrev_b64 v[4:5], 4, v[2:3]
	v_add_co_u32_e32 v6, vcc, s33, v4
	v_addc_co_u32_e32 v7, vcc, v16, v5, vcc
	global_load_dwordx4 v[20:23], v[6:7], off
	v_add_co_u32_e32 v6, vcc, s49, v4
	v_addc_co_u32_e32 v7, vcc, v18, v5, vcc
	global_load_dwordx4 v[24:27], v[6:7], off
	v_add_co_u32_e32 v4, vcc, s30, v4
	v_addc_co_u32_e32 v5, vcc, v17, v5, vcc
	global_load_dwordx4 v[28:31], v[4:5], off
	v_add_u32_e32 v4, s52, v2
	v_cmp_gt_u32_e32 vcc, s51, v4
	s_or_b64 s[38:39], s[38:39], exec
	s_waitcnt vmcnt(1)
	v_add_f32_e32 v5, v20, v24
	v_add_f32_e32 v6, v21, v25
	;; [unrolled: 1-line block ×4, first 2 shown]
	s_waitcnt lgkmcnt(0)
	v_mul_f32_e32 v5, v14, v5
	v_mul_f32_e32 v6, v14, v6
	;; [unrolled: 1-line block ×4, first 2 shown]
	s_waitcnt vmcnt(0)
	v_mul_f32_e32 v5, v28, v5
	v_mul_f32_e32 v6, v29, v6
	;; [unrolled: 1-line block ×4, first 2 shown]
	v_max3_f32 v5, v15, |v5|, |v6|
	v_max3_f32 v15, v5, |v7|, |v19|
	s_and_saveexec_b64 s[40:41], vcc
	s_cbranch_execz .LBB1_60
; %bb.62:                               ;   in Loop: Header=BB1_61 Depth=1
	v_mov_b32_e32 v5, v3
	v_lshlrev_b64 v[6:7], 4, v[4:5]
	v_add_co_u32_e32 v20, vcc, s33, v6
	v_addc_co_u32_e32 v21, vcc, v16, v7, vcc
	v_add_co_u32_e32 v24, vcc, s49, v6
	v_addc_co_u32_e32 v25, vcc, v18, v7, vcc
	global_load_dwordx4 v[20:23], v[20:21], off
	v_add_co_u32_e32 v6, vcc, s30, v6
	global_load_dwordx4 v[24:27], v[24:25], off
	v_addc_co_u32_e32 v7, vcc, v17, v7, vcc
	global_load_dwordx4 v[28:31], v[6:7], off
	v_add_u32_e32 v6, s54, v2
	v_cmp_gt_u32_e32 vcc, s51, v6
	s_mov_b64 s[44:45], -1
	s_waitcnt vmcnt(1)
	v_add_f32_e32 v5, v20, v24
	v_add_f32_e32 v7, v21, v25
	;; [unrolled: 1-line block ×4, first 2 shown]
	v_mul_f32_e32 v5, v14, v5
	v_mul_f32_e32 v7, v14, v7
	;; [unrolled: 1-line block ×4, first 2 shown]
	s_waitcnt vmcnt(0)
	v_mul_f32_e32 v5, v28, v5
	v_mul_f32_e32 v7, v29, v7
	;; [unrolled: 1-line block ×4, first 2 shown]
	v_max3_f32 v5, v15, |v5|, |v7|
	v_max3_f32 v15, v5, |v19|, |v20|
	s_and_saveexec_b64 s[42:43], vcc
	s_cbranch_execz .LBB1_59
; %bb.63:                               ;   in Loop: Header=BB1_61 Depth=1
	v_mov_b32_e32 v7, v3
	v_lshlrev_b64 v[6:7], 4, v[6:7]
	v_add_co_u32_e32 v20, vcc, s33, v6
	v_addc_co_u32_e32 v21, vcc, v16, v7, vcc
	v_add_co_u32_e32 v24, vcc, s49, v6
	v_addc_co_u32_e32 v25, vcc, v18, v7, vcc
	global_load_dwordx4 v[20:23], v[20:21], off
	v_add_co_u32_e32 v6, vcc, s30, v6
	global_load_dwordx4 v[24:27], v[24:25], off
	v_addc_co_u32_e32 v7, vcc, v17, v7, vcc
	global_load_dwordx4 v[28:31], v[6:7], off
	v_add_u32_e32 v2, s53, v2
	v_cmp_gt_u32_e32 vcc, s51, v2
	s_mov_b64 s[46:47], -1
	s_waitcnt vmcnt(1)
	v_add_f32_e32 v5, v20, v24
	v_add_f32_e32 v6, v21, v25
	;; [unrolled: 1-line block ×4, first 2 shown]
	v_mul_f32_e32 v5, v14, v5
	v_mul_f32_e32 v6, v14, v6
	;; [unrolled: 1-line block ×4, first 2 shown]
	s_waitcnt vmcnt(0)
	v_mul_f32_e32 v5, v28, v5
	v_mul_f32_e32 v6, v29, v6
	;; [unrolled: 1-line block ×4, first 2 shown]
	v_max3_f32 v5, v15, |v5|, |v6|
	v_max3_f32 v15, v5, |v7|, |v19|
	s_and_saveexec_b64 s[44:45], vcc
	s_xor_b64 s[44:45], exec, s[44:45]
	s_cbranch_execz .LBB1_58
; %bb.64:                               ;   in Loop: Header=BB1_61 Depth=1
	v_lshlrev_b64 v[6:7], 4, v[2:3]
	v_mov_b32_e32 v2, s48
	v_add_co_u32_e32 v20, vcc, s33, v6
	v_addc_co_u32_e32 v21, vcc, v2, v7, vcc
	v_mov_b32_e32 v2, s50
	v_add_co_u32_e32 v24, vcc, s49, v6
	v_addc_co_u32_e32 v25, vcc, v2, v7, vcc
	global_load_dwordx4 v[20:23], v[20:21], off
	v_mov_b32_e32 v2, s31
	global_load_dwordx4 v[24:27], v[24:25], off
	v_add_co_u32_e32 v6, vcc, s30, v6
	v_addc_co_u32_e32 v7, vcc, v2, v7, vcc
	global_load_dwordx4 v[28:31], v[6:7], off
	v_add_u32_e32 v2, s55, v4
	v_cmp_le_u32_e32 vcc, s51, v2
	s_orn2_b64 s[46:47], vcc, exec
	s_waitcnt vmcnt(1)
	v_add_f32_e32 v4, v20, v24
	v_add_f32_e32 v5, v21, v25
	v_add_f32_e32 v6, v22, v26
	v_add_f32_e32 v7, v23, v27
	v_mul_f32_e32 v4, v14, v4
	v_mul_f32_e32 v5, v14, v5
	;; [unrolled: 1-line block ×4, first 2 shown]
	s_waitcnt vmcnt(0)
	v_mul_f32_e32 v4, v28, v4
	v_mul_f32_e32 v5, v29, v5
	;; [unrolled: 1-line block ×4, first 2 shown]
	v_max3_f32 v4, v15, |v4|, |v5|
	v_max3_f32 v15, v4, |v6|, |v7|
	s_branch .LBB1_58
.LBB1_65:
	s_or_b64 exec, exec, s[36:37]
.LBB1_66:
	s_or_b64 exec, exec, s[28:29]
	ds_bpermute_b32 v2, v8, v15
	s_waitcnt lgkmcnt(0)
	v_cmp_lt_f32_e32 vcc, v15, v2
	v_cndmask_b32_e32 v2, v15, v2, vcc
	v_cndmask_b32_e64 v2, v15, v2, s[2:3]
	ds_bpermute_b32 v3, v9, v2
	s_or_b64 s[2:3], s[2:3], s[4:5]
	s_or_b64 s[2:3], s[8:9], s[2:3]
	;; [unrolled: 1-line block ×4, first 2 shown]
	s_waitcnt lgkmcnt(0)
	v_cmp_lt_f32_e32 vcc, v2, v3
	v_cndmask_b32_e32 v3, v2, v3, vcc
	v_cndmask_b32_e64 v2, v2, v3, s[4:5]
	ds_bpermute_b32 v3, v10, v2
	s_waitcnt lgkmcnt(0)
	v_cmp_lt_f32_e32 vcc, v2, v3
	v_cndmask_b32_e32 v3, v2, v3, vcc
	v_cndmask_b32_e64 v2, v2, v3, s[8:9]
	ds_bpermute_b32 v3, v11, v2
	;; [unrolled: 5-line block ×4, first 2 shown]
	s_waitcnt lgkmcnt(0)
	v_cmp_lt_f32_e32 vcc, v2, v3
	s_and_b64 vcc, s[20:21], vcc
	v_cndmask_b32_e32 v2, v2, v3, vcc
	s_or_b64 vcc, s[20:21], s[2:3]
	v_cndmask_b32_e32 v2, v15, v2, vcc
	s_and_saveexec_b64 s[2:3], s[14:15]
	s_cbranch_execz .LBB1_68
; %bb.67:
	v_lshrrev_b32_e32 v3, 4, v0
	v_and_b32_e32 v3, 60, v3
	ds_write_b32 v3, v2 offset:64
.LBB1_68:
	s_or_b64 exec, exec, s[2:3]
	s_waitcnt lgkmcnt(0)
	s_barrier
	s_and_saveexec_b64 s[8:9], s[16:17]
	s_cbranch_execz .LBB1_70
; %bb.69:
	v_lshlrev_b32_e32 v2, 2, v1
	ds_read_b32 v2, v2 offset:64
	v_and_b32_e32 v3, 15, v1
	v_cmp_ne_u32_e32 vcc, 15, v3
	v_addc_co_u32_e32 v4, vcc, 0, v1, vcc
	v_lshlrev_b32_e32 v4, 2, v4
	s_waitcnt lgkmcnt(0)
	ds_bpermute_b32 v4, v4, v2
	s_add_i32 s2, s52, 63
	s_lshr_b32 s4, s2, 6
	v_add_u32_e32 v5, 1, v3
	v_cmp_gt_u32_e64 s[2:3], 14, v3
	s_waitcnt lgkmcnt(0)
	v_cmp_lt_f32_e32 vcc, v2, v4
	v_cndmask_b32_e32 v4, v2, v4, vcc
	v_cmp_gt_u32_e32 vcc, s4, v5
	v_cndmask_b32_e64 v5, 0, 1, s[2:3]
	v_lshlrev_b32_e32 v5, 1, v5
	v_cndmask_b32_e32 v4, v2, v4, vcc
	v_add_lshl_u32 v5, v5, v1, 2
	ds_bpermute_b32 v5, v5, v4
	v_add_u32_e32 v6, 2, v3
	s_waitcnt lgkmcnt(0)
	v_cmp_lt_f32_e64 s[2:3], v4, v5
	v_cndmask_b32_e64 v5, v4, v5, s[2:3]
	v_cmp_gt_u32_e64 s[2:3], s4, v6
	v_cndmask_b32_e64 v4, v4, v5, s[2:3]
	v_cmp_gt_u32_e64 s[2:3], 12, v3
	v_cndmask_b32_e64 v5, 0, 1, s[2:3]
	v_lshlrev_b32_e32 v5, 2, v5
	v_add_lshl_u32 v5, v5, v1, 2
	ds_bpermute_b32 v5, v5, v4
	v_add_u32_e32 v6, 4, v3
	s_waitcnt lgkmcnt(0)
	v_cmp_lt_f32_e64 s[2:3], v4, v5
	v_cndmask_b32_e64 v5, v4, v5, s[2:3]
	v_cmp_gt_u32_e64 s[2:3], s4, v6
	v_cndmask_b32_e64 v4, v4, v5, s[2:3]
	v_cmp_gt_u32_e64 s[2:3], 8, v3
	v_cndmask_b32_e64 v5, 0, 1, s[2:3]
	v_lshlrev_b32_e32 v5, 3, v5
	v_add_lshl_u32 v1, v5, v1, 2
	ds_bpermute_b32 v1, v1, v4
	v_add_u32_e32 v3, 8, v3
	v_cmp_gt_u32_e64 s[2:3], s4, v3
	s_waitcnt lgkmcnt(0)
	v_cmp_lt_f32_e64 s[4:5], v4, v1
	s_and_b64 s[2:3], s[2:3], s[4:5]
	v_cndmask_b32_e64 v1, v4, v1, s[2:3]
	v_cndmask_b32_e32 v2, v2, v1, vcc
.LBB1_70:
	s_or_b64 exec, exec, s[8:9]
	s_and_saveexec_b64 s[2:3], s[18:19]
	s_cbranch_execz .LBB1_74
; %bb.71:
	s_cmp_eq_u64 s[22:23], 0
	s_cbranch_scc1 .LBB1_73
; %bb.72:
	s_load_dword s4, s[22:23], 0x0
	v_max_f32_e32 v1, v2, v2
	s_waitcnt lgkmcnt(0)
	v_max_f32_e64 v2, s4, s4
	v_min_f32_e32 v2, v1, v2
.LBB1_73:
	s_mov_b32 s8, 0x43600000
	v_div_scale_f32 v1, s[4:5], s8, s8, v2
	v_rcp_f32_e32 v3, v1
	v_div_scale_f32 v4, vcc, v2, s8, v2
	s_lshl_b64 s[4:5], s[6:7], 2
	v_fma_f32 v5, -v1, v3, 1.0
	v_fmac_f32_e32 v3, v5, v3
	v_mul_f32_e32 v5, v4, v3
	v_fma_f32 v6, -v1, v5, v4
	v_fmac_f32_e32 v5, v6, v3
	v_fma_f32 v1, -v1, v5, v4
	v_div_fmas_f32 v1, v1, v3, v5
	v_div_fixup_f32 v1, v1, s8, v2
	s_add_u32 s4, s26, s4
	v_max_f32_e32 v1, 0x37124925, v1
	v_mov_b32_e32 v2, 0
	s_addc_u32 s5, s27, s5
	ds_write_b32 v2, v1 offset:260
	global_store_dword v2, v1, s[4:5]
.LBB1_74:
	s_or_b64 exec, exec, s[2:3]
	s_waitcnt lgkmcnt(0)
	s_barrier
	s_and_saveexec_b64 s[2:3], s[0:1]
	s_cbranch_execz .LBB1_211
; %bb.75:
	v_mov_b32_e32 v1, 0
	ds_read_b32 v15, v1 offset:260
	s_add_u32 s14, s24, s34
	s_addc_u32 s15, s25, s35
	s_mul_i32 s16, s52, 3
	s_lshl_b32 s17, s52, 1
	s_mov_b64 s[0:1], 0
	v_mov_b32_e32 v16, s48
	v_mov_b32_e32 v17, s31
	;; [unrolled: 1-line block ×3, first 2 shown]
	s_mov_b32 s18, 0x43800000
	s_mov_b32 s19, 0x3bffffff
	;; [unrolled: 1-line block ×4, first 2 shown]
	s_movk_i32 s22, 0x80
	s_mov_b32 s23, 0x4020c0c
	s_branch .LBB1_81
.LBB1_76:                               ;   in Loop: Header=BB1_81 Depth=1
	s_or_b64 exec, exec, s[12:13]
.LBB1_77:                               ;   in Loop: Header=BB1_81 Depth=1
	s_or_b64 exec, exec, s[8:9]
	v_lshlrev_b64 v[6:7], 2, v[0:1]
	v_mov_b32_e32 v0, s15
	v_add_co_u32_e32 v6, vcc, s14, v6
	v_addc_co_u32_e32 v7, vcc, v0, v7, vcc
	v_lshlrev_b32_e32 v0, 16, v4
	v_perm_b32 v0, v3, v0, s23
	v_lshlrev_b32_e32 v3, 8, v11
	v_and_b32_e32 v3, 0xff00, v3
	v_and_b32_e32 v2, 0xff, v2
	s_add_i32 s8, s52, s52
	v_or3_b32 v0, v0, v3, v2
	s_add_i32 s8, s8, s52
	global_store_dword v[6:7], v0, off
	v_add_u32_e32 v0, s8, v10
	v_cmp_le_u32_e32 vcc, s51, v0
	s_orn2_b64 s[8:9], vcc, exec
.LBB1_78:                               ;   in Loop: Header=BB1_81 Depth=1
	s_or_b64 exec, exec, s[6:7]
	s_orn2_b64 s[6:7], s[8:9], exec
.LBB1_79:                               ;   in Loop: Header=BB1_81 Depth=1
	s_or_b64 exec, exec, s[4:5]
	s_orn2_b64 s[4:5], s[6:7], exec
.LBB1_80:                               ;   in Loop: Header=BB1_81 Depth=1
	s_or_b64 exec, exec, s[2:3]
	s_and_b64 s[2:3], exec, s[4:5]
	s_or_b64 s[0:1], s[2:3], s[0:1]
	s_andn2_b64 exec, exec, s[0:1]
	s_cbranch_execz .LBB1_211
.LBB1_81:                               ; =>This Inner Loop Header: Depth=1
	v_lshlrev_b64 v[2:3], 4, v[0:1]
	v_add_co_u32_e32 v4, vcc, s33, v2
	v_addc_co_u32_e32 v5, vcc, v16, v3, vcc
	v_add_co_u32_e32 v12, vcc, s49, v2
	v_addc_co_u32_e32 v13, vcc, v18, v3, vcc
	global_load_dwordx4 v[6:9], v[4:5], off
	global_load_dwordx4 v[20:23], v[12:13], off
	v_add_co_u32_e32 v2, vcc, s30, v2
	v_addc_co_u32_e32 v3, vcc, v17, v3, vcc
	global_load_dwordx4 v[2:5], v[2:3], off
	v_mov_b32_e32 v10, 0x80
	s_waitcnt vmcnt(1)
	v_pk_add_f32 v[6:7], v[6:7], v[20:21]
	v_mul_f32_e32 v11, v14, v6
	v_pk_add_f32 v[8:9], v[8:9], v[22:23]
	global_store_dwordx4 v[12:13], v[6:9], off
	s_waitcnt vmcnt(1)
	v_mul_f32_e32 v2, v2, v11
	s_waitcnt lgkmcnt(0)
	v_div_scale_f32 v11, s[2:3], v15, v15, v2
	v_rcp_f32_e32 v19, v11
	v_div_scale_f32 v6, vcc, v2, v15, v2
	v_fma_f32 v12, -v11, v19, 1.0
	v_fmac_f32_e32 v19, v12, v19
	v_mul_f32_e32 v12, v6, v19
	v_fma_f32 v13, -v11, v12, v6
	v_fmac_f32_e32 v12, v13, v19
	v_fma_f32 v6, -v11, v12, v6
	v_div_fmas_f32 v6, v6, v19, v12
	v_div_fixup_f32 v2, v6, v15, v2
	v_min_f32_e32 v2, 0x43600000, v2
	v_max_f32_e32 v6, 0xc3600000, v2
	v_and_b32_e32 v11, 0x7fffffff, v6
	v_cmp_gt_u32_e32 vcc, s18, v11
	v_mov_b32_e32 v2, 0x80
	s_and_saveexec_b64 s[2:3], vcc
	s_cbranch_execz .LBB1_87
; %bb.82:                               ;   in Loop: Header=BB1_81 Depth=1
	v_cmp_lt_u32_e32 vcc, s19, v11
	s_mov_b64 s[4:5], 0
                                        ; implicit-def: $vgpr11
	s_and_saveexec_b64 s[6:7], vcc
	s_xor_b64 s[6:7], exec, s[6:7]
	s_cbranch_execnz .LBB1_178
; %bb.83:                               ;   in Loop: Header=BB1_81 Depth=1
	s_or_saveexec_b64 s[6:7], s[6:7]
                                        ; implicit-def: $sgpr8
	s_xor_b64 exec, exec, s[6:7]
	s_cbranch_execnz .LBB1_179
.LBB1_84:                               ;   in Loop: Header=BB1_81 Depth=1
	s_or_b64 exec, exec, s[6:7]
	v_mov_b32_e32 v2, s8
	s_and_saveexec_b64 s[6:7], s[4:5]
.LBB1_85:                               ;   in Loop: Header=BB1_81 Depth=1
	v_lshrrev_b32_e32 v2, 24, v6
	v_and_or_b32 v2, v2, s22, v11
.LBB1_86:                               ;   in Loop: Header=BB1_81 Depth=1
	s_or_b64 exec, exec, s[6:7]
.LBB1_87:                               ;   in Loop: Header=BB1_81 Depth=1
	s_or_b64 exec, exec, s[2:3]
	v_mul_f32_e32 v6, v14, v7
	v_mul_f32_e32 v3, v3, v6
	v_div_scale_f32 v6, s[2:3], v15, v15, v3
	v_rcp_f32_e32 v7, v6
	v_div_scale_f32 v11, vcc, v3, v15, v3
	v_fma_f32 v12, -v6, v7, 1.0
	v_fmac_f32_e32 v7, v12, v7
	v_mul_f32_e32 v12, v11, v7
	v_fma_f32 v13, -v6, v12, v11
	v_fmac_f32_e32 v12, v13, v7
	v_fma_f32 v6, -v6, v12, v11
	v_div_fmas_f32 v6, v6, v7, v12
	v_div_fixup_f32 v3, v6, v15, v3
	v_min_f32_e32 v3, 0x43600000, v3
	v_max_f32_e32 v3, 0xc3600000, v3
	v_and_b32_e32 v6, 0x7fffffff, v3
	v_cmp_gt_u32_e32 vcc, s18, v6
	s_and_saveexec_b64 s[2:3], vcc
	s_cbranch_execz .LBB1_93
; %bb.88:                               ;   in Loop: Header=BB1_81 Depth=1
	v_cmp_lt_u32_e32 vcc, s19, v6
	s_mov_b64 s[4:5], 0
                                        ; implicit-def: $vgpr6
	s_and_saveexec_b64 s[6:7], vcc
	s_xor_b64 s[6:7], exec, s[6:7]
	s_cbranch_execnz .LBB1_180
; %bb.89:                               ;   in Loop: Header=BB1_81 Depth=1
	s_or_saveexec_b64 s[6:7], s[6:7]
                                        ; implicit-def: $sgpr8
	s_xor_b64 exec, exec, s[6:7]
	s_cbranch_execnz .LBB1_181
.LBB1_90:                               ;   in Loop: Header=BB1_81 Depth=1
	s_or_b64 exec, exec, s[6:7]
	v_mov_b32_e32 v10, s8
	s_and_saveexec_b64 s[6:7], s[4:5]
.LBB1_91:                               ;   in Loop: Header=BB1_81 Depth=1
	v_lshrrev_b32_e32 v3, 24, v3
	v_and_or_b32 v10, v3, s22, v6
.LBB1_92:                               ;   in Loop: Header=BB1_81 Depth=1
	s_or_b64 exec, exec, s[6:7]
.LBB1_93:                               ;   in Loop: Header=BB1_81 Depth=1
	s_or_b64 exec, exec, s[2:3]
	v_mul_f32_e32 v3, v14, v8
	v_mul_f32_e32 v3, v4, v3
	v_div_scale_f32 v4, s[2:3], v15, v15, v3
	v_rcp_f32_e32 v6, v4
	v_div_scale_f32 v7, vcc, v3, v15, v3
	v_fma_f32 v8, -v4, v6, 1.0
	v_fmac_f32_e32 v6, v8, v6
	v_mul_f32_e32 v8, v7, v6
	v_fma_f32 v11, -v4, v8, v7
	v_fmac_f32_e32 v8, v11, v6
	v_fma_f32 v4, -v4, v8, v7
	v_div_fmas_f32 v4, v4, v6, v8
	v_div_fixup_f32 v3, v4, v15, v3
	v_min_f32_e32 v3, 0x43600000, v3
	v_max_f32_e32 v6, 0xc3600000, v3
	v_and_b32_e32 v7, 0x7fffffff, v6
	v_cmp_gt_u32_e32 vcc, s18, v7
	v_mov_b32_e32 v3, 0x80
	v_mov_b32_e32 v4, 0x80
	s_and_saveexec_b64 s[2:3], vcc
	s_cbranch_execz .LBB1_99
; %bb.94:                               ;   in Loop: Header=BB1_81 Depth=1
	v_cmp_lt_u32_e32 vcc, s19, v7
	s_mov_b64 s[4:5], 0
                                        ; implicit-def: $vgpr7
	s_and_saveexec_b64 s[6:7], vcc
	s_xor_b64 s[6:7], exec, s[6:7]
	s_cbranch_execnz .LBB1_182
; %bb.95:                               ;   in Loop: Header=BB1_81 Depth=1
	s_or_saveexec_b64 s[6:7], s[6:7]
                                        ; implicit-def: $sgpr8
	s_xor_b64 exec, exec, s[6:7]
	s_cbranch_execnz .LBB1_183
.LBB1_96:                               ;   in Loop: Header=BB1_81 Depth=1
	s_or_b64 exec, exec, s[6:7]
	v_mov_b32_e32 v4, s8
	s_and_saveexec_b64 s[6:7], s[4:5]
.LBB1_97:                               ;   in Loop: Header=BB1_81 Depth=1
	v_lshrrev_b32_e32 v4, 24, v6
	v_and_or_b32 v4, v4, s22, v7
.LBB1_98:                               ;   in Loop: Header=BB1_81 Depth=1
	s_or_b64 exec, exec, s[6:7]
.LBB1_99:                               ;   in Loop: Header=BB1_81 Depth=1
	s_or_b64 exec, exec, s[2:3]
	v_mul_f32_e32 v6, v14, v9
	v_mul_f32_e32 v5, v5, v6
	v_div_scale_f32 v6, s[2:3], v15, v15, v5
	v_rcp_f32_e32 v7, v6
	v_div_scale_f32 v8, vcc, v5, v15, v5
	v_fma_f32 v9, -v6, v7, 1.0
	v_fmac_f32_e32 v7, v9, v7
	v_mul_f32_e32 v9, v8, v7
	v_fma_f32 v11, -v6, v9, v8
	v_fmac_f32_e32 v9, v11, v7
	v_fma_f32 v6, -v6, v9, v8
	v_div_fmas_f32 v6, v6, v7, v9
	v_div_fixup_f32 v5, v6, v15, v5
	v_min_f32_e32 v5, 0x43600000, v5
	v_max_f32_e32 v5, 0xc3600000, v5
	v_and_b32_e32 v6, 0x7fffffff, v5
	v_cmp_gt_u32_e32 vcc, s18, v6
	s_and_saveexec_b64 s[2:3], vcc
	s_cbranch_execz .LBB1_105
; %bb.100:                              ;   in Loop: Header=BB1_81 Depth=1
	v_cmp_lt_u32_e32 vcc, s19, v6
	s_mov_b64 s[4:5], 0
                                        ; implicit-def: $vgpr6
	s_and_saveexec_b64 s[6:7], vcc
	s_xor_b64 s[6:7], exec, s[6:7]
	s_cbranch_execnz .LBB1_184
; %bb.101:                              ;   in Loop: Header=BB1_81 Depth=1
	s_or_saveexec_b64 s[6:7], s[6:7]
                                        ; implicit-def: $sgpr8
	s_xor_b64 exec, exec, s[6:7]
	s_cbranch_execnz .LBB1_185
.LBB1_102:                              ;   in Loop: Header=BB1_81 Depth=1
	s_or_b64 exec, exec, s[6:7]
	v_mov_b32_e32 v3, s8
	s_and_saveexec_b64 s[6:7], s[4:5]
.LBB1_103:                              ;   in Loop: Header=BB1_81 Depth=1
	v_lshrrev_b32_e32 v3, 24, v5
	v_and_or_b32 v3, v3, s22, v6
.LBB1_104:                              ;   in Loop: Header=BB1_81 Depth=1
	s_or_b64 exec, exec, s[6:7]
.LBB1_105:                              ;   in Loop: Header=BB1_81 Depth=1
	s_or_b64 exec, exec, s[2:3]
	v_lshlrev_b64 v[6:7], 2, v[0:1]
	v_lshlrev_b32_e32 v4, 16, v4
	v_mov_b32_e32 v5, s15
	v_add_co_u32_e32 v6, vcc, s14, v6
	v_perm_b32 v3, v3, v4, s23
	v_lshlrev_b32_e32 v4, 8, v10
	v_addc_co_u32_e32 v7, vcc, v5, v7, vcc
	v_and_b32_e32 v4, 0xff00, v4
	v_and_b32_e32 v2, 0xff, v2
	v_add_u32_e32 v10, s52, v0
	v_or3_b32 v2, v3, v4, v2
	v_cmp_gt_u32_e32 vcc, s51, v10
	s_mov_b64 s[4:5], -1
	global_store_dword v[6:7], v2, off
	s_and_saveexec_b64 s[2:3], vcc
	s_cbranch_execz .LBB1_80
; %bb.106:                              ;   in Loop: Header=BB1_81 Depth=1
	v_mov_b32_e32 v11, v1
	v_lshlrev_b64 v[2:3], 4, v[10:11]
	v_mov_b32_e32 v5, s48
	v_add_co_u32_e32 v4, vcc, s33, v2
	v_addc_co_u32_e32 v5, vcc, v5, v3, vcc
	v_mov_b32_e32 v6, s50
	v_add_co_u32_e32 v24, vcc, s49, v2
	v_addc_co_u32_e32 v25, vcc, v6, v3, vcc
	v_mov_b32_e32 v12, s31
	global_load_dwordx4 v[6:9], v[4:5], off
	global_load_dwordx4 v[20:23], v[24:25], off
	v_add_co_u32_e32 v2, vcc, s30, v2
	v_addc_co_u32_e32 v3, vcc, v12, v3, vcc
	global_load_dwordx4 v[2:5], v[2:3], off
	v_mov_b32_e32 v12, 0x80
	s_waitcnt vmcnt(1)
	v_pk_add_f32 v[6:7], v[6:7], v[20:21]
	v_mul_f32_e32 v13, v14, v6
	v_pk_add_f32 v[8:9], v[8:9], v[22:23]
	global_store_dwordx4 v[24:25], v[6:9], off
	s_waitcnt vmcnt(1)
	v_mul_f32_e32 v2, v2, v13
	v_div_scale_f32 v13, s[4:5], v15, v15, v2
	v_rcp_f32_e32 v19, v13
	v_div_scale_f32 v6, vcc, v2, v15, v2
	v_fma_f32 v20, -v13, v19, 1.0
	v_fmac_f32_e32 v19, v20, v19
	v_mul_f32_e32 v20, v6, v19
	v_fma_f32 v21, -v13, v20, v6
	v_fmac_f32_e32 v20, v21, v19
	v_fma_f32 v6, -v13, v20, v6
	v_div_fmas_f32 v6, v6, v19, v20
	v_div_fixup_f32 v2, v6, v15, v2
	v_min_f32_e32 v2, 0x43600000, v2
	v_max_f32_e32 v6, 0xc3600000, v2
	v_and_b32_e32 v13, 0x7fffffff, v6
	v_cmp_gt_u32_e32 vcc, s18, v13
	v_mov_b32_e32 v2, 0x80
	s_and_saveexec_b64 s[4:5], vcc
	s_cbranch_execz .LBB1_112
; %bb.107:                              ;   in Loop: Header=BB1_81 Depth=1
	v_cmp_lt_u32_e32 vcc, s19, v13
	s_mov_b64 s[6:7], 0
                                        ; implicit-def: $vgpr13
	s_and_saveexec_b64 s[8:9], vcc
	s_xor_b64 s[8:9], exec, s[8:9]
	s_cbranch_execnz .LBB1_186
; %bb.108:                              ;   in Loop: Header=BB1_81 Depth=1
	s_or_saveexec_b64 s[8:9], s[8:9]
                                        ; implicit-def: $sgpr10
	s_xor_b64 exec, exec, s[8:9]
	s_cbranch_execnz .LBB1_187
.LBB1_109:                              ;   in Loop: Header=BB1_81 Depth=1
	s_or_b64 exec, exec, s[8:9]
	v_mov_b32_e32 v2, s10
	s_and_saveexec_b64 s[8:9], s[6:7]
.LBB1_110:                              ;   in Loop: Header=BB1_81 Depth=1
	v_lshrrev_b32_e32 v2, 24, v6
	v_and_or_b32 v2, v2, s22, v13
.LBB1_111:                              ;   in Loop: Header=BB1_81 Depth=1
	s_or_b64 exec, exec, s[8:9]
.LBB1_112:                              ;   in Loop: Header=BB1_81 Depth=1
	s_or_b64 exec, exec, s[4:5]
	v_mul_f32_e32 v6, v14, v7
	v_mul_f32_e32 v3, v3, v6
	v_div_scale_f32 v6, s[4:5], v15, v15, v3
	v_rcp_f32_e32 v7, v6
	v_div_scale_f32 v13, vcc, v3, v15, v3
	v_fma_f32 v19, -v6, v7, 1.0
	v_fmac_f32_e32 v7, v19, v7
	v_mul_f32_e32 v19, v13, v7
	v_fma_f32 v20, -v6, v19, v13
	v_fmac_f32_e32 v19, v20, v7
	v_fma_f32 v6, -v6, v19, v13
	v_div_fmas_f32 v6, v6, v7, v19
	v_div_fixup_f32 v3, v6, v15, v3
	v_min_f32_e32 v3, 0x43600000, v3
	v_max_f32_e32 v3, 0xc3600000, v3
	v_and_b32_e32 v6, 0x7fffffff, v3
	v_cmp_gt_u32_e32 vcc, s18, v6
	s_and_saveexec_b64 s[4:5], vcc
	s_cbranch_execz .LBB1_118
; %bb.113:                              ;   in Loop: Header=BB1_81 Depth=1
	v_cmp_lt_u32_e32 vcc, s19, v6
	s_mov_b64 s[6:7], 0
                                        ; implicit-def: $vgpr6
	s_and_saveexec_b64 s[8:9], vcc
	s_xor_b64 s[8:9], exec, s[8:9]
	s_cbranch_execnz .LBB1_188
; %bb.114:                              ;   in Loop: Header=BB1_81 Depth=1
	s_or_saveexec_b64 s[8:9], s[8:9]
                                        ; implicit-def: $sgpr10
	s_xor_b64 exec, exec, s[8:9]
	s_cbranch_execnz .LBB1_189
.LBB1_115:                              ;   in Loop: Header=BB1_81 Depth=1
	s_or_b64 exec, exec, s[8:9]
	v_mov_b32_e32 v12, s10
	s_and_saveexec_b64 s[8:9], s[6:7]
.LBB1_116:                              ;   in Loop: Header=BB1_81 Depth=1
	v_lshrrev_b32_e32 v3, 24, v3
	v_and_or_b32 v12, v3, s22, v6
.LBB1_117:                              ;   in Loop: Header=BB1_81 Depth=1
	s_or_b64 exec, exec, s[8:9]
.LBB1_118:                              ;   in Loop: Header=BB1_81 Depth=1
	s_or_b64 exec, exec, s[4:5]
	v_mul_f32_e32 v3, v14, v8
	v_mul_f32_e32 v3, v4, v3
	v_div_scale_f32 v4, s[4:5], v15, v15, v3
	v_rcp_f32_e32 v6, v4
	v_div_scale_f32 v7, vcc, v3, v15, v3
	v_fma_f32 v8, -v4, v6, 1.0
	v_fmac_f32_e32 v6, v8, v6
	v_mul_f32_e32 v8, v7, v6
	v_fma_f32 v13, -v4, v8, v7
	v_fmac_f32_e32 v8, v13, v6
	v_fma_f32 v4, -v4, v8, v7
	v_div_fmas_f32 v4, v4, v6, v8
	v_div_fixup_f32 v3, v4, v15, v3
	v_min_f32_e32 v3, 0x43600000, v3
	v_max_f32_e32 v6, 0xc3600000, v3
	v_and_b32_e32 v7, 0x7fffffff, v6
	v_cmp_gt_u32_e32 vcc, s18, v7
	v_mov_b32_e32 v3, 0x80
	v_mov_b32_e32 v4, 0x80
	s_and_saveexec_b64 s[4:5], vcc
	s_cbranch_execz .LBB1_124
; %bb.119:                              ;   in Loop: Header=BB1_81 Depth=1
	v_cmp_lt_u32_e32 vcc, s19, v7
	s_mov_b64 s[6:7], 0
                                        ; implicit-def: $vgpr7
	s_and_saveexec_b64 s[8:9], vcc
	s_xor_b64 s[8:9], exec, s[8:9]
	s_cbranch_execnz .LBB1_190
; %bb.120:                              ;   in Loop: Header=BB1_81 Depth=1
	s_or_saveexec_b64 s[8:9], s[8:9]
                                        ; implicit-def: $sgpr10
	s_xor_b64 exec, exec, s[8:9]
	s_cbranch_execnz .LBB1_191
.LBB1_121:                              ;   in Loop: Header=BB1_81 Depth=1
	s_or_b64 exec, exec, s[8:9]
	v_mov_b32_e32 v4, s10
	s_and_saveexec_b64 s[8:9], s[6:7]
.LBB1_122:                              ;   in Loop: Header=BB1_81 Depth=1
	v_lshrrev_b32_e32 v4, 24, v6
	v_and_or_b32 v4, v4, s22, v7
.LBB1_123:                              ;   in Loop: Header=BB1_81 Depth=1
	s_or_b64 exec, exec, s[8:9]
.LBB1_124:                              ;   in Loop: Header=BB1_81 Depth=1
	s_or_b64 exec, exec, s[4:5]
	v_mul_f32_e32 v6, v14, v9
	v_mul_f32_e32 v5, v5, v6
	v_div_scale_f32 v6, s[4:5], v15, v15, v5
	v_rcp_f32_e32 v7, v6
	v_div_scale_f32 v8, vcc, v5, v15, v5
	v_fma_f32 v9, -v6, v7, 1.0
	v_fmac_f32_e32 v7, v9, v7
	v_mul_f32_e32 v9, v8, v7
	v_fma_f32 v13, -v6, v9, v8
	v_fmac_f32_e32 v9, v13, v7
	v_fma_f32 v6, -v6, v9, v8
	v_div_fmas_f32 v6, v6, v7, v9
	v_div_fixup_f32 v5, v6, v15, v5
	v_min_f32_e32 v5, 0x43600000, v5
	v_max_f32_e32 v5, 0xc3600000, v5
	v_and_b32_e32 v6, 0x7fffffff, v5
	v_cmp_gt_u32_e32 vcc, s18, v6
	s_and_saveexec_b64 s[4:5], vcc
	s_cbranch_execz .LBB1_130
; %bb.125:                              ;   in Loop: Header=BB1_81 Depth=1
	v_cmp_lt_u32_e32 vcc, s19, v6
	s_mov_b64 s[6:7], 0
                                        ; implicit-def: $vgpr6
	s_and_saveexec_b64 s[8:9], vcc
	s_xor_b64 s[8:9], exec, s[8:9]
	s_cbranch_execnz .LBB1_192
; %bb.126:                              ;   in Loop: Header=BB1_81 Depth=1
	s_or_saveexec_b64 s[8:9], s[8:9]
                                        ; implicit-def: $sgpr10
	s_xor_b64 exec, exec, s[8:9]
	s_cbranch_execnz .LBB1_193
.LBB1_127:                              ;   in Loop: Header=BB1_81 Depth=1
	s_or_b64 exec, exec, s[8:9]
	v_mov_b32_e32 v3, s10
	s_and_saveexec_b64 s[8:9], s[6:7]
.LBB1_128:                              ;   in Loop: Header=BB1_81 Depth=1
	v_lshrrev_b32_e32 v3, 24, v5
	v_and_or_b32 v3, v3, s22, v6
.LBB1_129:                              ;   in Loop: Header=BB1_81 Depth=1
	s_or_b64 exec, exec, s[8:9]
.LBB1_130:                              ;   in Loop: Header=BB1_81 Depth=1
	s_or_b64 exec, exec, s[4:5]
	v_lshlrev_b64 v[6:7], 2, v[10:11]
	v_lshlrev_b32_e32 v4, 16, v4
	v_mov_b32_e32 v5, s15
	v_add_co_u32_e32 v6, vcc, s14, v6
	v_perm_b32 v3, v3, v4, s23
	v_lshlrev_b32_e32 v4, 8, v12
	v_addc_co_u32_e32 v7, vcc, v5, v7, vcc
	v_and_b32_e32 v4, 0xff00, v4
	v_and_b32_e32 v2, 0xff, v2
	v_add_u32_e32 v12, s17, v0
	v_or3_b32 v2, v3, v4, v2
	v_cmp_gt_u32_e32 vcc, s51, v12
	s_mov_b64 s[6:7], -1
	global_store_dword v[6:7], v2, off
	s_and_saveexec_b64 s[4:5], vcc
	s_cbranch_execz .LBB1_79
; %bb.131:                              ;   in Loop: Header=BB1_81 Depth=1
	v_mov_b32_e32 v13, v1
	v_lshlrev_b64 v[2:3], 4, v[12:13]
	v_mov_b32_e32 v5, s48
	v_add_co_u32_e32 v4, vcc, s33, v2
	v_addc_co_u32_e32 v5, vcc, v5, v3, vcc
	v_mov_b32_e32 v6, s50
	v_add_co_u32_e32 v24, vcc, s49, v2
	v_addc_co_u32_e32 v25, vcc, v6, v3, vcc
	v_mov_b32_e32 v11, s31
	global_load_dwordx4 v[6:9], v[4:5], off
	global_load_dwordx4 v[20:23], v[24:25], off
	v_add_co_u32_e32 v2, vcc, s30, v2
	v_addc_co_u32_e32 v3, vcc, v11, v3, vcc
	global_load_dwordx4 v[2:5], v[2:3], off
	v_mov_b32_e32 v11, 0x80
	s_waitcnt vmcnt(1)
	v_pk_add_f32 v[6:7], v[6:7], v[20:21]
	v_mul_f32_e32 v19, v14, v6
	v_pk_add_f32 v[8:9], v[8:9], v[22:23]
	global_store_dwordx4 v[24:25], v[6:9], off
	s_waitcnt vmcnt(1)
	v_mul_f32_e32 v2, v2, v19
	v_div_scale_f32 v19, s[6:7], v15, v15, v2
	v_rcp_f32_e32 v20, v19
	v_div_scale_f32 v6, vcc, v2, v15, v2
	v_fma_f32 v21, -v19, v20, 1.0
	v_fmac_f32_e32 v20, v21, v20
	v_mul_f32_e32 v21, v6, v20
	v_fma_f32 v22, -v19, v21, v6
	v_fmac_f32_e32 v21, v22, v20
	v_fma_f32 v6, -v19, v21, v6
	v_div_fmas_f32 v6, v6, v20, v21
	v_div_fixup_f32 v2, v6, v15, v2
	v_min_f32_e32 v2, 0x43600000, v2
	v_max_f32_e32 v6, 0xc3600000, v2
	v_and_b32_e32 v19, 0x7fffffff, v6
	v_cmp_gt_u32_e32 vcc, s18, v19
	v_mov_b32_e32 v2, 0x80
	s_and_saveexec_b64 s[6:7], vcc
	s_cbranch_execz .LBB1_137
; %bb.132:                              ;   in Loop: Header=BB1_81 Depth=1
	v_cmp_lt_u32_e32 vcc, s19, v19
	s_mov_b64 s[8:9], 0
                                        ; implicit-def: $vgpr19
	s_and_saveexec_b64 s[10:11], vcc
	s_xor_b64 s[10:11], exec, s[10:11]
	s_cbranch_execnz .LBB1_194
; %bb.133:                              ;   in Loop: Header=BB1_81 Depth=1
	s_or_saveexec_b64 s[10:11], s[10:11]
                                        ; implicit-def: $sgpr12
	s_xor_b64 exec, exec, s[10:11]
	s_cbranch_execnz .LBB1_195
.LBB1_134:                              ;   in Loop: Header=BB1_81 Depth=1
	s_or_b64 exec, exec, s[10:11]
	v_mov_b32_e32 v2, s12
	s_and_saveexec_b64 s[10:11], s[8:9]
.LBB1_135:                              ;   in Loop: Header=BB1_81 Depth=1
	v_lshrrev_b32_e32 v2, 24, v6
	v_and_or_b32 v2, v2, s22, v19
.LBB1_136:                              ;   in Loop: Header=BB1_81 Depth=1
	s_or_b64 exec, exec, s[10:11]
.LBB1_137:                              ;   in Loop: Header=BB1_81 Depth=1
	s_or_b64 exec, exec, s[6:7]
	v_mul_f32_e32 v6, v14, v7
	v_mul_f32_e32 v3, v3, v6
	v_div_scale_f32 v6, s[6:7], v15, v15, v3
	v_rcp_f32_e32 v7, v6
	v_div_scale_f32 v19, vcc, v3, v15, v3
	v_fma_f32 v20, -v6, v7, 1.0
	v_fmac_f32_e32 v7, v20, v7
	v_mul_f32_e32 v20, v19, v7
	v_fma_f32 v21, -v6, v20, v19
	v_fmac_f32_e32 v20, v21, v7
	v_fma_f32 v6, -v6, v20, v19
	v_div_fmas_f32 v6, v6, v7, v20
	v_div_fixup_f32 v3, v6, v15, v3
	v_min_f32_e32 v3, 0x43600000, v3
	v_max_f32_e32 v3, 0xc3600000, v3
	v_and_b32_e32 v6, 0x7fffffff, v3
	v_cmp_gt_u32_e32 vcc, s18, v6
	s_and_saveexec_b64 s[6:7], vcc
	s_cbranch_execz .LBB1_143
; %bb.138:                              ;   in Loop: Header=BB1_81 Depth=1
	v_cmp_lt_u32_e32 vcc, s19, v6
	s_mov_b64 s[8:9], 0
                                        ; implicit-def: $vgpr6
	s_and_saveexec_b64 s[10:11], vcc
	s_xor_b64 s[10:11], exec, s[10:11]
	s_cbranch_execnz .LBB1_196
; %bb.139:                              ;   in Loop: Header=BB1_81 Depth=1
	s_or_saveexec_b64 s[10:11], s[10:11]
                                        ; implicit-def: $sgpr12
	s_xor_b64 exec, exec, s[10:11]
	s_cbranch_execnz .LBB1_197
.LBB1_140:                              ;   in Loop: Header=BB1_81 Depth=1
	s_or_b64 exec, exec, s[10:11]
	v_mov_b32_e32 v11, s12
	s_and_saveexec_b64 s[10:11], s[8:9]
.LBB1_141:                              ;   in Loop: Header=BB1_81 Depth=1
	v_lshrrev_b32_e32 v3, 24, v3
	v_and_or_b32 v11, v3, s22, v6
.LBB1_142:                              ;   in Loop: Header=BB1_81 Depth=1
	s_or_b64 exec, exec, s[10:11]
.LBB1_143:                              ;   in Loop: Header=BB1_81 Depth=1
	s_or_b64 exec, exec, s[6:7]
	v_mul_f32_e32 v3, v14, v8
	v_mul_f32_e32 v3, v4, v3
	v_div_scale_f32 v4, s[6:7], v15, v15, v3
	v_rcp_f32_e32 v6, v4
	v_div_scale_f32 v7, vcc, v3, v15, v3
	v_fma_f32 v8, -v4, v6, 1.0
	v_fmac_f32_e32 v6, v8, v6
	v_mul_f32_e32 v8, v7, v6
	v_fma_f32 v19, -v4, v8, v7
	v_fmac_f32_e32 v8, v19, v6
	v_fma_f32 v4, -v4, v8, v7
	v_div_fmas_f32 v4, v4, v6, v8
	v_div_fixup_f32 v3, v4, v15, v3
	v_min_f32_e32 v3, 0x43600000, v3
	v_max_f32_e32 v6, 0xc3600000, v3
	v_and_b32_e32 v7, 0x7fffffff, v6
	v_cmp_gt_u32_e32 vcc, s18, v7
	v_mov_b32_e32 v3, 0x80
	v_mov_b32_e32 v4, 0x80
	s_and_saveexec_b64 s[6:7], vcc
	s_cbranch_execz .LBB1_149
; %bb.144:                              ;   in Loop: Header=BB1_81 Depth=1
	v_cmp_lt_u32_e32 vcc, s19, v7
	s_mov_b64 s[8:9], 0
                                        ; implicit-def: $vgpr7
	s_and_saveexec_b64 s[10:11], vcc
	s_xor_b64 s[10:11], exec, s[10:11]
	s_cbranch_execnz .LBB1_198
; %bb.145:                              ;   in Loop: Header=BB1_81 Depth=1
	s_or_saveexec_b64 s[10:11], s[10:11]
                                        ; implicit-def: $sgpr12
	s_xor_b64 exec, exec, s[10:11]
	s_cbranch_execnz .LBB1_199
.LBB1_146:                              ;   in Loop: Header=BB1_81 Depth=1
	s_or_b64 exec, exec, s[10:11]
	v_mov_b32_e32 v4, s12
	s_and_saveexec_b64 s[10:11], s[8:9]
.LBB1_147:                              ;   in Loop: Header=BB1_81 Depth=1
	v_lshrrev_b32_e32 v4, 24, v6
	v_and_or_b32 v4, v4, s22, v7
.LBB1_148:                              ;   in Loop: Header=BB1_81 Depth=1
	s_or_b64 exec, exec, s[10:11]
.LBB1_149:                              ;   in Loop: Header=BB1_81 Depth=1
	s_or_b64 exec, exec, s[6:7]
	v_mul_f32_e32 v6, v14, v9
	v_mul_f32_e32 v5, v5, v6
	v_div_scale_f32 v6, s[6:7], v15, v15, v5
	v_rcp_f32_e32 v7, v6
	v_div_scale_f32 v8, vcc, v5, v15, v5
	v_fma_f32 v9, -v6, v7, 1.0
	v_fmac_f32_e32 v7, v9, v7
	v_mul_f32_e32 v9, v8, v7
	v_fma_f32 v19, -v6, v9, v8
	v_fmac_f32_e32 v9, v19, v7
	v_fma_f32 v6, -v6, v9, v8
	v_div_fmas_f32 v6, v6, v7, v9
	v_div_fixup_f32 v5, v6, v15, v5
	v_min_f32_e32 v5, 0x43600000, v5
	v_max_f32_e32 v5, 0xc3600000, v5
	v_and_b32_e32 v6, 0x7fffffff, v5
	v_cmp_gt_u32_e32 vcc, s18, v6
	s_and_saveexec_b64 s[6:7], vcc
	s_cbranch_execz .LBB1_155
; %bb.150:                              ;   in Loop: Header=BB1_81 Depth=1
	v_cmp_lt_u32_e32 vcc, s19, v6
	s_mov_b64 s[8:9], 0
                                        ; implicit-def: $vgpr6
	s_and_saveexec_b64 s[10:11], vcc
	s_xor_b64 s[10:11], exec, s[10:11]
	s_cbranch_execnz .LBB1_200
; %bb.151:                              ;   in Loop: Header=BB1_81 Depth=1
	s_or_saveexec_b64 s[10:11], s[10:11]
                                        ; implicit-def: $sgpr12
	s_xor_b64 exec, exec, s[10:11]
	s_cbranch_execnz .LBB1_201
.LBB1_152:                              ;   in Loop: Header=BB1_81 Depth=1
	s_or_b64 exec, exec, s[10:11]
	v_mov_b32_e32 v3, s12
	s_and_saveexec_b64 s[10:11], s[8:9]
.LBB1_153:                              ;   in Loop: Header=BB1_81 Depth=1
	v_lshrrev_b32_e32 v3, 24, v5
	v_and_or_b32 v3, v3, s22, v6
.LBB1_154:                              ;   in Loop: Header=BB1_81 Depth=1
	s_or_b64 exec, exec, s[10:11]
.LBB1_155:                              ;   in Loop: Header=BB1_81 Depth=1
	s_or_b64 exec, exec, s[6:7]
	v_lshlrev_b64 v[6:7], 2, v[12:13]
	v_lshlrev_b32_e32 v4, 16, v4
	v_mov_b32_e32 v5, s15
	v_add_co_u32_e32 v6, vcc, s14, v6
	v_perm_b32 v3, v3, v4, s23
	v_lshlrev_b32_e32 v4, 8, v11
	v_addc_co_u32_e32 v7, vcc, v5, v7, vcc
	v_and_b32_e32 v4, 0xff00, v4
	v_and_b32_e32 v2, 0xff, v2
	v_add_u32_e32 v0, s16, v0
	v_or3_b32 v2, v3, v4, v2
	v_cmp_gt_u32_e32 vcc, s51, v0
	s_mov_b64 s[8:9], -1
	global_store_dword v[6:7], v2, off
	s_and_saveexec_b64 s[6:7], vcc
	s_cbranch_execz .LBB1_78
; %bb.156:                              ;   in Loop: Header=BB1_81 Depth=1
	v_lshlrev_b64 v[2:3], 4, v[0:1]
	v_mov_b32_e32 v5, s48
	v_add_co_u32_e32 v4, vcc, s33, v2
	v_addc_co_u32_e32 v5, vcc, v5, v3, vcc
	v_mov_b32_e32 v6, s50
	v_add_co_u32_e32 v12, vcc, s49, v2
	v_addc_co_u32_e32 v13, vcc, v6, v3, vcc
	v_mov_b32_e32 v11, s31
	global_load_dwordx4 v[6:9], v[4:5], off
	global_load_dwordx4 v[20:23], v[12:13], off
	v_add_co_u32_e32 v2, vcc, s30, v2
	v_addc_co_u32_e32 v3, vcc, v11, v3, vcc
	global_load_dwordx4 v[2:5], v[2:3], off
	v_mov_b32_e32 v11, 0x80
	s_waitcnt vmcnt(1)
	v_pk_add_f32 v[6:7], v[6:7], v[20:21]
	v_mul_f32_e32 v19, v14, v6
	v_pk_add_f32 v[8:9], v[8:9], v[22:23]
	global_store_dwordx4 v[12:13], v[6:9], off
	s_waitcnt vmcnt(1)
	v_mul_f32_e32 v2, v2, v19
	v_div_scale_f32 v19, s[8:9], v15, v15, v2
	v_rcp_f32_e32 v20, v19
	v_div_scale_f32 v6, vcc, v2, v15, v2
	v_fma_f32 v12, -v19, v20, 1.0
	v_fmac_f32_e32 v20, v12, v20
	v_mul_f32_e32 v12, v6, v20
	v_fma_f32 v13, -v19, v12, v6
	v_fmac_f32_e32 v12, v13, v20
	v_fma_f32 v6, -v19, v12, v6
	v_div_fmas_f32 v6, v6, v20, v12
	v_div_fixup_f32 v2, v6, v15, v2
	v_min_f32_e32 v2, 0x43600000, v2
	v_max_f32_e32 v6, 0xc3600000, v2
	v_and_b32_e32 v12, 0x7fffffff, v6
	v_cmp_gt_u32_e32 vcc, s18, v12
	v_mov_b32_e32 v2, 0x80
	s_and_saveexec_b64 s[8:9], vcc
	s_cbranch_execz .LBB1_162
; %bb.157:                              ;   in Loop: Header=BB1_81 Depth=1
	v_cmp_lt_u32_e32 vcc, s19, v12
	s_mov_b64 s[10:11], 0
                                        ; implicit-def: $vgpr12
	s_and_saveexec_b64 s[12:13], vcc
	s_xor_b64 s[12:13], exec, s[12:13]
	s_cbranch_execnz .LBB1_202
; %bb.158:                              ;   in Loop: Header=BB1_81 Depth=1
	s_or_saveexec_b64 s[12:13], s[12:13]
                                        ; implicit-def: $sgpr24
	s_xor_b64 exec, exec, s[12:13]
	s_cbranch_execnz .LBB1_203
.LBB1_159:                              ;   in Loop: Header=BB1_81 Depth=1
	s_or_b64 exec, exec, s[12:13]
	v_mov_b32_e32 v2, s24
	s_and_saveexec_b64 s[12:13], s[10:11]
.LBB1_160:                              ;   in Loop: Header=BB1_81 Depth=1
	v_lshrrev_b32_e32 v2, 24, v6
	v_and_or_b32 v2, v2, s22, v12
.LBB1_161:                              ;   in Loop: Header=BB1_81 Depth=1
	s_or_b64 exec, exec, s[12:13]
.LBB1_162:                              ;   in Loop: Header=BB1_81 Depth=1
	s_or_b64 exec, exec, s[8:9]
	v_mul_f32_e32 v6, v14, v7
	v_mul_f32_e32 v3, v3, v6
	v_div_scale_f32 v6, s[8:9], v15, v15, v3
	v_rcp_f32_e32 v7, v6
	v_div_scale_f32 v12, vcc, v3, v15, v3
	v_fma_f32 v13, -v6, v7, 1.0
	v_fmac_f32_e32 v7, v13, v7
	v_mul_f32_e32 v13, v12, v7
	v_fma_f32 v19, -v6, v13, v12
	v_fmac_f32_e32 v13, v19, v7
	v_fma_f32 v6, -v6, v13, v12
	v_div_fmas_f32 v6, v6, v7, v13
	v_div_fixup_f32 v3, v6, v15, v3
	v_min_f32_e32 v3, 0x43600000, v3
	v_max_f32_e32 v3, 0xc3600000, v3
	v_and_b32_e32 v6, 0x7fffffff, v3
	v_cmp_gt_u32_e32 vcc, s18, v6
	s_and_saveexec_b64 s[8:9], vcc
	s_cbranch_execz .LBB1_168
; %bb.163:                              ;   in Loop: Header=BB1_81 Depth=1
	v_cmp_lt_u32_e32 vcc, s19, v6
	s_mov_b64 s[10:11], 0
                                        ; implicit-def: $vgpr6
	s_and_saveexec_b64 s[12:13], vcc
	s_xor_b64 s[12:13], exec, s[12:13]
	s_cbranch_execnz .LBB1_204
; %bb.164:                              ;   in Loop: Header=BB1_81 Depth=1
	s_or_saveexec_b64 s[12:13], s[12:13]
                                        ; implicit-def: $sgpr24
	s_xor_b64 exec, exec, s[12:13]
	s_cbranch_execnz .LBB1_205
.LBB1_165:                              ;   in Loop: Header=BB1_81 Depth=1
	s_or_b64 exec, exec, s[12:13]
	v_mov_b32_e32 v11, s24
	s_and_saveexec_b64 s[12:13], s[10:11]
.LBB1_166:                              ;   in Loop: Header=BB1_81 Depth=1
	v_lshrrev_b32_e32 v3, 24, v3
	v_and_or_b32 v11, v3, s22, v6
.LBB1_167:                              ;   in Loop: Header=BB1_81 Depth=1
	s_or_b64 exec, exec, s[12:13]
.LBB1_168:                              ;   in Loop: Header=BB1_81 Depth=1
	s_or_b64 exec, exec, s[8:9]
	v_mul_f32_e32 v3, v14, v8
	v_mul_f32_e32 v3, v4, v3
	v_div_scale_f32 v4, s[8:9], v15, v15, v3
	v_rcp_f32_e32 v6, v4
	v_div_scale_f32 v7, vcc, v3, v15, v3
	v_fma_f32 v8, -v4, v6, 1.0
	v_fmac_f32_e32 v6, v8, v6
	v_mul_f32_e32 v8, v7, v6
	v_fma_f32 v12, -v4, v8, v7
	v_fmac_f32_e32 v8, v12, v6
	v_fma_f32 v4, -v4, v8, v7
	v_div_fmas_f32 v4, v4, v6, v8
	v_div_fixup_f32 v3, v4, v15, v3
	v_min_f32_e32 v3, 0x43600000, v3
	v_max_f32_e32 v6, 0xc3600000, v3
	v_and_b32_e32 v7, 0x7fffffff, v6
	v_cmp_gt_u32_e32 vcc, s18, v7
	v_mov_b32_e32 v3, 0x80
	v_mov_b32_e32 v4, 0x80
	s_and_saveexec_b64 s[8:9], vcc
	s_cbranch_execz .LBB1_174
; %bb.169:                              ;   in Loop: Header=BB1_81 Depth=1
	v_cmp_lt_u32_e32 vcc, s19, v7
	s_mov_b64 s[10:11], 0
                                        ; implicit-def: $vgpr7
	s_and_saveexec_b64 s[12:13], vcc
	s_xor_b64 s[12:13], exec, s[12:13]
	s_cbranch_execnz .LBB1_206
; %bb.170:                              ;   in Loop: Header=BB1_81 Depth=1
	s_or_saveexec_b64 s[12:13], s[12:13]
                                        ; implicit-def: $sgpr24
	s_xor_b64 exec, exec, s[12:13]
	s_cbranch_execnz .LBB1_207
.LBB1_171:                              ;   in Loop: Header=BB1_81 Depth=1
	s_or_b64 exec, exec, s[12:13]
	v_mov_b32_e32 v4, s24
	s_and_saveexec_b64 s[12:13], s[10:11]
.LBB1_172:                              ;   in Loop: Header=BB1_81 Depth=1
	v_lshrrev_b32_e32 v4, 24, v6
	v_and_or_b32 v4, v4, s22, v7
.LBB1_173:                              ;   in Loop: Header=BB1_81 Depth=1
	s_or_b64 exec, exec, s[12:13]
.LBB1_174:                              ;   in Loop: Header=BB1_81 Depth=1
	s_or_b64 exec, exec, s[8:9]
	v_mul_f32_e32 v6, v14, v9
	v_mul_f32_e32 v5, v5, v6
	v_div_scale_f32 v6, s[8:9], v15, v15, v5
	v_rcp_f32_e32 v7, v6
	v_div_scale_f32 v8, vcc, v5, v15, v5
	v_fma_f32 v9, -v6, v7, 1.0
	v_fmac_f32_e32 v7, v9, v7
	v_mul_f32_e32 v9, v8, v7
	v_fma_f32 v12, -v6, v9, v8
	v_fmac_f32_e32 v9, v12, v7
	v_fma_f32 v6, -v6, v9, v8
	v_div_fmas_f32 v6, v6, v7, v9
	v_div_fixup_f32 v5, v6, v15, v5
	v_min_f32_e32 v5, 0x43600000, v5
	v_max_f32_e32 v5, 0xc3600000, v5
	v_and_b32_e32 v6, 0x7fffffff, v5
	v_cmp_gt_u32_e32 vcc, s18, v6
	s_and_saveexec_b64 s[8:9], vcc
	s_cbranch_execz .LBB1_77
; %bb.175:                              ;   in Loop: Header=BB1_81 Depth=1
	v_cmp_lt_u32_e32 vcc, s19, v6
	s_mov_b64 s[10:11], 0
                                        ; implicit-def: $vgpr6
	s_and_saveexec_b64 s[12:13], vcc
	s_xor_b64 s[12:13], exec, s[12:13]
	s_cbranch_execnz .LBB1_208
; %bb.176:                              ;   in Loop: Header=BB1_81 Depth=1
	s_or_saveexec_b64 s[12:13], s[12:13]
                                        ; implicit-def: $sgpr24
	s_xor_b64 exec, exec, s[12:13]
	s_cbranch_execnz .LBB1_209
.LBB1_177:                              ;   in Loop: Header=BB1_81 Depth=1
	s_or_b64 exec, exec, s[12:13]
	v_mov_b32_e32 v3, s24
	s_and_saveexec_b64 s[12:13], s[10:11]
	s_cbranch_execz .LBB1_76
	s_branch .LBB1_210
.LBB1_178:                              ;   in Loop: Header=BB1_81 Depth=1
	v_bfe_u32 v2, v6, 20, 1
	v_add3_u32 v2, v6, v2, s20
	s_mov_b64 s[4:5], exec
	v_lshrrev_b32_e32 v11, 20, v2
	s_or_saveexec_b64 s[6:7], s[6:7]
                                        ; implicit-def: $sgpr8
	s_xor_b64 exec, exec, s[6:7]
	s_cbranch_execz .LBB1_84
.LBB1_179:                              ;   in Loop: Header=BB1_81 Depth=1
	v_add_f32_e64 v2, |v6|, s21
	v_and_b32_e32 v11, 0xff, v2
	v_cmp_ne_u32_e32 vcc, 0, v11
	s_andn2_b64 s[4:5], s[4:5], exec
	s_and_b64 s[10:11], vcc, exec
	s_mov_b32 s8, 0
	s_or_b64 s[4:5], s[4:5], s[10:11]
	s_or_b64 exec, exec, s[6:7]
	v_mov_b32_e32 v2, s8
	s_and_saveexec_b64 s[6:7], s[4:5]
	s_cbranch_execnz .LBB1_85
	s_branch .LBB1_86
.LBB1_180:                              ;   in Loop: Header=BB1_81 Depth=1
	v_bfe_u32 v6, v3, 20, 1
	v_add3_u32 v6, v3, v6, s20
	s_mov_b64 s[4:5], exec
	v_lshrrev_b32_e32 v6, 20, v6
	s_or_saveexec_b64 s[6:7], s[6:7]
                                        ; implicit-def: $sgpr8
	s_xor_b64 exec, exec, s[6:7]
	s_cbranch_execz .LBB1_90
.LBB1_181:                              ;   in Loop: Header=BB1_81 Depth=1
	v_add_f32_e64 v6, |v3|, s21
	v_and_b32_e32 v6, 0xff, v6
	v_cmp_ne_u32_e32 vcc, 0, v6
	s_andn2_b64 s[4:5], s[4:5], exec
	s_and_b64 s[10:11], vcc, exec
	s_mov_b32 s8, 0
	s_or_b64 s[4:5], s[4:5], s[10:11]
	s_or_b64 exec, exec, s[6:7]
	v_mov_b32_e32 v10, s8
	s_and_saveexec_b64 s[6:7], s[4:5]
	s_cbranch_execnz .LBB1_91
	s_branch .LBB1_92
.LBB1_182:                              ;   in Loop: Header=BB1_81 Depth=1
	v_bfe_u32 v4, v6, 20, 1
	v_add3_u32 v4, v6, v4, s20
	s_mov_b64 s[4:5], exec
	v_lshrrev_b32_e32 v7, 20, v4
	s_or_saveexec_b64 s[6:7], s[6:7]
                                        ; implicit-def: $sgpr8
	s_xor_b64 exec, exec, s[6:7]
	s_cbranch_execz .LBB1_96
.LBB1_183:                              ;   in Loop: Header=BB1_81 Depth=1
	v_add_f32_e64 v4, |v6|, s21
	v_and_b32_e32 v7, 0xff, v4
	v_cmp_ne_u32_e32 vcc, 0, v7
	s_andn2_b64 s[4:5], s[4:5], exec
	s_and_b64 s[10:11], vcc, exec
	s_mov_b32 s8, 0
	s_or_b64 s[4:5], s[4:5], s[10:11]
	s_or_b64 exec, exec, s[6:7]
	v_mov_b32_e32 v4, s8
	s_and_saveexec_b64 s[6:7], s[4:5]
	s_cbranch_execnz .LBB1_97
	s_branch .LBB1_98
.LBB1_184:                              ;   in Loop: Header=BB1_81 Depth=1
	v_bfe_u32 v3, v5, 20, 1
	v_add3_u32 v3, v5, v3, s20
	s_mov_b64 s[4:5], exec
	v_lshrrev_b32_e32 v6, 20, v3
	s_or_saveexec_b64 s[6:7], s[6:7]
                                        ; implicit-def: $sgpr8
	s_xor_b64 exec, exec, s[6:7]
	s_cbranch_execz .LBB1_102
.LBB1_185:                              ;   in Loop: Header=BB1_81 Depth=1
	v_add_f32_e64 v3, |v5|, s21
	v_and_b32_e32 v6, 0xff, v3
	v_cmp_ne_u32_e32 vcc, 0, v6
	s_andn2_b64 s[4:5], s[4:5], exec
	s_and_b64 s[10:11], vcc, exec
	s_mov_b32 s8, 0
	s_or_b64 s[4:5], s[4:5], s[10:11]
	s_or_b64 exec, exec, s[6:7]
	v_mov_b32_e32 v3, s8
	s_and_saveexec_b64 s[6:7], s[4:5]
	s_cbranch_execnz .LBB1_103
	s_branch .LBB1_104
.LBB1_186:                              ;   in Loop: Header=BB1_81 Depth=1
	v_bfe_u32 v2, v6, 20, 1
	v_add3_u32 v2, v6, v2, s20
	s_mov_b64 s[6:7], exec
	v_lshrrev_b32_e32 v13, 20, v2
	s_or_saveexec_b64 s[8:9], s[8:9]
                                        ; implicit-def: $sgpr10
	s_xor_b64 exec, exec, s[8:9]
	s_cbranch_execz .LBB1_109
.LBB1_187:                              ;   in Loop: Header=BB1_81 Depth=1
	v_add_f32_e64 v2, |v6|, s21
	v_and_b32_e32 v13, 0xff, v2
	v_cmp_ne_u32_e32 vcc, 0, v13
	s_andn2_b64 s[6:7], s[6:7], exec
	s_and_b64 s[12:13], vcc, exec
	s_mov_b32 s10, 0
	s_or_b64 s[6:7], s[6:7], s[12:13]
	s_or_b64 exec, exec, s[8:9]
	v_mov_b32_e32 v2, s10
	s_and_saveexec_b64 s[8:9], s[6:7]
	s_cbranch_execnz .LBB1_110
	s_branch .LBB1_111
.LBB1_188:                              ;   in Loop: Header=BB1_81 Depth=1
	v_bfe_u32 v6, v3, 20, 1
	v_add3_u32 v6, v3, v6, s20
	s_mov_b64 s[6:7], exec
	v_lshrrev_b32_e32 v6, 20, v6
	s_or_saveexec_b64 s[8:9], s[8:9]
                                        ; implicit-def: $sgpr10
	s_xor_b64 exec, exec, s[8:9]
	s_cbranch_execz .LBB1_115
.LBB1_189:                              ;   in Loop: Header=BB1_81 Depth=1
	v_add_f32_e64 v6, |v3|, s21
	v_and_b32_e32 v6, 0xff, v6
	v_cmp_ne_u32_e32 vcc, 0, v6
	s_andn2_b64 s[6:7], s[6:7], exec
	s_and_b64 s[12:13], vcc, exec
	s_mov_b32 s10, 0
	s_or_b64 s[6:7], s[6:7], s[12:13]
	s_or_b64 exec, exec, s[8:9]
	v_mov_b32_e32 v12, s10
	s_and_saveexec_b64 s[8:9], s[6:7]
	s_cbranch_execnz .LBB1_116
	s_branch .LBB1_117
.LBB1_190:                              ;   in Loop: Header=BB1_81 Depth=1
	v_bfe_u32 v4, v6, 20, 1
	v_add3_u32 v4, v6, v4, s20
	s_mov_b64 s[6:7], exec
	v_lshrrev_b32_e32 v7, 20, v4
	s_or_saveexec_b64 s[8:9], s[8:9]
                                        ; implicit-def: $sgpr10
	s_xor_b64 exec, exec, s[8:9]
	s_cbranch_execz .LBB1_121
.LBB1_191:                              ;   in Loop: Header=BB1_81 Depth=1
	v_add_f32_e64 v4, |v6|, s21
	v_and_b32_e32 v7, 0xff, v4
	v_cmp_ne_u32_e32 vcc, 0, v7
	s_andn2_b64 s[6:7], s[6:7], exec
	s_and_b64 s[12:13], vcc, exec
	s_mov_b32 s10, 0
	s_or_b64 s[6:7], s[6:7], s[12:13]
	s_or_b64 exec, exec, s[8:9]
	v_mov_b32_e32 v4, s10
	s_and_saveexec_b64 s[8:9], s[6:7]
	s_cbranch_execnz .LBB1_122
	s_branch .LBB1_123
.LBB1_192:                              ;   in Loop: Header=BB1_81 Depth=1
	v_bfe_u32 v3, v5, 20, 1
	v_add3_u32 v3, v5, v3, s20
	s_mov_b64 s[6:7], exec
	v_lshrrev_b32_e32 v6, 20, v3
	s_or_saveexec_b64 s[8:9], s[8:9]
                                        ; implicit-def: $sgpr10
	s_xor_b64 exec, exec, s[8:9]
	s_cbranch_execz .LBB1_127
.LBB1_193:                              ;   in Loop: Header=BB1_81 Depth=1
	v_add_f32_e64 v3, |v5|, s21
	v_and_b32_e32 v6, 0xff, v3
	v_cmp_ne_u32_e32 vcc, 0, v6
	s_andn2_b64 s[6:7], s[6:7], exec
	s_and_b64 s[12:13], vcc, exec
	s_mov_b32 s10, 0
	s_or_b64 s[6:7], s[6:7], s[12:13]
	s_or_b64 exec, exec, s[8:9]
	v_mov_b32_e32 v3, s10
	s_and_saveexec_b64 s[8:9], s[6:7]
	s_cbranch_execnz .LBB1_128
	s_branch .LBB1_129
.LBB1_194:                              ;   in Loop: Header=BB1_81 Depth=1
	v_bfe_u32 v2, v6, 20, 1
	v_add3_u32 v2, v6, v2, s20
	s_mov_b64 s[8:9], exec
	v_lshrrev_b32_e32 v19, 20, v2
	s_or_saveexec_b64 s[10:11], s[10:11]
                                        ; implicit-def: $sgpr12
	s_xor_b64 exec, exec, s[10:11]
	s_cbranch_execz .LBB1_134
.LBB1_195:                              ;   in Loop: Header=BB1_81 Depth=1
	v_add_f32_e64 v2, |v6|, s21
	v_and_b32_e32 v19, 0xff, v2
	v_cmp_ne_u32_e32 vcc, 0, v19
	s_andn2_b64 s[8:9], s[8:9], exec
	s_and_b64 s[24:25], vcc, exec
	s_mov_b32 s12, 0
	s_or_b64 s[8:9], s[8:9], s[24:25]
	s_or_b64 exec, exec, s[10:11]
	v_mov_b32_e32 v2, s12
	s_and_saveexec_b64 s[10:11], s[8:9]
	s_cbranch_execnz .LBB1_135
	s_branch .LBB1_136
.LBB1_196:                              ;   in Loop: Header=BB1_81 Depth=1
	v_bfe_u32 v6, v3, 20, 1
	v_add3_u32 v6, v3, v6, s20
	s_mov_b64 s[8:9], exec
	v_lshrrev_b32_e32 v6, 20, v6
	s_or_saveexec_b64 s[10:11], s[10:11]
                                        ; implicit-def: $sgpr12
	s_xor_b64 exec, exec, s[10:11]
	s_cbranch_execz .LBB1_140
.LBB1_197:                              ;   in Loop: Header=BB1_81 Depth=1
	v_add_f32_e64 v6, |v3|, s21
	v_and_b32_e32 v6, 0xff, v6
	v_cmp_ne_u32_e32 vcc, 0, v6
	s_andn2_b64 s[8:9], s[8:9], exec
	s_and_b64 s[24:25], vcc, exec
	s_mov_b32 s12, 0
	s_or_b64 s[8:9], s[8:9], s[24:25]
	s_or_b64 exec, exec, s[10:11]
	v_mov_b32_e32 v11, s12
	s_and_saveexec_b64 s[10:11], s[8:9]
	s_cbranch_execnz .LBB1_141
	s_branch .LBB1_142
.LBB1_198:                              ;   in Loop: Header=BB1_81 Depth=1
	v_bfe_u32 v4, v6, 20, 1
	v_add3_u32 v4, v6, v4, s20
	s_mov_b64 s[8:9], exec
	v_lshrrev_b32_e32 v7, 20, v4
	s_or_saveexec_b64 s[10:11], s[10:11]
                                        ; implicit-def: $sgpr12
	s_xor_b64 exec, exec, s[10:11]
	s_cbranch_execz .LBB1_146
.LBB1_199:                              ;   in Loop: Header=BB1_81 Depth=1
	v_add_f32_e64 v4, |v6|, s21
	v_and_b32_e32 v7, 0xff, v4
	v_cmp_ne_u32_e32 vcc, 0, v7
	s_andn2_b64 s[8:9], s[8:9], exec
	s_and_b64 s[24:25], vcc, exec
	s_mov_b32 s12, 0
	s_or_b64 s[8:9], s[8:9], s[24:25]
	s_or_b64 exec, exec, s[10:11]
	v_mov_b32_e32 v4, s12
	s_and_saveexec_b64 s[10:11], s[8:9]
	s_cbranch_execnz .LBB1_147
	s_branch .LBB1_148
.LBB1_200:                              ;   in Loop: Header=BB1_81 Depth=1
	v_bfe_u32 v3, v5, 20, 1
	v_add3_u32 v3, v5, v3, s20
	s_mov_b64 s[8:9], exec
	v_lshrrev_b32_e32 v6, 20, v3
	s_or_saveexec_b64 s[10:11], s[10:11]
                                        ; implicit-def: $sgpr12
	s_xor_b64 exec, exec, s[10:11]
	s_cbranch_execz .LBB1_152
.LBB1_201:                              ;   in Loop: Header=BB1_81 Depth=1
	v_add_f32_e64 v3, |v5|, s21
	v_and_b32_e32 v6, 0xff, v3
	v_cmp_ne_u32_e32 vcc, 0, v6
	s_andn2_b64 s[8:9], s[8:9], exec
	s_and_b64 s[24:25], vcc, exec
	s_mov_b32 s12, 0
	s_or_b64 s[8:9], s[8:9], s[24:25]
	s_or_b64 exec, exec, s[10:11]
	v_mov_b32_e32 v3, s12
	s_and_saveexec_b64 s[10:11], s[8:9]
	s_cbranch_execnz .LBB1_153
	s_branch .LBB1_154
.LBB1_202:                              ;   in Loop: Header=BB1_81 Depth=1
	v_bfe_u32 v2, v6, 20, 1
	v_add3_u32 v2, v6, v2, s20
	s_mov_b64 s[10:11], exec
	v_lshrrev_b32_e32 v12, 20, v2
	s_or_saveexec_b64 s[12:13], s[12:13]
                                        ; implicit-def: $sgpr24
	s_xor_b64 exec, exec, s[12:13]
	s_cbranch_execz .LBB1_159
.LBB1_203:                              ;   in Loop: Header=BB1_81 Depth=1
	v_add_f32_e64 v2, |v6|, s21
	v_and_b32_e32 v12, 0xff, v2
	v_cmp_ne_u32_e32 vcc, 0, v12
	s_andn2_b64 s[10:11], s[10:11], exec
	s_and_b64 s[26:27], vcc, exec
	s_mov_b32 s24, 0
	s_or_b64 s[10:11], s[10:11], s[26:27]
	s_or_b64 exec, exec, s[12:13]
	v_mov_b32_e32 v2, s24
	s_and_saveexec_b64 s[12:13], s[10:11]
	s_cbranch_execnz .LBB1_160
	s_branch .LBB1_161
.LBB1_204:                              ;   in Loop: Header=BB1_81 Depth=1
	v_bfe_u32 v6, v3, 20, 1
	v_add3_u32 v6, v3, v6, s20
	s_mov_b64 s[10:11], exec
	v_lshrrev_b32_e32 v6, 20, v6
	s_or_saveexec_b64 s[12:13], s[12:13]
                                        ; implicit-def: $sgpr24
	s_xor_b64 exec, exec, s[12:13]
	s_cbranch_execz .LBB1_165
.LBB1_205:                              ;   in Loop: Header=BB1_81 Depth=1
	v_add_f32_e64 v6, |v3|, s21
	v_and_b32_e32 v6, 0xff, v6
	v_cmp_ne_u32_e32 vcc, 0, v6
	s_andn2_b64 s[10:11], s[10:11], exec
	s_and_b64 s[26:27], vcc, exec
	s_mov_b32 s24, 0
	s_or_b64 s[10:11], s[10:11], s[26:27]
	s_or_b64 exec, exec, s[12:13]
	v_mov_b32_e32 v11, s24
	s_and_saveexec_b64 s[12:13], s[10:11]
	s_cbranch_execnz .LBB1_166
	s_branch .LBB1_167
.LBB1_206:                              ;   in Loop: Header=BB1_81 Depth=1
	v_bfe_u32 v4, v6, 20, 1
	v_add3_u32 v4, v6, v4, s20
	s_mov_b64 s[10:11], exec
	v_lshrrev_b32_e32 v7, 20, v4
	s_or_saveexec_b64 s[12:13], s[12:13]
                                        ; implicit-def: $sgpr24
	s_xor_b64 exec, exec, s[12:13]
	s_cbranch_execz .LBB1_171
.LBB1_207:                              ;   in Loop: Header=BB1_81 Depth=1
	v_add_f32_e64 v4, |v6|, s21
	v_and_b32_e32 v7, 0xff, v4
	v_cmp_ne_u32_e32 vcc, 0, v7
	s_andn2_b64 s[10:11], s[10:11], exec
	s_and_b64 s[26:27], vcc, exec
	s_mov_b32 s24, 0
	s_or_b64 s[10:11], s[10:11], s[26:27]
	s_or_b64 exec, exec, s[12:13]
	v_mov_b32_e32 v4, s24
	s_and_saveexec_b64 s[12:13], s[10:11]
	s_cbranch_execnz .LBB1_172
	s_branch .LBB1_173
.LBB1_208:                              ;   in Loop: Header=BB1_81 Depth=1
	v_bfe_u32 v3, v5, 20, 1
	v_add3_u32 v3, v5, v3, s20
	s_mov_b64 s[10:11], exec
	v_lshrrev_b32_e32 v6, 20, v3
	s_or_saveexec_b64 s[12:13], s[12:13]
                                        ; implicit-def: $sgpr24
	s_xor_b64 exec, exec, s[12:13]
	s_cbranch_execz .LBB1_177
.LBB1_209:                              ;   in Loop: Header=BB1_81 Depth=1
	v_add_f32_e64 v3, |v5|, s21
	v_and_b32_e32 v6, 0xff, v3
	v_cmp_ne_u32_e32 vcc, 0, v6
	s_andn2_b64 s[10:11], s[10:11], exec
	s_and_b64 s[26:27], vcc, exec
	s_mov_b32 s24, 0
	s_or_b64 s[10:11], s[10:11], s[26:27]
	s_or_b64 exec, exec, s[12:13]
	v_mov_b32_e32 v3, s24
	s_and_saveexec_b64 s[12:13], s[10:11]
	s_cbranch_execz .LBB1_76
.LBB1_210:                              ;   in Loop: Header=BB1_81 Depth=1
	v_lshrrev_b32_e32 v3, 24, v5
	v_and_or_b32 v3, v3, s22, v6
	s_branch .LBB1_76
.LBB1_211:
	s_endpgm
	.section	.rodata,"a",@progbits
	.p2align	6, 0x0
	.amdhsa_kernel _ZN4vllm39rms_norm_dynamic_per_token_quant_kernelIfN3c1015Float8_e4m3fnuzELb1EEEvPT0_PfPKT_S8_PKffiiPS6_
		.amdhsa_group_segment_fixed_size 272
		.amdhsa_private_segment_fixed_size 0
		.amdhsa_kernarg_size 320
		.amdhsa_user_sgpr_count 6
		.amdhsa_user_sgpr_private_segment_buffer 1
		.amdhsa_user_sgpr_dispatch_ptr 0
		.amdhsa_user_sgpr_queue_ptr 0
		.amdhsa_user_sgpr_kernarg_segment_ptr 1
		.amdhsa_user_sgpr_dispatch_id 0
		.amdhsa_user_sgpr_flat_scratch_init 0
		.amdhsa_user_sgpr_kernarg_preload_length 0
		.amdhsa_user_sgpr_kernarg_preload_offset 0
		.amdhsa_user_sgpr_private_segment_size 0
		.amdhsa_uses_dynamic_stack 0
		.amdhsa_system_sgpr_private_segment_wavefront_offset 0
		.amdhsa_system_sgpr_workgroup_id_x 1
		.amdhsa_system_sgpr_workgroup_id_y 0
		.amdhsa_system_sgpr_workgroup_id_z 0
		.amdhsa_system_sgpr_workgroup_info 0
		.amdhsa_system_vgpr_workitem_id 0
		.amdhsa_next_free_vgpr 32
		.amdhsa_next_free_sgpr 56
		.amdhsa_accum_offset 32
		.amdhsa_reserve_vcc 1
		.amdhsa_reserve_flat_scratch 0
		.amdhsa_float_round_mode_32 0
		.amdhsa_float_round_mode_16_64 0
		.amdhsa_float_denorm_mode_32 3
		.amdhsa_float_denorm_mode_16_64 3
		.amdhsa_dx10_clamp 1
		.amdhsa_ieee_mode 1
		.amdhsa_fp16_overflow 0
		.amdhsa_tg_split 0
		.amdhsa_exception_fp_ieee_invalid_op 0
		.amdhsa_exception_fp_denorm_src 0
		.amdhsa_exception_fp_ieee_div_zero 0
		.amdhsa_exception_fp_ieee_overflow 0
		.amdhsa_exception_fp_ieee_underflow 0
		.amdhsa_exception_fp_ieee_inexact 0
		.amdhsa_exception_int_div_zero 0
	.end_amdhsa_kernel
	.section	.text._ZN4vllm39rms_norm_dynamic_per_token_quant_kernelIfN3c1015Float8_e4m3fnuzELb1EEEvPT0_PfPKT_S8_PKffiiPS6_,"axG",@progbits,_ZN4vllm39rms_norm_dynamic_per_token_quant_kernelIfN3c1015Float8_e4m3fnuzELb1EEEvPT0_PfPKT_S8_PKffiiPS6_,comdat
.Lfunc_end1:
	.size	_ZN4vllm39rms_norm_dynamic_per_token_quant_kernelIfN3c1015Float8_e4m3fnuzELb1EEEvPT0_PfPKT_S8_PKffiiPS6_, .Lfunc_end1-_ZN4vllm39rms_norm_dynamic_per_token_quant_kernelIfN3c1015Float8_e4m3fnuzELb1EEEvPT0_PfPKT_S8_PKffiiPS6_
                                        ; -- End function
	.section	.AMDGPU.csdata,"",@progbits
; Kernel info:
; codeLenInByte = 11352
; NumSgprs: 60
; NumVgprs: 32
; NumAgprs: 0
; TotalNumVgprs: 32
; ScratchSize: 0
; MemoryBound: 0
; FloatMode: 240
; IeeeMode: 1
; LDSByteSize: 272 bytes/workgroup (compile time only)
; SGPRBlocks: 7
; VGPRBlocks: 3
; NumSGPRsForWavesPerEU: 60
; NumVGPRsForWavesPerEU: 32
; AccumOffset: 32
; Occupancy: 8
; WaveLimiterHint : 0
; COMPUTE_PGM_RSRC2:SCRATCH_EN: 0
; COMPUTE_PGM_RSRC2:USER_SGPR: 6
; COMPUTE_PGM_RSRC2:TRAP_HANDLER: 0
; COMPUTE_PGM_RSRC2:TGID_X_EN: 1
; COMPUTE_PGM_RSRC2:TGID_Y_EN: 0
; COMPUTE_PGM_RSRC2:TGID_Z_EN: 0
; COMPUTE_PGM_RSRC2:TIDIG_COMP_CNT: 0
; COMPUTE_PGM_RSRC3_GFX90A:ACCUM_OFFSET: 7
; COMPUTE_PGM_RSRC3_GFX90A:TG_SPLIT: 0
	.section	.text._ZN4vllm39rms_norm_dynamic_per_token_quant_kernelIfaLb1EEEvPT0_PfPKT_S6_PKffiiPS4_,"axG",@progbits,_ZN4vllm39rms_norm_dynamic_per_token_quant_kernelIfaLb1EEEvPT0_PfPKT_S6_PKffiiPS4_,comdat
	.protected	_ZN4vllm39rms_norm_dynamic_per_token_quant_kernelIfaLb1EEEvPT0_PfPKT_S6_PKffiiPS4_ ; -- Begin function _ZN4vllm39rms_norm_dynamic_per_token_quant_kernelIfaLb1EEEvPT0_PfPKT_S6_PKffiiPS4_
	.globl	_ZN4vllm39rms_norm_dynamic_per_token_quant_kernelIfaLb1EEEvPT0_PfPKT_S6_PKffiiPS4_
	.p2align	8
	.type	_ZN4vllm39rms_norm_dynamic_per_token_quant_kernelIfaLb1EEEvPT0_PfPKT_S6_PKffiiPS4_,@function
_ZN4vllm39rms_norm_dynamic_per_token_quant_kernelIfaLb1EEEvPT0_PfPKT_S6_PKffiiPS4_: ; @_ZN4vllm39rms_norm_dynamic_per_token_quant_kernelIfaLb1EEEvPT0_PfPKT_S6_PKffiiPS4_
; %bb.0:
	s_load_dwordx4 s[36:39], s[4:5], 0x28
	s_load_dwordx2 s[22:23], s[4:5], 0x20
	s_load_dwordx8 s[24:31], s[4:5], 0x0
	s_load_dwordx2 s[40:41], s[4:5], 0x38
	s_waitcnt lgkmcnt(0)
	s_or_b32 s0, s38, s37
	s_and_b32 s0, s0, 3
	s_cmp_lg_u32 s0, 0
	s_cbranch_scc0 .LBB2_31
; %bb.1:
	v_cmp_gt_u32_e64 s[0:1], s37, v0
	v_cmp_le_u32_e64 s[2:3], s37, v0
                                        ; implicit-def: $sgpr7
                                        ; implicit-def: $sgpr10_sgpr11
	s_and_saveexec_b64 s[8:9], s[2:3]
	s_xor_b64 s[8:9], exec, s[8:9]
; %bb.2:
	s_add_u32 s10, s4, 64
	s_addc_u32 s11, s5, 0
	s_mov_b32 s7, 0
; %bb.3:
	s_or_saveexec_b64 s[8:9], s[8:9]
	v_mov_b32_e32 v4, s7
	v_pk_mov_b32 v[2:3], s[10:11], s[10:11] op_sel:[0,1]
	v_mov_b32_e32 v1, s6
	s_xor_b64 exec, exec, s[8:9]
	s_cbranch_execz .LBB2_7
; %bb.4:
	s_ashr_i32 s7, s37, 31
	s_mul_hi_u32 s10, s37, s6
	s_mul_i32 s7, s7, s6
	s_add_i32 s11, s10, s7
	s_ashr_i32 s7, s38, 31
	s_mul_hi_u32 s12, s38, s6
	s_mul_i32 s7, s7, s6
	s_add_i32 s13, s12, s7
	s_mul_i32 s12, s38, s6
	s_lshl_b64 s[12:13], s[12:13], 2
	s_mul_i32 s10, s37, s6
	s_add_u32 s7, s28, s12
	s_load_dword s12, s[4:5], 0x4c
	s_addc_u32 s16, s29, s13
	s_lshl_b64 s[10:11], s[10:11], 2
	s_add_u32 s14, s40, s10
	s_addc_u32 s17, s41, s11
	s_add_u32 s10, s4, 64
	s_addc_u32 s11, s5, 0
	s_waitcnt lgkmcnt(0)
	s_and_b32 s15, s12, 0xffff
	s_mov_b64 s[12:13], 0
	v_mov_b32_e32 v3, 0
	v_mov_b32_e32 v1, s16
	;; [unrolled: 1-line block ×5, first 2 shown]
.LBB2_5:                                ; =>This Inner Loop Header: Depth=1
	v_lshlrev_b64 v[6:7], 2, v[2:3]
	v_add_co_u32_e32 v8, vcc, s7, v6
	v_addc_co_u32_e32 v9, vcc, v1, v7, vcc
	v_add_co_u32_e32 v6, vcc, s14, v6
	v_addc_co_u32_e32 v7, vcc, v5, v7, vcc
	global_load_dword v10, v[8:9], off
	global_load_dword v11, v[6:7], off
	v_add_u32_e32 v2, s15, v2
	v_cmp_le_u32_e32 vcc, s37, v2
	s_or_b64 s[12:13], vcc, s[12:13]
	s_waitcnt vmcnt(0)
	v_add_f32_e32 v6, v10, v11
	v_fmac_f32_e32 v4, v6, v6
	s_andn2_b64 exec, exec, s[12:13]
	s_cbranch_execnz .LBB2_5
; %bb.6:
	s_or_b64 exec, exec, s[12:13]
	v_pk_mov_b32 v[2:3], s[10:11], s[10:11] op_sel:[0,1]
	v_mov_b32_e32 v1, s6
.LBB2_7:
	s_or_b64 exec, exec, s[8:9]
	global_load_dword v5, v[2:3], off
	s_waitcnt vmcnt(0)
	v_cmp_lt_u32_e32 vcc, v1, v5
	v_cndmask_b32_e64 v1, 18, 12, vcc
	v_add_co_u32_e32 v2, vcc, v2, v1
	v_addc_co_u32_e32 v3, vcc, 0, v3, vcc
	global_load_ushort v2, v[2:3], off
	v_mbcnt_lo_u32_b32 v1, -1, 0
	v_mbcnt_hi_u32_b32 v1, -1, v1
	v_and_b32_e32 v3, 63, v1
	v_cmp_ne_u32_e32 vcc, 63, v3
	v_addc_co_u32_e32 v6, vcc, 0, v1, vcc
	v_lshlrev_b32_e32 v14, 2, v6
	ds_bpermute_b32 v6, v14, v4
	v_cmp_gt_u32_e32 vcc, 62, v3
	v_cndmask_b32_e64 v12, 0, 1, vcc
	v_and_b32_e32 v5, 0x3c0, v0
	v_lshlrev_b32_e32 v12, 1, v12
	v_add_u32_e32 v7, 1, v1
	v_add_lshl_u32 v13, v12, v1, 2
	s_waitcnt lgkmcnt(0)
	v_add_f32_e32 v6, v4, v6
	v_add_u32_e32 v8, 2, v1
	v_add_u32_e32 v10, 4, v1
	;; [unrolled: 1-line block ×5, first 2 shown]
	v_cmp_eq_u32_e64 s[8:9], 0, v1
	s_waitcnt vmcnt(0)
	v_sub_u32_e64 v12, v2, v5 clamp
	v_cmp_lt_u32_e32 vcc, v7, v12
	v_cndmask_b32_e32 v4, v4, v6, vcc
	ds_bpermute_b32 v6, v13, v4
	v_cmp_gt_u32_e32 vcc, 60, v3
	v_cndmask_b32_e64 v15, 0, 1, vcc
	v_lshlrev_b32_e32 v15, 2, v15
	v_cmp_lt_u32_e32 vcc, v8, v12
	s_waitcnt lgkmcnt(0)
	v_add_f32_e32 v6, v4, v6
	v_add_lshl_u32 v15, v15, v1, 2
	v_cndmask_b32_e32 v4, v4, v6, vcc
	ds_bpermute_b32 v6, v15, v4
	v_cmp_gt_u32_e32 vcc, 56, v3
	v_cndmask_b32_e64 v16, 0, 1, vcc
	v_lshlrev_b32_e32 v16, 3, v16
	v_cmp_lt_u32_e32 vcc, v10, v12
	s_waitcnt lgkmcnt(0)
	v_add_f32_e32 v6, v4, v6
	v_add_lshl_u32 v16, v16, v1, 2
	;; [unrolled: 9-line block ×3, first 2 shown]
	v_cndmask_b32_e32 v4, v4, v6, vcc
	ds_bpermute_b32 v6, v18, v4
	v_cmp_gt_u32_e32 vcc, 32, v3
	v_cndmask_b32_e64 v3, 0, 1, vcc
	v_lshlrev_b32_e32 v3, 5, v3
	v_add_lshl_u32 v17, v3, v1, 2
	s_waitcnt lgkmcnt(0)
	v_add_f32_e32 v3, v4, v6
	v_cmp_lt_u32_e32 vcc, v9, v12
	v_cndmask_b32_e32 v3, v4, v3, vcc
	ds_bpermute_b32 v4, v17, v3
	v_cmp_lt_u32_e32 vcc, v19, v12
	s_waitcnt lgkmcnt(0)
	v_add_f32_e32 v4, v3, v4
	v_cndmask_b32_e32 v3, v3, v4, vcc
	s_and_saveexec_b64 s[10:11], s[8:9]
	s_cbranch_execz .LBB2_9
; %bb.8:
	v_lshrrev_b32_e32 v4, 4, v0
	v_and_b32_e32 v4, 60, v4
	ds_write_b32 v4, v3 offset:128
.LBB2_9:
	s_or_b64 exec, exec, s[10:11]
	v_cmp_gt_u32_e64 s[10:11], 16, v0
	v_lshlrev_b32_e32 v12, 2, v1
	v_and_b32_e32 v6, 15, v1
	s_waitcnt lgkmcnt(0)
	s_barrier
	s_and_saveexec_b64 s[14:15], s[10:11]
	s_cbranch_execz .LBB2_11
; %bb.10:
	ds_read_b32 v3, v12 offset:128
	v_cmp_ne_u32_e32 vcc, 15, v6
	v_addc_co_u32_e32 v4, vcc, 0, v1, vcc
	v_lshlrev_b32_e32 v4, 2, v4
	s_waitcnt lgkmcnt(0)
	ds_bpermute_b32 v4, v4, v3
	v_add_u32_e32 v2, 63, v2
	v_add_u32_e32 v20, 1, v6
	v_lshrrev_b32_e32 v2, 6, v2
	v_cmp_gt_u32_e64 s[12:13], 14, v6
	v_cmp_lt_u32_e32 vcc, v20, v2
	v_cndmask_b32_e64 v20, 0, 1, s[12:13]
	s_waitcnt lgkmcnt(0)
	v_add_f32_e32 v4, v3, v4
	v_lshlrev_b32_e32 v20, 1, v20
	v_cndmask_b32_e32 v4, v3, v4, vcc
	v_add_lshl_u32 v20, v20, v1, 2
	ds_bpermute_b32 v20, v20, v4
	v_add_u32_e32 v21, 2, v6
	v_cmp_lt_u32_e64 s[12:13], v21, v2
	v_add_u32_e32 v21, 4, v6
	s_waitcnt lgkmcnt(0)
	v_add_f32_e32 v20, v4, v20
	v_cndmask_b32_e64 v4, v4, v20, s[12:13]
	v_cmp_gt_u32_e64 s[12:13], 12, v6
	v_cndmask_b32_e64 v20, 0, 1, s[12:13]
	v_lshlrev_b32_e32 v20, 2, v20
	v_add_lshl_u32 v20, v20, v1, 2
	ds_bpermute_b32 v20, v20, v4
	v_cmp_lt_u32_e64 s[12:13], v21, v2
	v_add_u32_e32 v21, 8, v6
	s_waitcnt lgkmcnt(0)
	v_add_f32_e32 v20, v4, v20
	v_cndmask_b32_e64 v4, v4, v20, s[12:13]
	v_cmp_gt_u32_e64 s[12:13], 8, v6
	v_cndmask_b32_e64 v20, 0, 1, s[12:13]
	v_lshlrev_b32_e32 v20, 3, v20
	v_add_lshl_u32 v20, v20, v1, 2
	ds_bpermute_b32 v20, v20, v4
	v_cmp_lt_u32_e64 s[12:13], v21, v2
	s_waitcnt lgkmcnt(0)
	v_add_f32_e32 v20, v4, v20
	v_cndmask_b32_e64 v2, v4, v20, s[12:13]
	v_cndmask_b32_e32 v3, v3, v2, vcc
.LBB2_11:
	s_or_b64 exec, exec, s[14:15]
	s_mov_b32 s7, 0
	v_cmp_eq_u32_e64 s[12:13], 0, v0
	s_and_saveexec_b64 s[14:15], s[12:13]
	s_cbranch_execz .LBB2_13
; %bb.12:
	v_cvt_f32_i32_e32 v2, s37
	v_div_scale_f32 v4, s[16:17], v2, v2, v3
	v_rcp_f32_e32 v20, v4
	v_div_scale_f32 v21, vcc, v3, v2, v3
	s_mov_b32 s16, 0x800000
	v_fma_f32 v22, -v4, v20, 1.0
	v_fmac_f32_e32 v20, v22, v20
	v_mul_f32_e32 v22, v21, v20
	v_fma_f32 v23, -v4, v22, v21
	v_fmac_f32_e32 v22, v23, v20
	v_fma_f32 v4, -v4, v22, v21
	v_div_fmas_f32 v4, v4, v20, v22
	v_div_fixup_f32 v2, v4, v2, v3
	v_add_f32_e32 v2, s36, v2
	v_mul_f32_e32 v3, 0x4b800000, v2
	v_cmp_gt_f32_e32 vcc, s16, v2
	v_cndmask_b32_e32 v2, v2, v3, vcc
	v_rsq_f32_e32 v2, v2
	v_mul_f32_e32 v3, 0x45800000, v2
	v_cndmask_b32_e32 v2, v2, v3, vcc
	v_mov_b32_e32 v3, 0
	ds_write_b32 v3, v2 offset:264
.LBB2_13:
	s_or_b64 exec, exec, s[14:15]
	v_mov_b32_e32 v2, 0
	s_waitcnt lgkmcnt(0)
	s_barrier
	ds_read_b32 v4, v2 offset:264
	s_waitcnt lgkmcnt(0)
	s_barrier
	s_waitcnt lgkmcnt(0)
                                        ; implicit-def: $sgpr16
                                        ; implicit-def: $sgpr14_sgpr15
	s_and_saveexec_b64 s[18:19], s[2:3]
	s_xor_b64 s[2:3], exec, s[18:19]
; %bb.14:
	s_add_u32 s14, s4, 64
	s_addc_u32 s15, s5, 0
	s_mov_b32 s16, 0
; %bb.15:
	s_or_saveexec_b64 s[2:3], s[2:3]
	v_mov_b32_e32 v20, s16
	v_pk_mov_b32 v[2:3], s[14:15], s[14:15] op_sel:[0,1]
	s_mul_hi_u32 s39, s37, s6
	s_mul_i32 s34, s37, s6
	s_mul_hi_u32 s33, s38, s6
	s_mul_i32 s42, s38, s6
	s_xor_b64 exec, exec, s[2:3]
	s_cbranch_execz .LBB2_19
; %bb.16:
	s_ashr_i32 s14, s37, 31
	s_mul_i32 s14, s14, s6
	s_add_i32 s35, s39, s14
	s_ashr_i32 s14, s38, 31
	s_mul_i32 s14, s14, s6
	s_add_i32 s43, s33, s14
	s_lshl_b64 s[14:15], s[42:43], 2
	s_add_u32 s18, s28, s14
	s_load_dword s16, s[4:5], 0x4c
	s_addc_u32 s21, s29, s15
	s_lshl_b64 s[14:15], s[34:35], 2
	s_add_u32 s19, s40, s14
	s_addc_u32 s35, s41, s15
	s_add_u32 s14, s4, 64
	s_addc_u32 s15, s5, 0
	s_waitcnt lgkmcnt(0)
	s_and_b32 s20, s16, 0xffff
	s_mov_b64 s[16:17], 0
	v_mov_b32_e32 v3, 0
	v_mov_b32_e32 v21, s21
	;; [unrolled: 1-line block ×6, first 2 shown]
.LBB2_17:                               ; =>This Inner Loop Header: Depth=1
	v_lshlrev_b64 v[24:25], 2, v[2:3]
	v_add_co_u32_e32 v26, vcc, s18, v24
	v_addc_co_u32_e32 v27, vcc, v21, v25, vcc
	v_add_co_u32_e32 v28, vcc, s19, v24
	v_addc_co_u32_e32 v29, vcc, v22, v25, vcc
	v_add_co_u32_e32 v24, vcc, s30, v24
	global_load_dword v30, v[26:27], off
	global_load_dword v31, v[28:29], off
	v_addc_co_u32_e32 v25, vcc, v23, v25, vcc
	global_load_dword v24, v[24:25], off
	v_add_u32_e32 v2, s20, v2
	v_max_f32_e32 v20, v20, v20
	v_cmp_le_u32_e32 vcc, s37, v2
	s_or_b64 s[16:17], vcc, s[16:17]
	s_waitcnt vmcnt(1)
	v_add_f32_e32 v25, v30, v31
	v_mul_f32_e32 v25, v4, v25
	s_waitcnt vmcnt(0)
	v_mul_f32_e32 v24, v24, v25
	v_max_f32_e64 v20, v20, |v24|
	s_andn2_b64 exec, exec, s[16:17]
	s_cbranch_execnz .LBB2_17
; %bb.18:
	s_or_b64 exec, exec, s[16:17]
	v_pk_mov_b32 v[2:3], s[14:15], s[14:15] op_sel:[0,1]
.LBB2_19:
	s_or_b64 exec, exec, s[2:3]
	global_load_dword v21, v[2:3], off
	s_waitcnt vmcnt(0)
	v_cmp_lt_u32_e32 vcc, s6, v21
	v_cndmask_b32_e64 v21, 18, 12, vcc
	v_add_co_u32_e32 v2, vcc, v2, v21
	v_addc_co_u32_e32 v3, vcc, 0, v3, vcc
	global_load_ushort v2, v[2:3], off
	ds_bpermute_b32 v3, v14, v20
	s_waitcnt lgkmcnt(0)
	v_cmp_lt_f32_e32 vcc, v20, v3
	v_cndmask_b32_e32 v3, v20, v3, vcc
	s_waitcnt vmcnt(0)
	v_sub_u32_e64 v5, v2, v5 clamp
	v_cmp_lt_u32_e32 vcc, v7, v5
	v_cndmask_b32_e32 v3, v20, v3, vcc
	ds_bpermute_b32 v7, v13, v3
	v_cmp_lt_u32_e64 s[18:19], v19, v5
	s_waitcnt lgkmcnt(0)
	v_cmp_lt_f32_e64 s[2:3], v3, v7
	v_cndmask_b32_e64 v7, v3, v7, s[2:3]
	v_cmp_lt_u32_e64 s[2:3], v8, v5
	v_cndmask_b32_e64 v3, v3, v7, s[2:3]
	ds_bpermute_b32 v7, v15, v3
	s_or_b64 s[2:3], vcc, s[2:3]
	s_waitcnt lgkmcnt(0)
	v_cmp_lt_f32_e64 s[14:15], v3, v7
	v_cndmask_b32_e64 v7, v3, v7, s[14:15]
	v_cmp_lt_u32_e64 s[14:15], v10, v5
	v_cndmask_b32_e64 v3, v3, v7, s[14:15]
	ds_bpermute_b32 v7, v16, v3
	s_or_b64 s[2:3], s[14:15], s[2:3]
	s_waitcnt lgkmcnt(0)
	v_cmp_lt_f32_e64 s[16:17], v3, v7
	v_cndmask_b32_e64 v7, v3, v7, s[16:17]
	v_cmp_lt_u32_e64 s[16:17], v11, v5
	v_cndmask_b32_e64 v3, v3, v7, s[16:17]
	ds_bpermute_b32 v7, v18, v3
	s_or_b64 s[2:3], s[16:17], s[2:3]
	;; [unrolled: 7-line block ×3, first 2 shown]
	s_waitcnt lgkmcnt(0)
	v_cmp_lt_f32_e32 vcc, v3, v5
	s_and_b64 vcc, s[18:19], vcc
	v_cndmask_b32_e32 v3, v3, v5, vcc
	s_or_b64 vcc, s[18:19], s[2:3]
	v_cndmask_b32_e32 v3, v20, v3, vcc
	s_and_saveexec_b64 s[2:3], s[8:9]
	s_cbranch_execz .LBB2_21
; %bb.20:
	v_lshrrev_b32_e32 v5, 4, v0
	v_and_b32_e32 v5, 60, v5
	ds_write_b32 v5, v3 offset:192
.LBB2_21:
	s_or_b64 exec, exec, s[2:3]
	s_waitcnt lgkmcnt(0)
	s_barrier
	s_and_saveexec_b64 s[14:15], s[10:11]
	s_cbranch_execz .LBB2_23
; %bb.22:
	ds_read_b32 v3, v12 offset:192
	v_cmp_ne_u32_e32 vcc, 15, v6
	v_addc_co_u32_e32 v5, vcc, 0, v1, vcc
	v_lshlrev_b32_e32 v5, 2, v5
	s_waitcnt lgkmcnt(0)
	ds_bpermute_b32 v5, v5, v3
	v_add_u32_e32 v2, 63, v2
	v_add_u32_e32 v7, 1, v6
	v_lshrrev_b32_e32 v2, 6, v2
	v_cmp_gt_u32_e64 s[2:3], 14, v6
	s_waitcnt lgkmcnt(0)
	v_cmp_lt_f32_e32 vcc, v3, v5
	v_cndmask_b32_e32 v5, v3, v5, vcc
	v_cmp_lt_u32_e32 vcc, v7, v2
	v_cndmask_b32_e64 v7, 0, 1, s[2:3]
	v_lshlrev_b32_e32 v7, 1, v7
	v_cndmask_b32_e32 v5, v3, v5, vcc
	v_add_lshl_u32 v7, v7, v1, 2
	ds_bpermute_b32 v7, v7, v5
	v_add_u32_e32 v8, 2, v6
	s_waitcnt lgkmcnt(0)
	v_cmp_lt_f32_e64 s[2:3], v5, v7
	v_cndmask_b32_e64 v7, v5, v7, s[2:3]
	v_cmp_lt_u32_e64 s[2:3], v8, v2
	v_cndmask_b32_e64 v5, v5, v7, s[2:3]
	v_cmp_gt_u32_e64 s[2:3], 12, v6
	v_cndmask_b32_e64 v7, 0, 1, s[2:3]
	v_lshlrev_b32_e32 v7, 2, v7
	v_add_lshl_u32 v7, v7, v1, 2
	ds_bpermute_b32 v7, v7, v5
	v_add_u32_e32 v8, 4, v6
	s_waitcnt lgkmcnt(0)
	v_cmp_lt_f32_e64 s[2:3], v5, v7
	v_cndmask_b32_e64 v7, v5, v7, s[2:3]
	v_cmp_lt_u32_e64 s[2:3], v8, v2
	v_cndmask_b32_e64 v5, v5, v7, s[2:3]
	v_cmp_gt_u32_e64 s[2:3], 8, v6
	v_cndmask_b32_e64 v7, 0, 1, s[2:3]
	v_lshlrev_b32_e32 v7, 3, v7
	v_add_lshl_u32 v1, v7, v1, 2
	ds_bpermute_b32 v1, v1, v5
	v_add_u32_e32 v6, 8, v6
	v_cmp_lt_u32_e64 s[2:3], v6, v2
	s_waitcnt lgkmcnt(0)
	v_cmp_lt_f32_e64 s[8:9], v5, v1
	s_and_b64 s[2:3], s[2:3], s[8:9]
	v_cndmask_b32_e64 v1, v5, v1, s[2:3]
	v_cndmask_b32_e32 v3, v3, v1, vcc
.LBB2_23:
	s_or_b64 exec, exec, s[14:15]
	s_and_saveexec_b64 s[2:3], s[12:13]
	s_cbranch_execz .LBB2_27
; %bb.24:
	s_cmp_eq_u64 s[22:23], 0
	s_cbranch_scc1 .LBB2_26
; %bb.25:
	s_load_dword s8, s[22:23], 0x0
	v_max_f32_e32 v1, v3, v3
	s_waitcnt lgkmcnt(0)
	v_max_f32_e64 v2, s8, s8
	v_min_f32_e32 v3, v1, v2
.LBB2_26:
	s_mov_b32 s10, 0x42fe0000
	v_div_scale_f32 v1, s[8:9], s10, s10, v3
	v_rcp_f32_e32 v2, v1
	v_div_scale_f32 v5, vcc, v3, s10, v3
	s_lshl_b64 s[8:9], s[6:7], 2
	v_fma_f32 v6, -v1, v2, 1.0
	v_fmac_f32_e32 v2, v6, v2
	v_mul_f32_e32 v6, v5, v2
	v_fma_f32 v7, -v1, v6, v5
	v_fmac_f32_e32 v6, v7, v2
	v_fma_f32 v1, -v1, v6, v5
	v_div_fmas_f32 v1, v1, v2, v6
	v_div_fixup_f32 v1, v1, s10, v3
	s_add_u32 s8, s26, s8
	v_max_f32_e32 v1, 0x34000000, v1
	v_mov_b32_e32 v2, 0
	s_addc_u32 s9, s27, s9
	ds_write_b32 v2, v1 offset:268
	global_store_dword v2, v1, s[8:9]
.LBB2_27:
	s_or_b64 exec, exec, s[2:3]
	s_waitcnt lgkmcnt(0)
	s_barrier
	s_and_saveexec_b64 s[2:3], s[0:1]
	s_cbranch_execz .LBB2_30
; %bb.28:
	v_mov_b32_e32 v3, 0
	ds_read_b32 v1, v3 offset:268
	s_ashr_i32 s0, s37, 31
	s_mul_i32 s7, s0, s6
	s_load_dword s8, s[4:5], 0x4c
	s_add_i32 s9, s39, s7
	s_waitcnt lgkmcnt(0)
	v_div_scale_f32 v2, s[0:1], v1, v1, 1.0
	v_rcp_f32_e32 v5, v2
	v_div_scale_f32 v6, vcc, 1.0, v1, 1.0
	s_ashr_i32 s0, s38, 31
	v_fma_f32 v7, -v2, v5, 1.0
	v_fmac_f32_e32 v5, v7, v5
	v_mul_f32_e32 v7, v6, v5
	s_mul_i32 s0, s0, s6
	v_fma_f32 v8, -v2, v7, v6
	s_add_i32 s43, s33, s0
	v_fmac_f32_e32 v7, v8, v5
	s_lshl_b64 s[0:1], s[42:43], 2
	v_fma_f32 v2, -v2, v7, v6
	s_add_u32 s7, s28, s0
	v_div_fmas_f32 v2, v2, v5, v7
	s_addc_u32 s10, s29, s1
	v_div_fixup_f32 v1, v2, v1, 1.0
	s_and_b32 s8, s8, 0xffff
	s_mov_b64 s[0:1], 0
	v_mov_b32_e32 v5, s10
	v_mov_b32_e32 v6, s9
	;; [unrolled: 1-line block ×4, first 2 shown]
	s_mov_b32 s9, 0x42fe0000
	v_mov_b32_e32 v9, 0x42fe0000
	s_mov_b32 s10, 0xc3000000
	v_mov_b32_e32 v10, 0xc3000000
	v_mov_b32_e32 v11, s25
	;; [unrolled: 1-line block ×3, first 2 shown]
.LBB2_29:                               ; =>This Inner Loop Header: Depth=1
	v_add_co_u32_e32 v14, vcc, s34, v2
	v_lshlrev_b64 v[12:13], 2, v[2:3]
	v_addc_co_u32_e32 v15, vcc, 0, v6, vcc
	v_add_co_u32_e32 v16, vcc, s7, v12
	v_addc_co_u32_e32 v17, vcc, v5, v13, vcc
	v_add_co_u32_e32 v12, vcc, s30, v12
	v_lshlrev_b64 v[18:19], 2, v[14:15]
	v_addc_co_u32_e32 v13, vcc, v8, v13, vcc
	global_load_dword v20, v[16:17], off
	v_add_co_u32_e32 v16, vcc, s40, v18
	v_addc_co_u32_e32 v17, vcc, v7, v19, vcc
	global_load_dword v18, v[16:17], off
	global_load_dword v19, v[12:13], off
	v_add_co_u32_e32 v12, vcc, s24, v14
	v_addc_co_u32_e32 v13, vcc, v11, v15, vcc
	v_add_u32_e32 v2, s8, v2
	s_waitcnt vmcnt(1)
	v_add_f32_e32 v14, v20, v18
	v_mul_f32_e32 v15, v4, v14
	s_waitcnt vmcnt(0)
	v_mul_f32_e32 v15, v15, v19
	v_mul_f32_e32 v15, v1, v15
	v_rndne_f32_e32 v15, v15
	v_cmp_nlt_f32_e32 vcc, s9, v15
	v_cndmask_b32_e32 v18, v9, v15, vcc
	v_cmp_ngt_f32_e32 vcc, s10, v15
	v_cndmask_b32_e32 v15, v10, v18, vcc
	v_cvt_i32_f32_e32 v15, v15
	v_cmp_le_u32_e32 vcc, s37, v2
	s_or_b64 s[0:1], vcc, s[0:1]
	global_store_dword v[16:17], v14, off
	global_store_byte v[12:13], v15, off
	s_andn2_b64 exec, exec, s[0:1]
	s_cbranch_execnz .LBB2_29
.LBB2_30:
	s_or_b64 exec, exec, s[2:3]
	s_branch .LBB2_75
.LBB2_31:
	s_cbranch_execz .LBB2_75
; %bb.32:
	s_ashr_i32 s0, s38, 31
	s_mul_hi_u32 s1, s38, s6
	s_mul_i32 s0, s0, s6
	s_ashr_i32 s2, s37, 31
	s_add_i32 s1, s1, s0
	s_mul_i32 s0, s38, s6
	s_mul_hi_u32 s3, s37, s6
	s_mul_i32 s2, s2, s6
	s_add_i32 s35, s3, s2
	s_lshl_b64 s[0:1], s[0:1], 2
	s_mul_i32 s34, s37, s6
	s_add_u32 s33, s28, s0
	s_addc_u32 s48, s29, s1
	s_lshl_b64 s[0:1], s[34:35], 2
	s_load_dword s18, s[4:5], 0x40
	s_add_u32 s49, s40, s0
	s_addc_u32 s50, s41, s1
	s_ashr_i32 s51, s37, 2
	s_add_u32 s19, s4, 64
	s_mov_b32 s7, 0
	v_cmp_gt_u32_e64 s[0:1], s51, v0
	s_addc_u32 s20, s5, 0
	v_mov_b32_e32 v8, 0
	s_and_saveexec_b64 s[2:3], s[0:1]
	s_cbranch_execz .LBB2_42
; %bb.33:
	s_waitcnt lgkmcnt(0)
	s_cmp_lt_u32 s6, s18
	s_cselect_b32 s4, 12, 18
	s_add_u32 s4, s19, s4
	s_addc_u32 s5, s20, 0
	v_mov_b32_e32 v3, 0
	global_load_ushort v1, v3, s[4:5]
	s_mov_b64 s[4:5], 0
	v_mov_b32_e32 v9, s48
	v_mov_b32_e32 v10, s50
	v_mov_b32_e32 v2, v0
	v_mov_b32_e32 v8, v3
                                        ; implicit-def: $sgpr8_sgpr9
	s_waitcnt vmcnt(0)
	v_mul_lo_u32 v11, v1, 3
	v_lshlrev_b32_e32 v12, 1, v1
	s_branch .LBB2_37
.LBB2_34:                               ;   in Loop: Header=BB2_37 Depth=1
	s_or_b64 exec, exec, s[14:15]
	s_orn2_b64 s[14:15], s[16:17], exec
.LBB2_35:                               ;   in Loop: Header=BB2_37 Depth=1
	s_or_b64 exec, exec, s[12:13]
	s_andn2_b64 s[8:9], s[8:9], exec
	s_and_b64 s[12:13], s[14:15], exec
	s_or_b64 s[8:9], s[8:9], s[12:13]
.LBB2_36:                               ;   in Loop: Header=BB2_37 Depth=1
	s_or_b64 exec, exec, s[10:11]
	s_and_b64 s[10:11], exec, s[8:9]
	s_or_b64 s[4:5], s[10:11], s[4:5]
	s_andn2_b64 exec, exec, s[4:5]
	s_cbranch_execz .LBB2_41
.LBB2_37:                               ; =>This Inner Loop Header: Depth=1
	v_lshlrev_b64 v[4:5], 4, v[2:3]
	v_add_co_u32_e32 v6, vcc, s33, v4
	v_addc_co_u32_e32 v7, vcc, v9, v5, vcc
	v_add_co_u32_e32 v4, vcc, s49, v4
	v_addc_co_u32_e32 v5, vcc, v10, v5, vcc
	global_load_dwordx4 v[14:17], v[6:7], off
	global_load_dwordx4 v[18:21], v[4:5], off
	v_add_u32_e32 v4, v2, v1
	v_cmp_gt_u32_e32 vcc, s51, v4
	s_or_b64 s[8:9], s[8:9], exec
	s_waitcnt vmcnt(0)
	v_pk_add_f32 v[6:7], v[14:15], v[18:19]
	v_pk_mul_f32 v[6:7], v[6:7], v[6:7]
	v_pk_add_f32 v[14:15], v[16:17], v[20:21]
	v_add_f32_e32 v5, v8, v6
	v_pk_mul_f32 v[14:15], v[14:15], v[14:15]
	v_add_f32_e32 v5, v5, v7
	v_add_f32_e32 v5, v5, v14
	;; [unrolled: 1-line block ×3, first 2 shown]
	s_and_saveexec_b64 s[10:11], vcc
	s_cbranch_execz .LBB2_36
; %bb.38:                               ;   in Loop: Header=BB2_37 Depth=1
	v_mov_b32_e32 v5, v3
	v_lshlrev_b64 v[6:7], 4, v[4:5]
	v_add_co_u32_e32 v22, vcc, s33, v6
	v_addc_co_u32_e32 v23, vcc, v9, v7, vcc
	v_add_co_u32_e32 v6, vcc, s49, v6
	v_addc_co_u32_e32 v7, vcc, v10, v7, vcc
	global_load_dwordx4 v[14:17], v[22:23], off
	global_load_dwordx4 v[18:21], v[6:7], off
	v_add_u32_e32 v6, v12, v2
	v_cmp_gt_u32_e32 vcc, s51, v6
	s_mov_b64 s[14:15], -1
	s_waitcnt vmcnt(0)
	v_pk_add_f32 v[14:15], v[14:15], v[18:19]
	v_pk_mul_f32 v[14:15], v[14:15], v[14:15]
	v_pk_add_f32 v[16:17], v[16:17], v[20:21]
	v_add_f32_e32 v5, v8, v14
	v_pk_mul_f32 v[16:17], v[16:17], v[16:17]
	v_add_f32_e32 v5, v5, v15
	v_add_f32_e32 v5, v5, v16
	;; [unrolled: 1-line block ×3, first 2 shown]
	s_and_saveexec_b64 s[12:13], vcc
	s_cbranch_execz .LBB2_35
; %bb.39:                               ;   in Loop: Header=BB2_37 Depth=1
	v_mov_b32_e32 v7, v3
	v_lshlrev_b64 v[6:7], 4, v[6:7]
	v_add_co_u32_e32 v22, vcc, s33, v6
	v_addc_co_u32_e32 v23, vcc, v9, v7, vcc
	v_add_co_u32_e32 v6, vcc, s49, v6
	v_addc_co_u32_e32 v7, vcc, v10, v7, vcc
	global_load_dwordx4 v[14:17], v[22:23], off
	global_load_dwordx4 v[18:21], v[6:7], off
	v_add_u32_e32 v2, v11, v2
	v_cmp_gt_u32_e32 vcc, s51, v2
	s_mov_b64 s[16:17], -1
	s_waitcnt vmcnt(0)
	v_pk_add_f32 v[6:7], v[14:15], v[18:19]
	v_pk_mul_f32 v[6:7], v[6:7], v[6:7]
	v_pk_add_f32 v[14:15], v[16:17], v[20:21]
	v_add_f32_e32 v5, v8, v6
	v_pk_mul_f32 v[14:15], v[14:15], v[14:15]
	v_add_f32_e32 v5, v5, v7
	v_add_f32_e32 v5, v5, v14
	;; [unrolled: 1-line block ×3, first 2 shown]
	s_and_saveexec_b64 s[14:15], vcc
	s_xor_b64 s[14:15], exec, s[14:15]
	s_cbranch_execz .LBB2_34
; %bb.40:                               ;   in Loop: Header=BB2_37 Depth=1
	v_lshlrev_b64 v[6:7], 4, v[2:3]
	v_mov_b32_e32 v2, s48
	v_add_co_u32_e32 v22, vcc, s33, v6
	v_addc_co_u32_e32 v23, vcc, v2, v7, vcc
	v_mov_b32_e32 v2, s50
	v_add_co_u32_e32 v6, vcc, s49, v6
	v_addc_co_u32_e32 v7, vcc, v2, v7, vcc
	global_load_dwordx4 v[14:17], v[22:23], off
	global_load_dwordx4 v[18:21], v[6:7], off
	v_add_u32_e32 v2, v1, v1
	v_add_u32_e32 v2, v2, v1
	;; [unrolled: 1-line block ×3, first 2 shown]
	v_cmp_le_u32_e32 vcc, s51, v2
	s_orn2_b64 s[16:17], vcc, exec
	s_waitcnt vmcnt(0)
	v_pk_add_f32 v[4:5], v[14:15], v[18:19]
	v_pk_mul_f32 v[4:5], v[4:5], v[4:5]
	v_pk_add_f32 v[6:7], v[16:17], v[20:21]
	v_add_f32_e32 v4, v8, v4
	v_pk_mul_f32 v[6:7], v[6:7], v[6:7]
	v_add_f32_e32 v4, v4, v5
	v_add_f32_e32 v4, v4, v6
	;; [unrolled: 1-line block ×3, first 2 shown]
	s_branch .LBB2_34
.LBB2_41:
	s_or_b64 exec, exec, s[4:5]
.LBB2_42:
	s_or_b64 exec, exec, s[2:3]
	s_waitcnt lgkmcnt(0)
	s_cmp_lt_u32 s6, s18
	s_cselect_b32 s2, 12, 18
	s_add_u32 s2, s19, s2
	s_addc_u32 s3, s20, 0
	v_mov_b32_e32 v1, 0
	global_load_ushort v2, v1, s[2:3]
	v_mbcnt_lo_u32_b32 v1, -1, 0
	v_mbcnt_hi_u32_b32 v1, -1, v1
	v_and_b32_e32 v4, 63, v1
	v_cmp_ne_u32_e32 vcc, 63, v4
	v_addc_co_u32_e32 v9, vcc, 0, v1, vcc
	v_lshlrev_b32_e32 v9, 2, v9
	ds_bpermute_b32 v11, v9, v8
	v_and_b32_e32 v3, 0x3c0, v0
	v_cmp_gt_u32_e32 vcc, 62, v4
	v_add_u32_e32 v5, 1, v1
	v_cndmask_b32_e64 v10, 0, 1, vcc
	v_lshlrev_b32_e32 v10, 1, v10
	s_waitcnt lgkmcnt(0)
	v_add_f32_e32 v11, v8, v11
	v_add_lshl_u32 v10, v10, v1, 2
	v_cmp_gt_u32_e32 vcc, 60, v4
	v_add_u32_e32 v6, 2, v1
	v_add_u32_e32 v7, 4, v1
	;; [unrolled: 1-line block ×4, first 2 shown]
	v_cmp_eq_u32_e64 s[14:15], 0, v1
	s_waitcnt vmcnt(0)
	v_sub_u32_e64 v3, v2, v3 clamp
	v_cmp_lt_u32_e64 s[2:3], v5, v3
	v_cndmask_b32_e64 v5, v8, v11, s[2:3]
	ds_bpermute_b32 v8, v10, v5
	v_cndmask_b32_e64 v11, 0, 1, vcc
	v_lshlrev_b32_e32 v11, 2, v11
	v_cmp_lt_u32_e64 s[4:5], v6, v3
	v_add_lshl_u32 v11, v11, v1, 2
	s_waitcnt lgkmcnt(0)
	v_add_f32_e32 v8, v5, v8
	v_cndmask_b32_e64 v5, v5, v8, s[4:5]
	ds_bpermute_b32 v6, v11, v5
	v_cmp_gt_u32_e32 vcc, 56, v4
	v_cndmask_b32_e64 v8, 0, 1, vcc
	v_lshlrev_b32_e32 v8, 3, v8
	v_cmp_lt_u32_e64 s[8:9], v7, v3
	s_waitcnt lgkmcnt(0)
	v_add_f32_e32 v6, v5, v6
	v_add_lshl_u32 v12, v8, v1, 2
	v_cndmask_b32_e64 v5, v5, v6, s[8:9]
	ds_bpermute_b32 v6, v12, v5
	v_cmp_gt_u32_e32 vcc, 48, v4
	v_cndmask_b32_e64 v7, 0, 1, vcc
	v_lshlrev_b32_e32 v7, 4, v7
	v_cmp_lt_u32_e64 s[10:11], v14, v3
	s_waitcnt lgkmcnt(0)
	v_add_f32_e32 v6, v5, v6
	v_add_lshl_u32 v13, v7, v1, 2
	v_cndmask_b32_e64 v5, v5, v6, s[10:11]
	ds_bpermute_b32 v6, v13, v5
	v_cmp_gt_u32_e32 vcc, 32, v4
	v_cndmask_b32_e64 v4, 0, 1, vcc
	v_lshlrev_b32_e32 v4, 5, v4
	v_add_lshl_u32 v14, v4, v1, 2
	s_waitcnt lgkmcnt(0)
	v_add_f32_e32 v4, v5, v6
	v_cmp_lt_u32_e64 s[12:13], v15, v3
	v_cndmask_b32_e64 v4, v5, v4, s[12:13]
	ds_bpermute_b32 v5, v14, v4
	v_add_u32_e32 v6, 32, v1
	v_readfirstlane_b32 s52, v2
	v_cmp_lt_u32_e64 s[20:21], v6, v3
	s_waitcnt lgkmcnt(0)
	v_add_f32_e32 v2, v4, v5
	v_cndmask_b32_e64 v2, v4, v2, s[20:21]
	s_and_saveexec_b64 s[16:17], s[14:15]
	s_cbranch_execz .LBB2_44
; %bb.43:
	v_lshrrev_b32_e32 v3, 4, v0
	v_and_b32_e32 v3, 60, v3
	ds_write_b32 v3, v2
.LBB2_44:
	s_or_b64 exec, exec, s[16:17]
	v_cmp_gt_u32_e64 s[16:17], 16, v0
	s_waitcnt lgkmcnt(0)
	s_barrier
	s_and_saveexec_b64 s[28:29], s[16:17]
	s_cbranch_execz .LBB2_46
; %bb.45:
	v_lshlrev_b32_e32 v2, 2, v1
	ds_read_b32 v2, v2
	v_and_b32_e32 v3, 15, v1
	v_cmp_ne_u32_e32 vcc, 15, v3
	v_addc_co_u32_e32 v4, vcc, 0, v1, vcc
	v_lshlrev_b32_e32 v4, 2, v4
	s_waitcnt lgkmcnt(0)
	ds_bpermute_b32 v4, v4, v2
	s_add_i32 s18, s52, 63
	s_lshr_b32 s38, s18, 6
	v_add_u32_e32 v5, 1, v3
	v_cmp_gt_u32_e64 s[18:19], 14, v3
	v_cmp_gt_u32_e32 vcc, s38, v5
	v_cndmask_b32_e64 v5, 0, 1, s[18:19]
	s_waitcnt lgkmcnt(0)
	v_add_f32_e32 v4, v2, v4
	v_lshlrev_b32_e32 v5, 1, v5
	v_cndmask_b32_e32 v4, v2, v4, vcc
	v_add_lshl_u32 v5, v5, v1, 2
	ds_bpermute_b32 v5, v5, v4
	v_add_u32_e32 v6, 2, v3
	v_cmp_gt_u32_e64 s[18:19], s38, v6
	v_add_u32_e32 v6, 4, v3
	s_waitcnt lgkmcnt(0)
	v_add_f32_e32 v5, v4, v5
	v_cndmask_b32_e64 v4, v4, v5, s[18:19]
	v_cmp_gt_u32_e64 s[18:19], 12, v3
	v_cndmask_b32_e64 v5, 0, 1, s[18:19]
	v_lshlrev_b32_e32 v5, 2, v5
	v_add_lshl_u32 v5, v5, v1, 2
	ds_bpermute_b32 v5, v5, v4
	v_cmp_gt_u32_e64 s[18:19], s38, v6
	s_waitcnt lgkmcnt(0)
	v_add_f32_e32 v5, v4, v5
	v_cndmask_b32_e64 v4, v4, v5, s[18:19]
	v_cmp_gt_u32_e64 s[18:19], 8, v3
	v_cndmask_b32_e64 v5, 0, 1, s[18:19]
	v_lshlrev_b32_e32 v5, 3, v5
	v_add_lshl_u32 v5, v5, v1, 2
	ds_bpermute_b32 v5, v5, v4
	v_add_u32_e32 v3, 8, v3
	v_cmp_gt_u32_e64 s[18:19], s38, v3
	s_waitcnt lgkmcnt(0)
	v_add_f32_e32 v5, v4, v5
	v_cndmask_b32_e64 v3, v4, v5, s[18:19]
	v_cndmask_b32_e32 v2, v2, v3, vcc
.LBB2_46:
	s_or_b64 exec, exec, s[28:29]
	v_cmp_eq_u32_e64 s[18:19], 0, v0
	s_and_saveexec_b64 s[28:29], s[18:19]
	s_cbranch_execz .LBB2_48
; %bb.47:
	v_cvt_f32_i32_e32 v3, s37
	s_mov_b32 s37, 0x800000
	v_div_scale_f32 v4, s[38:39], v3, v3, v2
	v_rcp_f32_e32 v5, v4
	v_div_scale_f32 v6, vcc, v2, v3, v2
	v_fma_f32 v7, -v4, v5, 1.0
	v_fmac_f32_e32 v5, v7, v5
	v_mul_f32_e32 v7, v6, v5
	v_fma_f32 v8, -v4, v7, v6
	v_fmac_f32_e32 v7, v8, v5
	v_fma_f32 v4, -v4, v7, v6
	v_div_fmas_f32 v4, v4, v5, v7
	v_div_fixup_f32 v2, v4, v3, v2
	v_add_f32_e32 v2, s36, v2
	v_mul_f32_e32 v3, 0x4b800000, v2
	v_cmp_gt_f32_e32 vcc, s37, v2
	v_cndmask_b32_e32 v2, v2, v3, vcc
	v_rsq_f32_e32 v2, v2
	v_mul_f32_e32 v3, 0x45800000, v2
	v_cndmask_b32_e32 v2, v2, v3, vcc
	v_mov_b32_e32 v3, 0
	ds_write_b32 v3, v2 offset:256
.LBB2_48:
	s_or_b64 exec, exec, s[28:29]
	v_mov_b32_e32 v15, 0
	s_waitcnt lgkmcnt(0)
	s_barrier
	ds_read_b32 v8, v15 offset:256
	s_and_saveexec_b64 s[28:29], s[0:1]
	s_cbranch_execz .LBB2_58
; %bb.49:
	v_mov_b32_e32 v3, 0
	s_add_i32 s55, s52, s52
	s_mul_i32 s53, s52, 3
	s_lshl_b32 s54, s52, 1
	s_mov_b64 s[36:37], 0
	v_mov_b32_e32 v16, s48
	v_mov_b32_e32 v17, s31
	;; [unrolled: 1-line block ×3, first 2 shown]
	s_add_i32 s55, s55, s52
	v_mov_b32_e32 v2, v0
	v_mov_b32_e32 v15, v3
                                        ; implicit-def: $sgpr38_sgpr39
	s_branch .LBB2_53
.LBB2_50:                               ;   in Loop: Header=BB2_53 Depth=1
	s_or_b64 exec, exec, s[44:45]
	s_orn2_b64 s[44:45], s[46:47], exec
.LBB2_51:                               ;   in Loop: Header=BB2_53 Depth=1
	s_or_b64 exec, exec, s[42:43]
	s_andn2_b64 s[38:39], s[38:39], exec
	s_and_b64 s[42:43], s[44:45], exec
	s_or_b64 s[38:39], s[38:39], s[42:43]
.LBB2_52:                               ;   in Loop: Header=BB2_53 Depth=1
	s_or_b64 exec, exec, s[40:41]
	s_and_b64 s[40:41], exec, s[38:39]
	s_or_b64 s[36:37], s[40:41], s[36:37]
	s_andn2_b64 exec, exec, s[36:37]
	s_cbranch_execz .LBB2_57
.LBB2_53:                               ; =>This Inner Loop Header: Depth=1
	v_lshlrev_b64 v[4:5], 4, v[2:3]
	v_add_co_u32_e32 v6, vcc, s33, v4
	v_addc_co_u32_e32 v7, vcc, v16, v5, vcc
	global_load_dwordx4 v[20:23], v[6:7], off
	v_add_co_u32_e32 v6, vcc, s49, v4
	v_addc_co_u32_e32 v7, vcc, v18, v5, vcc
	global_load_dwordx4 v[24:27], v[6:7], off
	;; [unrolled: 3-line block ×3, first 2 shown]
	v_add_u32_e32 v4, s52, v2
	v_cmp_gt_u32_e32 vcc, s51, v4
	s_or_b64 s[38:39], s[38:39], exec
	s_waitcnt vmcnt(1)
	v_add_f32_e32 v5, v20, v24
	v_add_f32_e32 v6, v21, v25
	;; [unrolled: 1-line block ×4, first 2 shown]
	s_waitcnt lgkmcnt(0)
	v_mul_f32_e32 v5, v8, v5
	v_mul_f32_e32 v6, v8, v6
	;; [unrolled: 1-line block ×4, first 2 shown]
	s_waitcnt vmcnt(0)
	v_mul_f32_e32 v5, v28, v5
	v_mul_f32_e32 v6, v29, v6
	;; [unrolled: 1-line block ×4, first 2 shown]
	v_max3_f32 v5, v15, |v5|, |v6|
	v_max3_f32 v15, v5, |v7|, |v19|
	s_and_saveexec_b64 s[40:41], vcc
	s_cbranch_execz .LBB2_52
; %bb.54:                               ;   in Loop: Header=BB2_53 Depth=1
	v_mov_b32_e32 v5, v3
	v_lshlrev_b64 v[6:7], 4, v[4:5]
	v_add_co_u32_e32 v20, vcc, s33, v6
	v_addc_co_u32_e32 v21, vcc, v16, v7, vcc
	v_add_co_u32_e32 v24, vcc, s49, v6
	v_addc_co_u32_e32 v25, vcc, v18, v7, vcc
	global_load_dwordx4 v[20:23], v[20:21], off
	v_add_co_u32_e32 v6, vcc, s30, v6
	global_load_dwordx4 v[24:27], v[24:25], off
	v_addc_co_u32_e32 v7, vcc, v17, v7, vcc
	global_load_dwordx4 v[28:31], v[6:7], off
	v_add_u32_e32 v6, s54, v2
	v_cmp_gt_u32_e32 vcc, s51, v6
	s_mov_b64 s[44:45], -1
	s_waitcnt vmcnt(1)
	v_add_f32_e32 v5, v20, v24
	v_add_f32_e32 v7, v21, v25
	;; [unrolled: 1-line block ×4, first 2 shown]
	v_mul_f32_e32 v5, v8, v5
	v_mul_f32_e32 v7, v8, v7
	v_mul_f32_e32 v19, v8, v19
	v_mul_f32_e32 v20, v8, v20
	s_waitcnt vmcnt(0)
	v_mul_f32_e32 v5, v28, v5
	v_mul_f32_e32 v7, v29, v7
	v_mul_f32_e32 v19, v30, v19
	v_mul_f32_e32 v20, v31, v20
	v_max3_f32 v5, v15, |v5|, |v7|
	v_max3_f32 v15, v5, |v19|, |v20|
	s_and_saveexec_b64 s[42:43], vcc
	s_cbranch_execz .LBB2_51
; %bb.55:                               ;   in Loop: Header=BB2_53 Depth=1
	v_mov_b32_e32 v7, v3
	v_lshlrev_b64 v[6:7], 4, v[6:7]
	v_add_co_u32_e32 v20, vcc, s33, v6
	v_addc_co_u32_e32 v21, vcc, v16, v7, vcc
	v_add_co_u32_e32 v24, vcc, s49, v6
	v_addc_co_u32_e32 v25, vcc, v18, v7, vcc
	global_load_dwordx4 v[20:23], v[20:21], off
	v_add_co_u32_e32 v6, vcc, s30, v6
	global_load_dwordx4 v[24:27], v[24:25], off
	v_addc_co_u32_e32 v7, vcc, v17, v7, vcc
	global_load_dwordx4 v[28:31], v[6:7], off
	v_add_u32_e32 v2, s53, v2
	v_cmp_gt_u32_e32 vcc, s51, v2
	s_mov_b64 s[46:47], -1
	s_waitcnt vmcnt(1)
	v_add_f32_e32 v5, v20, v24
	v_add_f32_e32 v6, v21, v25
	;; [unrolled: 1-line block ×4, first 2 shown]
	v_mul_f32_e32 v5, v8, v5
	v_mul_f32_e32 v6, v8, v6
	;; [unrolled: 1-line block ×4, first 2 shown]
	s_waitcnt vmcnt(0)
	v_mul_f32_e32 v5, v28, v5
	v_mul_f32_e32 v6, v29, v6
	;; [unrolled: 1-line block ×4, first 2 shown]
	v_max3_f32 v5, v15, |v5|, |v6|
	v_max3_f32 v15, v5, |v7|, |v19|
	s_and_saveexec_b64 s[44:45], vcc
	s_xor_b64 s[44:45], exec, s[44:45]
	s_cbranch_execz .LBB2_50
; %bb.56:                               ;   in Loop: Header=BB2_53 Depth=1
	v_lshlrev_b64 v[6:7], 4, v[2:3]
	v_mov_b32_e32 v2, s48
	v_add_co_u32_e32 v20, vcc, s33, v6
	v_addc_co_u32_e32 v21, vcc, v2, v7, vcc
	v_mov_b32_e32 v2, s50
	v_add_co_u32_e32 v24, vcc, s49, v6
	v_addc_co_u32_e32 v25, vcc, v2, v7, vcc
	global_load_dwordx4 v[20:23], v[20:21], off
	v_mov_b32_e32 v2, s31
	global_load_dwordx4 v[24:27], v[24:25], off
	v_add_co_u32_e32 v6, vcc, s30, v6
	v_addc_co_u32_e32 v7, vcc, v2, v7, vcc
	global_load_dwordx4 v[28:31], v[6:7], off
	v_add_u32_e32 v2, s55, v4
	v_cmp_le_u32_e32 vcc, s51, v2
	s_orn2_b64 s[46:47], vcc, exec
	s_waitcnt vmcnt(1)
	v_add_f32_e32 v4, v20, v24
	v_add_f32_e32 v5, v21, v25
	;; [unrolled: 1-line block ×4, first 2 shown]
	v_mul_f32_e32 v4, v8, v4
	v_mul_f32_e32 v5, v8, v5
	;; [unrolled: 1-line block ×4, first 2 shown]
	s_waitcnt vmcnt(0)
	v_mul_f32_e32 v4, v28, v4
	v_mul_f32_e32 v5, v29, v5
	;; [unrolled: 1-line block ×4, first 2 shown]
	v_max3_f32 v4, v15, |v4|, |v5|
	v_max3_f32 v15, v4, |v6|, |v7|
	s_branch .LBB2_50
.LBB2_57:
	s_or_b64 exec, exec, s[36:37]
.LBB2_58:
	s_or_b64 exec, exec, s[28:29]
	ds_bpermute_b32 v2, v9, v15
	s_waitcnt lgkmcnt(0)
	v_cmp_lt_f32_e32 vcc, v15, v2
	v_cndmask_b32_e32 v2, v15, v2, vcc
	v_cndmask_b32_e64 v2, v15, v2, s[2:3]
	ds_bpermute_b32 v3, v10, v2
	s_or_b64 s[2:3], s[2:3], s[4:5]
	s_or_b64 s[2:3], s[8:9], s[2:3]
	;; [unrolled: 1-line block ×4, first 2 shown]
	s_waitcnt lgkmcnt(0)
	v_cmp_lt_f32_e32 vcc, v2, v3
	v_cndmask_b32_e32 v3, v2, v3, vcc
	v_cndmask_b32_e64 v2, v2, v3, s[4:5]
	ds_bpermute_b32 v3, v11, v2
	s_waitcnt lgkmcnt(0)
	v_cmp_lt_f32_e32 vcc, v2, v3
	v_cndmask_b32_e32 v3, v2, v3, vcc
	v_cndmask_b32_e64 v2, v2, v3, s[8:9]
	ds_bpermute_b32 v3, v12, v2
	;; [unrolled: 5-line block ×4, first 2 shown]
	s_waitcnt lgkmcnt(0)
	v_cmp_lt_f32_e32 vcc, v2, v3
	s_and_b64 vcc, s[20:21], vcc
	v_cndmask_b32_e32 v2, v2, v3, vcc
	s_or_b64 vcc, s[20:21], s[2:3]
	v_cndmask_b32_e32 v2, v15, v2, vcc
	s_and_saveexec_b64 s[2:3], s[14:15]
	s_cbranch_execz .LBB2_60
; %bb.59:
	v_lshrrev_b32_e32 v3, 4, v0
	v_and_b32_e32 v3, 60, v3
	ds_write_b32 v3, v2 offset:64
.LBB2_60:
	s_or_b64 exec, exec, s[2:3]
	s_waitcnt lgkmcnt(0)
	s_barrier
	s_and_saveexec_b64 s[8:9], s[16:17]
	s_cbranch_execz .LBB2_62
; %bb.61:
	v_lshlrev_b32_e32 v2, 2, v1
	ds_read_b32 v2, v2 offset:64
	v_and_b32_e32 v3, 15, v1
	v_cmp_ne_u32_e32 vcc, 15, v3
	v_addc_co_u32_e32 v4, vcc, 0, v1, vcc
	v_lshlrev_b32_e32 v4, 2, v4
	s_waitcnt lgkmcnt(0)
	ds_bpermute_b32 v4, v4, v2
	s_add_i32 s2, s52, 63
	s_lshr_b32 s4, s2, 6
	v_add_u32_e32 v5, 1, v3
	v_cmp_gt_u32_e64 s[2:3], 14, v3
	s_waitcnt lgkmcnt(0)
	v_cmp_lt_f32_e32 vcc, v2, v4
	v_cndmask_b32_e32 v4, v2, v4, vcc
	v_cmp_gt_u32_e32 vcc, s4, v5
	v_cndmask_b32_e64 v5, 0, 1, s[2:3]
	v_lshlrev_b32_e32 v5, 1, v5
	v_cndmask_b32_e32 v4, v2, v4, vcc
	v_add_lshl_u32 v5, v5, v1, 2
	ds_bpermute_b32 v5, v5, v4
	v_add_u32_e32 v6, 2, v3
	s_waitcnt lgkmcnt(0)
	v_cmp_lt_f32_e64 s[2:3], v4, v5
	v_cndmask_b32_e64 v5, v4, v5, s[2:3]
	v_cmp_gt_u32_e64 s[2:3], s4, v6
	v_cndmask_b32_e64 v4, v4, v5, s[2:3]
	v_cmp_gt_u32_e64 s[2:3], 12, v3
	v_cndmask_b32_e64 v5, 0, 1, s[2:3]
	v_lshlrev_b32_e32 v5, 2, v5
	v_add_lshl_u32 v5, v5, v1, 2
	ds_bpermute_b32 v5, v5, v4
	v_add_u32_e32 v6, 4, v3
	s_waitcnt lgkmcnt(0)
	v_cmp_lt_f32_e64 s[2:3], v4, v5
	v_cndmask_b32_e64 v5, v4, v5, s[2:3]
	v_cmp_gt_u32_e64 s[2:3], s4, v6
	v_cndmask_b32_e64 v4, v4, v5, s[2:3]
	v_cmp_gt_u32_e64 s[2:3], 8, v3
	v_cndmask_b32_e64 v5, 0, 1, s[2:3]
	v_lshlrev_b32_e32 v5, 3, v5
	v_add_lshl_u32 v1, v5, v1, 2
	ds_bpermute_b32 v1, v1, v4
	v_add_u32_e32 v3, 8, v3
	v_cmp_gt_u32_e64 s[2:3], s4, v3
	s_waitcnt lgkmcnt(0)
	v_cmp_lt_f32_e64 s[4:5], v4, v1
	s_and_b64 s[2:3], s[2:3], s[4:5]
	v_cndmask_b32_e64 v1, v4, v1, s[2:3]
	v_cndmask_b32_e32 v2, v2, v1, vcc
.LBB2_62:
	s_or_b64 exec, exec, s[8:9]
	s_and_saveexec_b64 s[2:3], s[18:19]
	s_cbranch_execz .LBB2_66
; %bb.63:
	s_cmp_eq_u64 s[22:23], 0
	s_cbranch_scc1 .LBB2_65
; %bb.64:
	s_load_dword s4, s[22:23], 0x0
	v_max_f32_e32 v1, v2, v2
	s_waitcnt lgkmcnt(0)
	v_max_f32_e64 v2, s4, s4
	v_min_f32_e32 v2, v1, v2
.LBB2_65:
	s_mov_b32 s8, 0x42fe0000
	v_div_scale_f32 v1, s[4:5], s8, s8, v2
	v_rcp_f32_e32 v3, v1
	v_div_scale_f32 v4, vcc, v2, s8, v2
	s_lshl_b64 s[4:5], s[6:7], 2
	v_fma_f32 v5, -v1, v3, 1.0
	v_fmac_f32_e32 v3, v5, v3
	v_mul_f32_e32 v5, v4, v3
	v_fma_f32 v6, -v1, v5, v4
	v_fmac_f32_e32 v5, v6, v3
	v_fma_f32 v1, -v1, v5, v4
	v_div_fmas_f32 v1, v1, v3, v5
	v_div_fixup_f32 v1, v1, s8, v2
	s_add_u32 s4, s26, s4
	v_max_f32_e32 v1, 0x34000000, v1
	v_mov_b32_e32 v2, 0
	s_addc_u32 s5, s27, s5
	ds_write_b32 v2, v1 offset:260
	global_store_dword v2, v1, s[4:5]
.LBB2_66:
	s_or_b64 exec, exec, s[2:3]
	s_waitcnt lgkmcnt(0)
	s_barrier
	s_and_saveexec_b64 s[2:3], s[0:1]
	s_cbranch_execz .LBB2_75
; %bb.67:
	v_mov_b32_e32 v1, 0
	ds_read_b32 v2, v1 offset:260
	s_add_u32 s12, s24, s34
	s_addc_u32 s14, s25, s35
	s_add_i32 s18, s52, s52
	s_mul_i32 s13, s52, 3
	s_waitcnt lgkmcnt(0)
	v_div_scale_f32 v3, s[0:1], v2, v2, 1.0
	v_rcp_f32_e32 v4, v3
	v_div_scale_f32 v5, vcc, 1.0, v2, 1.0
	s_lshl_b32 s15, s52, 1
	v_fma_f32 v6, -v3, v4, 1.0
	v_fmac_f32_e32 v4, v6, v4
	v_mul_f32_e32 v6, v5, v4
	v_fma_f32 v7, -v3, v6, v5
	v_fmac_f32_e32 v6, v7, v4
	v_fma_f32 v3, -v3, v6, v5
	v_div_fmas_f32 v3, v3, v4, v6
	v_div_fixup_f32 v6, v3, v2, 1.0
	s_mov_b64 s[2:3], 0
	v_mov_b32_e32 v7, s48
	v_mov_b32_e32 v9, s31
	;; [unrolled: 1-line block ×3, first 2 shown]
	s_mov_b32 s16, 0x42fe0000
	v_mov_b32_e32 v11, 0x42fe0000
	s_mov_b32 s17, 0xc3000000
	v_mov_b32_e32 v12, 0xc3000000
	v_mov_b32_e32 v13, s14
	s_add_i32 s18, s18, s52
	v_mov_b32_e32 v14, 8
                                        ; implicit-def: $sgpr4_sgpr5
	s_branch .LBB2_71
.LBB2_68:                               ;   in Loop: Header=BB2_71 Depth=1
	s_or_b64 exec, exec, s[10:11]
	s_orn2_b64 s[0:1], s[0:1], exec
.LBB2_69:                               ;   in Loop: Header=BB2_71 Depth=1
	s_or_b64 exec, exec, s[8:9]
	s_andn2_b64 s[4:5], s[4:5], exec
	s_and_b64 s[0:1], s[0:1], exec
	s_or_b64 s[4:5], s[4:5], s[0:1]
.LBB2_70:                               ;   in Loop: Header=BB2_71 Depth=1
	s_or_b64 exec, exec, s[6:7]
	s_and_b64 s[0:1], exec, s[4:5]
	s_or_b64 s[2:3], s[0:1], s[2:3]
	s_andn2_b64 exec, exec, s[2:3]
	s_cbranch_execz .LBB2_75
.LBB2_71:                               ; =>This Inner Loop Header: Depth=1
	v_lshlrev_b64 v[2:3], 4, v[0:1]
	v_add_co_u32_e32 v4, vcc, s33, v2
	v_addc_co_u32_e32 v5, vcc, v7, v3, vcc
	v_add_co_u32_e32 v28, vcc, s49, v2
	v_addc_co_u32_e32 v29, vcc, v10, v3, vcc
	global_load_dwordx4 v[16:19], v[4:5], off
	global_load_dwordx4 v[20:23], v[28:29], off
	v_add_co_u32_e32 v2, vcc, s30, v2
	v_addc_co_u32_e32 v3, vcc, v9, v3, vcc
	global_load_dwordx4 v[24:27], v[2:3], off
	v_lshlrev_b64 v[4:5], 2, v[0:1]
	v_add_co_u32_e32 v4, vcc, s12, v4
	v_add_u32_e32 v2, s52, v0
	v_addc_co_u32_e32 v5, vcc, v13, v5, vcc
	v_cmp_gt_u32_e32 vcc, s51, v2
	s_or_b64 s[4:5], s[4:5], exec
	s_waitcnt vmcnt(1)
	v_pk_add_f32 v[16:17], v[16:17], v[20:21]
	v_mul_f32_e32 v3, v8, v16
	v_pk_add_f32 v[18:19], v[18:19], v[22:23]
	v_mul_f32_e32 v15, v8, v17
	global_store_dwordx4 v[28:29], v[16:19], off
	s_waitcnt vmcnt(1)
	v_mul_f32_e32 v3, v24, v3
	v_mul_f32_e32 v16, v8, v18
	;; [unrolled: 1-line block ×7, first 2 shown]
	v_rndne_f32_e32 v3, v3
	v_mul_f32_e32 v17, v27, v17
	v_mul_f32_e32 v16, v6, v16
	v_rndne_f32_e32 v15, v15
	v_cmp_nlt_f32_e64 s[0:1], s16, v3
	v_mul_f32_e32 v17, v6, v17
	v_rndne_f32_e32 v16, v16
	v_cndmask_b32_e64 v18, v11, v3, s[0:1]
	v_cmp_nlt_f32_e64 s[0:1], s16, v15
	v_rndne_f32_e32 v17, v17
	v_cndmask_b32_e64 v19, v11, v15, s[0:1]
	v_cmp_nlt_f32_e64 s[0:1], s16, v16
	v_cndmask_b32_e64 v20, v11, v16, s[0:1]
	v_cmp_nlt_f32_e64 s[0:1], s16, v17
	v_cndmask_b32_e64 v21, v11, v17, s[0:1]
	v_cmp_ngt_f32_e64 s[0:1], s17, v3
	v_cndmask_b32_e64 v3, v12, v18, s[0:1]
	v_cmp_ngt_f32_e64 s[0:1], s17, v15
	;; [unrolled: 2-line block ×4, first 2 shown]
	v_cvt_i32_f32_e32 v16, v16
	v_cndmask_b32_e64 v17, v12, v21, s[0:1]
	v_cvt_i32_f32_e32 v15, v15
	v_cvt_i32_f32_e32 v3, v3
	v_cvt_i32_f32_e32 v17, v17
	v_and_b32_e32 v16, 0xff, v16
	v_lshlrev_b32_e32 v16, 16, v16
	v_lshlrev_b32_sdwa v15, v14, v15 dst_sel:DWORD dst_unused:UNUSED_PAD src0_sel:DWORD src1_sel:BYTE_0
	v_and_b32_e32 v3, 0xff, v3
	v_lshl_or_b32 v16, v17, 24, v16
	v_or3_b32 v3, v16, v15, v3
	global_store_dword v[4:5], v3, off
	s_and_saveexec_b64 s[6:7], vcc
	s_cbranch_execz .LBB2_70
; %bb.72:                               ;   in Loop: Header=BB2_71 Depth=1
	v_mov_b32_e32 v3, v1
	v_lshlrev_b64 v[4:5], 4, v[2:3]
	v_add_co_u32_e32 v24, vcc, s33, v4
	v_addc_co_u32_e32 v25, vcc, v7, v5, vcc
	v_add_co_u32_e32 v28, vcc, s49, v4
	v_addc_co_u32_e32 v29, vcc, v10, v5, vcc
	global_load_dwordx4 v[16:19], v[24:25], off
	global_load_dwordx4 v[20:23], v[28:29], off
	v_add_co_u32_e32 v4, vcc, s30, v4
	v_addc_co_u32_e32 v5, vcc, v9, v5, vcc
	global_load_dwordx4 v[24:27], v[4:5], off
	v_lshlrev_b64 v[30:31], 2, v[2:3]
	v_add_co_u32_e64 v30, s[0:1], s12, v30
	v_addc_co_u32_e64 v31, s[0:1], v13, v31, s[0:1]
	v_add_u32_e32 v4, s15, v0
	v_cmp_gt_u32_e32 vcc, s51, v4
	s_waitcnt vmcnt(1)
	v_pk_add_f32 v[16:17], v[16:17], v[20:21]
	v_mul_f32_e32 v3, v8, v16
	v_pk_add_f32 v[18:19], v[18:19], v[22:23]
	v_mul_f32_e32 v5, v8, v17
	v_mul_f32_e32 v15, v8, v18
	s_waitcnt vmcnt(0)
	v_mul_f32_e32 v3, v24, v3
	v_mul_f32_e32 v5, v25, v5
	;; [unrolled: 1-line block ×3, first 2 shown]
	global_store_dwordx4 v[28:29], v[16:19], off
	v_mul_f32_e32 v15, v26, v15
	v_mul_f32_e32 v16, v8, v19
	;; [unrolled: 1-line block ×3, first 2 shown]
	v_rndne_f32_e32 v3, v3
	v_mul_f32_e32 v16, v27, v16
	v_mul_f32_e32 v15, v6, v15
	v_rndne_f32_e32 v5, v5
	v_cmp_nlt_f32_e64 s[0:1], s16, v3
	v_mul_f32_e32 v16, v6, v16
	v_rndne_f32_e32 v15, v15
	v_cndmask_b32_e64 v17, v11, v3, s[0:1]
	v_cmp_nlt_f32_e64 s[0:1], s16, v5
	v_rndne_f32_e32 v16, v16
	v_cndmask_b32_e64 v18, v11, v5, s[0:1]
	v_cmp_nlt_f32_e64 s[0:1], s16, v15
	v_cndmask_b32_e64 v19, v11, v15, s[0:1]
	v_cmp_nlt_f32_e64 s[0:1], s16, v16
	v_cndmask_b32_e64 v20, v11, v16, s[0:1]
	v_cmp_ngt_f32_e64 s[0:1], s17, v3
	v_cndmask_b32_e64 v3, v12, v17, s[0:1]
	v_cmp_ngt_f32_e64 s[0:1], s17, v5
	;; [unrolled: 2-line block ×4, first 2 shown]
	v_cvt_i32_f32_e32 v15, v15
	v_cndmask_b32_e64 v16, v12, v20, s[0:1]
	v_cvt_i32_f32_e32 v5, v5
	v_cvt_i32_f32_e32 v3, v3
	v_cvt_i32_f32_e32 v16, v16
	v_and_b32_e32 v15, 0xff, v15
	v_lshlrev_b32_e32 v15, 16, v15
	v_lshlrev_b32_sdwa v5, v14, v5 dst_sel:DWORD dst_unused:UNUSED_PAD src0_sel:DWORD src1_sel:BYTE_0
	v_and_b32_e32 v3, 0xff, v3
	v_lshl_or_b32 v15, v16, 24, v15
	v_or3_b32 v3, v15, v5, v3
	s_mov_b64 s[0:1], -1
	global_store_dword v[30:31], v3, off
	s_and_saveexec_b64 s[8:9], vcc
	s_cbranch_execz .LBB2_69
; %bb.73:                               ;   in Loop: Header=BB2_71 Depth=1
	v_mov_b32_e32 v5, v1
	v_lshlrev_b64 v[24:25], 4, v[4:5]
	v_mov_b32_e32 v3, s48
	v_add_co_u32_e32 v26, vcc, s33, v24
	v_addc_co_u32_e32 v27, vcc, v3, v25, vcc
	v_mov_b32_e32 v3, s50
	v_add_co_u32_e32 v28, vcc, s49, v24
	v_addc_co_u32_e32 v29, vcc, v3, v25, vcc
	global_load_dwordx4 v[16:19], v[26:27], off
	global_load_dwordx4 v[20:23], v[28:29], off
	v_mov_b32_e32 v3, s31
	v_add_co_u32_e32 v24, vcc, s30, v24
	v_addc_co_u32_e32 v25, vcc, v3, v25, vcc
	global_load_dwordx4 v[24:27], v[24:25], off
	v_lshlrev_b64 v[4:5], 2, v[4:5]
	v_mov_b32_e32 v3, s14
	v_add_co_u32_e64 v4, s[0:1], s12, v4
	v_addc_co_u32_e64 v5, s[0:1], v3, v5, s[0:1]
	v_add_u32_e32 v0, s13, v0
	v_cmp_gt_u32_e32 vcc, s51, v0
	s_waitcnt vmcnt(1)
	v_pk_add_f32 v[16:17], v[16:17], v[20:21]
	v_mul_f32_e32 v3, v8, v16
	v_pk_add_f32 v[18:19], v[18:19], v[22:23]
	v_mul_f32_e32 v15, v8, v17
	global_store_dwordx4 v[28:29], v[16:19], off
	s_waitcnt vmcnt(1)
	v_mul_f32_e32 v3, v24, v3
	v_mul_f32_e32 v16, v8, v18
	;; [unrolled: 1-line block ×7, first 2 shown]
	v_rndne_f32_e32 v3, v3
	v_mul_f32_e32 v17, v27, v17
	v_mul_f32_e32 v16, v6, v16
	v_rndne_f32_e32 v15, v15
	v_cmp_nlt_f32_e64 s[0:1], s16, v3
	v_mul_f32_e32 v17, v6, v17
	v_rndne_f32_e32 v16, v16
	v_cndmask_b32_e64 v18, v11, v3, s[0:1]
	v_cmp_nlt_f32_e64 s[0:1], s16, v15
	v_rndne_f32_e32 v17, v17
	v_cndmask_b32_e64 v19, v11, v15, s[0:1]
	v_cmp_nlt_f32_e64 s[0:1], s16, v16
	v_cndmask_b32_e64 v20, v11, v16, s[0:1]
	v_cmp_nlt_f32_e64 s[0:1], s16, v17
	v_cndmask_b32_e64 v21, v11, v17, s[0:1]
	v_cmp_ngt_f32_e64 s[0:1], s17, v3
	v_cndmask_b32_e64 v3, v12, v18, s[0:1]
	v_cmp_ngt_f32_e64 s[0:1], s17, v15
	;; [unrolled: 2-line block ×4, first 2 shown]
	v_cvt_i32_f32_e32 v16, v16
	v_cndmask_b32_e64 v17, v12, v21, s[0:1]
	v_cvt_i32_f32_e32 v15, v15
	v_cvt_i32_f32_e32 v3, v3
	;; [unrolled: 1-line block ×3, first 2 shown]
	v_and_b32_e32 v16, 0xff, v16
	v_lshlrev_b32_e32 v16, 16, v16
	v_lshlrev_b32_sdwa v15, v14, v15 dst_sel:DWORD dst_unused:UNUSED_PAD src0_sel:DWORD src1_sel:BYTE_0
	v_and_b32_e32 v3, 0xff, v3
	v_lshl_or_b32 v16, v17, 24, v16
	v_or3_b32 v3, v16, v15, v3
	s_mov_b64 s[0:1], -1
	global_store_dword v[4:5], v3, off
	s_and_saveexec_b64 s[10:11], vcc
	s_cbranch_execz .LBB2_68
; %bb.74:                               ;   in Loop: Header=BB2_71 Depth=1
	v_lshlrev_b64 v[4:5], 4, v[0:1]
	v_mov_b32_e32 v3, s48
	v_add_co_u32_e32 v24, vcc, s33, v4
	v_addc_co_u32_e32 v25, vcc, v3, v5, vcc
	v_mov_b32_e32 v3, s50
	v_add_co_u32_e32 v28, vcc, s49, v4
	v_addc_co_u32_e32 v29, vcc, v3, v5, vcc
	global_load_dwordx4 v[16:19], v[24:25], off
	global_load_dwordx4 v[20:23], v[28:29], off
	v_mov_b32_e32 v3, s31
	v_add_co_u32_e32 v4, vcc, s30, v4
	v_addc_co_u32_e32 v5, vcc, v3, v5, vcc
	global_load_dwordx4 v[24:27], v[4:5], off
	v_lshlrev_b64 v[4:5], 2, v[0:1]
	v_mov_b32_e32 v3, s14
	v_add_co_u32_e32 v30, vcc, s12, v4
	v_add_u32_e32 v0, s18, v2
	v_addc_co_u32_e32 v31, vcc, v3, v5, vcc
	v_cmp_le_u32_e32 vcc, s51, v0
	s_waitcnt vmcnt(1)
	v_pk_add_f32 v[2:3], v[16:17], v[20:21]
	v_pk_add_f32 v[4:5], v[18:19], v[22:23]
	global_store_dwordx4 v[28:29], v[2:5], off
	s_nop 0
	v_mul_f32_e32 v2, v8, v2
	v_mul_f32_e32 v3, v8, v3
	s_waitcnt vmcnt(1)
	v_mul_f32_e32 v2, v24, v2
	v_mul_f32_e32 v4, v8, v4
	v_mul_f32_e32 v3, v25, v3
	v_mul_f32_e32 v2, v6, v2
	v_mul_f32_e32 v5, v8, v5
	v_mul_f32_e32 v4, v26, v4
	v_mul_f32_e32 v3, v6, v3
	v_rndne_f32_e32 v2, v2
	v_mul_f32_e32 v5, v27, v5
	v_mul_f32_e32 v4, v6, v4
	v_rndne_f32_e32 v3, v3
	v_cmp_nlt_f32_e64 s[0:1], s16, v2
	v_mul_f32_e32 v5, v6, v5
	v_rndne_f32_e32 v4, v4
	v_cndmask_b32_e64 v15, v11, v2, s[0:1]
	v_cmp_nlt_f32_e64 s[0:1], s16, v3
	v_rndne_f32_e32 v5, v5
	v_cndmask_b32_e64 v16, v11, v3, s[0:1]
	v_cmp_nlt_f32_e64 s[0:1], s16, v4
	v_cndmask_b32_e64 v17, v11, v4, s[0:1]
	v_cmp_nlt_f32_e64 s[0:1], s16, v5
	v_cndmask_b32_e64 v18, v11, v5, s[0:1]
	v_cmp_ngt_f32_e64 s[0:1], s17, v2
	v_cndmask_b32_e64 v2, v12, v15, s[0:1]
	v_cmp_ngt_f32_e64 s[0:1], s17, v3
	v_cndmask_b32_e64 v3, v12, v16, s[0:1]
	v_cmp_ngt_f32_e64 s[0:1], s17, v4
	v_cndmask_b32_e64 v4, v12, v17, s[0:1]
	v_cmp_ngt_f32_e64 s[0:1], s17, v5
	v_cvt_i32_f32_e32 v4, v4
	v_cndmask_b32_e64 v5, v12, v18, s[0:1]
	v_cvt_i32_f32_e32 v3, v3
	v_cvt_i32_f32_e32 v2, v2
	;; [unrolled: 1-line block ×3, first 2 shown]
	v_and_b32_e32 v4, 0xff, v4
	v_lshlrev_b32_e32 v4, 16, v4
	v_lshlrev_b32_sdwa v3, v14, v3 dst_sel:DWORD dst_unused:UNUSED_PAD src0_sel:DWORD src1_sel:BYTE_0
	v_and_b32_e32 v2, 0xff, v2
	v_lshl_or_b32 v4, v5, 24, v4
	v_or3_b32 v2, v4, v3, v2
	s_orn2_b64 s[0:1], vcc, exec
	global_store_dword v[30:31], v2, off
	s_branch .LBB2_68
.LBB2_75:
	s_endpgm
	.section	.rodata,"a",@progbits
	.p2align	6, 0x0
	.amdhsa_kernel _ZN4vllm39rms_norm_dynamic_per_token_quant_kernelIfaLb1EEEvPT0_PfPKT_S6_PKffiiPS4_
		.amdhsa_group_segment_fixed_size 272
		.amdhsa_private_segment_fixed_size 0
		.amdhsa_kernarg_size 320
		.amdhsa_user_sgpr_count 6
		.amdhsa_user_sgpr_private_segment_buffer 1
		.amdhsa_user_sgpr_dispatch_ptr 0
		.amdhsa_user_sgpr_queue_ptr 0
		.amdhsa_user_sgpr_kernarg_segment_ptr 1
		.amdhsa_user_sgpr_dispatch_id 0
		.amdhsa_user_sgpr_flat_scratch_init 0
		.amdhsa_user_sgpr_kernarg_preload_length 0
		.amdhsa_user_sgpr_kernarg_preload_offset 0
		.amdhsa_user_sgpr_private_segment_size 0
		.amdhsa_uses_dynamic_stack 0
		.amdhsa_system_sgpr_private_segment_wavefront_offset 0
		.amdhsa_system_sgpr_workgroup_id_x 1
		.amdhsa_system_sgpr_workgroup_id_y 0
		.amdhsa_system_sgpr_workgroup_id_z 0
		.amdhsa_system_sgpr_workgroup_info 0
		.amdhsa_system_vgpr_workitem_id 0
		.amdhsa_next_free_vgpr 32
		.amdhsa_next_free_sgpr 56
		.amdhsa_accum_offset 32
		.amdhsa_reserve_vcc 1
		.amdhsa_reserve_flat_scratch 0
		.amdhsa_float_round_mode_32 0
		.amdhsa_float_round_mode_16_64 0
		.amdhsa_float_denorm_mode_32 3
		.amdhsa_float_denorm_mode_16_64 3
		.amdhsa_dx10_clamp 1
		.amdhsa_ieee_mode 1
		.amdhsa_fp16_overflow 0
		.amdhsa_tg_split 0
		.amdhsa_exception_fp_ieee_invalid_op 0
		.amdhsa_exception_fp_denorm_src 0
		.amdhsa_exception_fp_ieee_div_zero 0
		.amdhsa_exception_fp_ieee_overflow 0
		.amdhsa_exception_fp_ieee_underflow 0
		.amdhsa_exception_fp_ieee_inexact 0
		.amdhsa_exception_int_div_zero 0
	.end_amdhsa_kernel
	.section	.text._ZN4vllm39rms_norm_dynamic_per_token_quant_kernelIfaLb1EEEvPT0_PfPKT_S6_PKffiiPS4_,"axG",@progbits,_ZN4vllm39rms_norm_dynamic_per_token_quant_kernelIfaLb1EEEvPT0_PfPKT_S6_PKffiiPS4_,comdat
.Lfunc_end2:
	.size	_ZN4vllm39rms_norm_dynamic_per_token_quant_kernelIfaLb1EEEvPT0_PfPKT_S6_PKffiiPS4_, .Lfunc_end2-_ZN4vllm39rms_norm_dynamic_per_token_quant_kernelIfaLb1EEEvPT0_PfPKT_S6_PKffiiPS4_
                                        ; -- End function
	.section	.AMDGPU.csdata,"",@progbits
; Kernel info:
; codeLenInByte = 7604
; NumSgprs: 60
; NumVgprs: 32
; NumAgprs: 0
; TotalNumVgprs: 32
; ScratchSize: 0
; MemoryBound: 0
; FloatMode: 240
; IeeeMode: 1
; LDSByteSize: 272 bytes/workgroup (compile time only)
; SGPRBlocks: 7
; VGPRBlocks: 3
; NumSGPRsForWavesPerEU: 60
; NumVGPRsForWavesPerEU: 32
; AccumOffset: 32
; Occupancy: 8
; WaveLimiterHint : 0
; COMPUTE_PGM_RSRC2:SCRATCH_EN: 0
; COMPUTE_PGM_RSRC2:USER_SGPR: 6
; COMPUTE_PGM_RSRC2:TRAP_HANDLER: 0
; COMPUTE_PGM_RSRC2:TGID_X_EN: 1
; COMPUTE_PGM_RSRC2:TGID_Y_EN: 0
; COMPUTE_PGM_RSRC2:TGID_Z_EN: 0
; COMPUTE_PGM_RSRC2:TIDIG_COMP_CNT: 0
; COMPUTE_PGM_RSRC3_GFX90A:ACCUM_OFFSET: 7
; COMPUTE_PGM_RSRC3_GFX90A:TG_SPLIT: 0
	.section	.text._ZN4vllm39rms_norm_dynamic_per_token_quant_kernelIfN3c1013Float8_e4m3fnELb0EEEvPT0_PfPKT_S8_PKffiiPS6_,"axG",@progbits,_ZN4vllm39rms_norm_dynamic_per_token_quant_kernelIfN3c1013Float8_e4m3fnELb0EEEvPT0_PfPKT_S8_PKffiiPS6_,comdat
	.protected	_ZN4vllm39rms_norm_dynamic_per_token_quant_kernelIfN3c1013Float8_e4m3fnELb0EEEvPT0_PfPKT_S8_PKffiiPS6_ ; -- Begin function _ZN4vllm39rms_norm_dynamic_per_token_quant_kernelIfN3c1013Float8_e4m3fnELb0EEEvPT0_PfPKT_S8_PKffiiPS6_
	.globl	_ZN4vllm39rms_norm_dynamic_per_token_quant_kernelIfN3c1013Float8_e4m3fnELb0EEEvPT0_PfPKT_S8_PKffiiPS6_
	.p2align	8
	.type	_ZN4vllm39rms_norm_dynamic_per_token_quant_kernelIfN3c1013Float8_e4m3fnELb0EEEvPT0_PfPKT_S8_PKffiiPS6_,@function
_ZN4vllm39rms_norm_dynamic_per_token_quant_kernelIfN3c1013Float8_e4m3fnELb0EEEvPT0_PfPKT_S8_PKffiiPS6_: ; @_ZN4vllm39rms_norm_dynamic_per_token_quant_kernelIfN3c1013Float8_e4m3fnELb0EEEvPT0_PfPKT_S8_PKffiiPS6_
; %bb.0:
	s_load_dwordx4 s[36:39], s[4:5], 0x28
	s_load_dwordx2 s[22:23], s[4:5], 0x20
	s_load_dwordx8 s[24:31], s[4:5], 0x0
	s_waitcnt lgkmcnt(0)
	s_or_b32 s0, s38, s37
	s_and_b32 s0, s0, 3
	s_cmp_lg_u32 s0, 0
	s_cbranch_scc0 .LBB3_37
; %bb.1:
	v_cmp_gt_u32_e64 s[0:1], s37, v0
	v_cmp_le_u32_e64 s[2:3], s37, v0
                                        ; implicit-def: $sgpr7
                                        ; implicit-def: $sgpr10_sgpr11
	s_and_saveexec_b64 s[8:9], s[2:3]
	s_xor_b64 s[8:9], exec, s[8:9]
; %bb.2:
	s_add_u32 s10, s4, 64
	s_addc_u32 s11, s5, 0
	s_mov_b32 s7, 0
; %bb.3:
	s_or_saveexec_b64 s[8:9], s[8:9]
	v_mov_b32_e32 v4, s7
	v_pk_mov_b32 v[2:3], s[10:11], s[10:11] op_sel:[0,1]
	v_mov_b32_e32 v1, s6
	s_xor_b64 exec, exec, s[8:9]
	s_cbranch_execz .LBB3_7
; %bb.4:
	s_ashr_i32 s7, s38, 31
	s_mul_hi_u32 s10, s38, s6
	s_mul_i32 s7, s7, s6
	s_add_i32 s11, s10, s7
	s_mul_i32 s10, s38, s6
	s_load_dword s12, s[4:5], 0x4c
	s_lshl_b64 s[10:11], s[10:11], 2
	s_add_u32 s7, s28, s10
	s_addc_u32 s15, s29, s11
	s_add_u32 s10, s4, 64
	s_addc_u32 s11, s5, 0
	s_waitcnt lgkmcnt(0)
	s_and_b32 s14, s12, 0xffff
	s_mov_b64 s[12:13], 0
	v_mov_b32_e32 v3, 0
	v_mov_b32_e32 v1, s15
	;; [unrolled: 1-line block ×4, first 2 shown]
.LBB3_5:                                ; =>This Inner Loop Header: Depth=1
	v_lshlrev_b64 v[6:7], 2, v[2:3]
	v_add_co_u32_e32 v6, vcc, s7, v6
	v_addc_co_u32_e32 v7, vcc, v1, v7, vcc
	global_load_dword v5, v[6:7], off
	v_add_u32_e32 v2, s14, v2
	v_cmp_le_u32_e32 vcc, s37, v2
	s_or_b64 s[12:13], vcc, s[12:13]
	s_waitcnt vmcnt(0)
	v_fmac_f32_e32 v4, v5, v5
	s_andn2_b64 exec, exec, s[12:13]
	s_cbranch_execnz .LBB3_5
; %bb.6:
	s_or_b64 exec, exec, s[12:13]
	v_pk_mov_b32 v[2:3], s[10:11], s[10:11] op_sel:[0,1]
	v_mov_b32_e32 v1, s6
.LBB3_7:
	s_or_b64 exec, exec, s[8:9]
	global_load_dword v5, v[2:3], off
	s_waitcnt vmcnt(0)
	v_cmp_lt_u32_e32 vcc, v1, v5
	v_cndmask_b32_e64 v1, 18, 12, vcc
	v_add_co_u32_e32 v2, vcc, v2, v1
	v_addc_co_u32_e32 v3, vcc, 0, v3, vcc
	global_load_ushort v2, v[2:3], off
	v_mbcnt_lo_u32_b32 v1, -1, 0
	v_mbcnt_hi_u32_b32 v1, -1, v1
	v_and_b32_e32 v3, 63, v1
	v_cmp_ne_u32_e32 vcc, 63, v3
	v_addc_co_u32_e32 v6, vcc, 0, v1, vcc
	v_lshlrev_b32_e32 v14, 2, v6
	ds_bpermute_b32 v6, v14, v4
	v_cmp_gt_u32_e32 vcc, 62, v3
	v_cndmask_b32_e64 v12, 0, 1, vcc
	v_and_b32_e32 v5, 0x3c0, v0
	v_lshlrev_b32_e32 v12, 1, v12
	v_add_u32_e32 v7, 1, v1
	v_add_lshl_u32 v13, v12, v1, 2
	s_waitcnt lgkmcnt(0)
	v_add_f32_e32 v6, v4, v6
	v_add_u32_e32 v8, 2, v1
	v_add_u32_e32 v10, 4, v1
	;; [unrolled: 1-line block ×5, first 2 shown]
	v_cmp_eq_u32_e64 s[8:9], 0, v1
	s_waitcnt vmcnt(0)
	v_sub_u32_e64 v12, v2, v5 clamp
	v_cmp_lt_u32_e32 vcc, v7, v12
	v_cndmask_b32_e32 v4, v4, v6, vcc
	ds_bpermute_b32 v6, v13, v4
	v_cmp_gt_u32_e32 vcc, 60, v3
	v_cndmask_b32_e64 v15, 0, 1, vcc
	v_lshlrev_b32_e32 v15, 2, v15
	v_cmp_lt_u32_e32 vcc, v8, v12
	s_waitcnt lgkmcnt(0)
	v_add_f32_e32 v6, v4, v6
	v_add_lshl_u32 v15, v15, v1, 2
	v_cndmask_b32_e32 v4, v4, v6, vcc
	ds_bpermute_b32 v6, v15, v4
	v_cmp_gt_u32_e32 vcc, 56, v3
	v_cndmask_b32_e64 v16, 0, 1, vcc
	v_lshlrev_b32_e32 v16, 3, v16
	v_cmp_lt_u32_e32 vcc, v10, v12
	s_waitcnt lgkmcnt(0)
	v_add_f32_e32 v6, v4, v6
	v_add_lshl_u32 v16, v16, v1, 2
	;; [unrolled: 9-line block ×3, first 2 shown]
	v_cndmask_b32_e32 v4, v4, v6, vcc
	ds_bpermute_b32 v6, v18, v4
	v_cmp_gt_u32_e32 vcc, 32, v3
	v_cndmask_b32_e64 v3, 0, 1, vcc
	v_lshlrev_b32_e32 v3, 5, v3
	v_add_lshl_u32 v17, v3, v1, 2
	s_waitcnt lgkmcnt(0)
	v_add_f32_e32 v3, v4, v6
	v_cmp_lt_u32_e32 vcc, v9, v12
	v_cndmask_b32_e32 v3, v4, v3, vcc
	ds_bpermute_b32 v4, v17, v3
	v_cmp_lt_u32_e32 vcc, v19, v12
	s_waitcnt lgkmcnt(0)
	v_add_f32_e32 v4, v3, v4
	v_cndmask_b32_e32 v3, v3, v4, vcc
	s_and_saveexec_b64 s[10:11], s[8:9]
	s_cbranch_execz .LBB3_9
; %bb.8:
	v_lshrrev_b32_e32 v4, 4, v0
	v_and_b32_e32 v4, 60, v4
	ds_write_b32 v4, v3 offset:128
.LBB3_9:
	s_or_b64 exec, exec, s[10:11]
	v_cmp_gt_u32_e64 s[10:11], 16, v0
	v_lshlrev_b32_e32 v12, 2, v1
	v_and_b32_e32 v6, 15, v1
	s_waitcnt lgkmcnt(0)
	s_barrier
	s_and_saveexec_b64 s[14:15], s[10:11]
	s_cbranch_execz .LBB3_11
; %bb.10:
	ds_read_b32 v3, v12 offset:128
	v_cmp_ne_u32_e32 vcc, 15, v6
	v_addc_co_u32_e32 v4, vcc, 0, v1, vcc
	v_lshlrev_b32_e32 v4, 2, v4
	s_waitcnt lgkmcnt(0)
	ds_bpermute_b32 v4, v4, v3
	v_add_u32_e32 v2, 63, v2
	v_add_u32_e32 v20, 1, v6
	v_lshrrev_b32_e32 v2, 6, v2
	v_cmp_gt_u32_e64 s[12:13], 14, v6
	v_cmp_lt_u32_e32 vcc, v20, v2
	v_cndmask_b32_e64 v20, 0, 1, s[12:13]
	s_waitcnt lgkmcnt(0)
	v_add_f32_e32 v4, v3, v4
	v_lshlrev_b32_e32 v20, 1, v20
	v_cndmask_b32_e32 v4, v3, v4, vcc
	v_add_lshl_u32 v20, v20, v1, 2
	ds_bpermute_b32 v20, v20, v4
	v_add_u32_e32 v21, 2, v6
	v_cmp_lt_u32_e64 s[12:13], v21, v2
	v_add_u32_e32 v21, 4, v6
	s_waitcnt lgkmcnt(0)
	v_add_f32_e32 v20, v4, v20
	v_cndmask_b32_e64 v4, v4, v20, s[12:13]
	v_cmp_gt_u32_e64 s[12:13], 12, v6
	v_cndmask_b32_e64 v20, 0, 1, s[12:13]
	v_lshlrev_b32_e32 v20, 2, v20
	v_add_lshl_u32 v20, v20, v1, 2
	ds_bpermute_b32 v20, v20, v4
	v_cmp_lt_u32_e64 s[12:13], v21, v2
	v_add_u32_e32 v21, 8, v6
	s_waitcnt lgkmcnt(0)
	v_add_f32_e32 v20, v4, v20
	v_cndmask_b32_e64 v4, v4, v20, s[12:13]
	v_cmp_gt_u32_e64 s[12:13], 8, v6
	v_cndmask_b32_e64 v20, 0, 1, s[12:13]
	v_lshlrev_b32_e32 v20, 3, v20
	v_add_lshl_u32 v20, v20, v1, 2
	ds_bpermute_b32 v20, v20, v4
	v_cmp_lt_u32_e64 s[12:13], v21, v2
	s_waitcnt lgkmcnt(0)
	v_add_f32_e32 v20, v4, v20
	v_cndmask_b32_e64 v2, v4, v20, s[12:13]
	v_cndmask_b32_e32 v3, v3, v2, vcc
.LBB3_11:
	s_or_b64 exec, exec, s[14:15]
	s_mov_b32 s7, 0
	v_cmp_eq_u32_e64 s[12:13], 0, v0
	s_and_saveexec_b64 s[14:15], s[12:13]
	s_cbranch_execz .LBB3_13
; %bb.12:
	v_cvt_f32_i32_e32 v2, s37
	v_div_scale_f32 v4, s[16:17], v2, v2, v3
	v_rcp_f32_e32 v20, v4
	v_div_scale_f32 v21, vcc, v3, v2, v3
	s_mov_b32 s16, 0x800000
	v_fma_f32 v22, -v4, v20, 1.0
	v_fmac_f32_e32 v20, v22, v20
	v_mul_f32_e32 v22, v21, v20
	v_fma_f32 v23, -v4, v22, v21
	v_fmac_f32_e32 v22, v23, v20
	v_fma_f32 v4, -v4, v22, v21
	v_div_fmas_f32 v4, v4, v20, v22
	v_div_fixup_f32 v2, v4, v2, v3
	v_add_f32_e32 v2, s36, v2
	v_mul_f32_e32 v3, 0x4b800000, v2
	v_cmp_gt_f32_e32 vcc, s16, v2
	v_cndmask_b32_e32 v2, v2, v3, vcc
	v_rsq_f32_e32 v2, v2
	v_mul_f32_e32 v3, 0x45800000, v2
	v_cndmask_b32_e32 v2, v2, v3, vcc
	v_mov_b32_e32 v3, 0
	ds_write_b32 v3, v2 offset:264
.LBB3_13:
	s_or_b64 exec, exec, s[14:15]
	v_mov_b32_e32 v2, 0
	s_waitcnt lgkmcnt(0)
	s_barrier
	ds_read_b32 v4, v2 offset:264
	s_waitcnt lgkmcnt(0)
	s_barrier
	s_waitcnt lgkmcnt(0)
                                        ; implicit-def: $sgpr16
                                        ; implicit-def: $sgpr14_sgpr15
	s_and_saveexec_b64 s[18:19], s[2:3]
	s_xor_b64 s[2:3], exec, s[18:19]
; %bb.14:
	s_add_u32 s14, s4, 64
	s_addc_u32 s15, s5, 0
	s_mov_b32 s16, 0
; %bb.15:
	s_or_saveexec_b64 s[2:3], s[2:3]
	v_mov_b32_e32 v20, s16
	v_pk_mov_b32 v[2:3], s[14:15], s[14:15] op_sel:[0,1]
	s_mul_hi_u32 s33, s38, s6
	s_mul_i32 s34, s38, s6
	s_xor_b64 exec, exec, s[2:3]
	s_cbranch_execz .LBB3_19
; %bb.16:
	s_ashr_i32 s14, s38, 31
	s_mul_i32 s14, s14, s6
	s_add_i32 s35, s33, s14
	s_load_dword s16, s[4:5], 0x4c
	s_lshl_b64 s[14:15], s[34:35], 2
	s_add_u32 s18, s28, s14
	s_addc_u32 s20, s29, s15
	s_add_u32 s14, s4, 64
	s_addc_u32 s15, s5, 0
	s_waitcnt lgkmcnt(0)
	s_and_b32 s19, s16, 0xffff
	s_mov_b64 s[16:17], 0
	v_mov_b32_e32 v3, 0
	v_mov_b32_e32 v21, s20
	;; [unrolled: 1-line block ×5, first 2 shown]
.LBB3_17:                               ; =>This Inner Loop Header: Depth=1
	v_lshlrev_b64 v[24:25], 2, v[2:3]
	v_add_co_u32_e32 v26, vcc, s18, v24
	v_addc_co_u32_e32 v27, vcc, v21, v25, vcc
	v_add_co_u32_e32 v24, vcc, s30, v24
	v_addc_co_u32_e32 v25, vcc, v22, v25, vcc
	global_load_dword v23, v[26:27], off
	global_load_dword v28, v[24:25], off
	v_add_u32_e32 v2, s19, v2
	v_max_f32_e32 v20, v20, v20
	v_cmp_le_u32_e32 vcc, s37, v2
	s_or_b64 s[16:17], vcc, s[16:17]
	s_waitcnt vmcnt(1)
	v_mul_f32_e32 v23, v4, v23
	s_waitcnt vmcnt(0)
	v_mul_f32_e32 v23, v23, v28
	v_max_f32_e64 v20, v20, |v23|
	s_andn2_b64 exec, exec, s[16:17]
	s_cbranch_execnz .LBB3_17
; %bb.18:
	s_or_b64 exec, exec, s[16:17]
	v_pk_mov_b32 v[2:3], s[14:15], s[14:15] op_sel:[0,1]
.LBB3_19:
	s_or_b64 exec, exec, s[2:3]
	global_load_dword v21, v[2:3], off
	s_waitcnt vmcnt(0)
	v_cmp_lt_u32_e32 vcc, s6, v21
	v_cndmask_b32_e64 v21, 18, 12, vcc
	v_add_co_u32_e32 v2, vcc, v2, v21
	v_addc_co_u32_e32 v3, vcc, 0, v3, vcc
	global_load_ushort v2, v[2:3], off
	ds_bpermute_b32 v3, v14, v20
	s_waitcnt lgkmcnt(0)
	v_cmp_lt_f32_e32 vcc, v20, v3
	v_cndmask_b32_e32 v3, v20, v3, vcc
	s_waitcnt vmcnt(0)
	v_sub_u32_e64 v5, v2, v5 clamp
	v_cmp_lt_u32_e32 vcc, v7, v5
	v_cndmask_b32_e32 v3, v20, v3, vcc
	ds_bpermute_b32 v7, v13, v3
	v_cmp_lt_u32_e64 s[18:19], v19, v5
	s_waitcnt lgkmcnt(0)
	v_cmp_lt_f32_e64 s[2:3], v3, v7
	v_cndmask_b32_e64 v7, v3, v7, s[2:3]
	v_cmp_lt_u32_e64 s[2:3], v8, v5
	v_cndmask_b32_e64 v3, v3, v7, s[2:3]
	ds_bpermute_b32 v7, v15, v3
	s_or_b64 s[2:3], vcc, s[2:3]
	s_waitcnt lgkmcnt(0)
	v_cmp_lt_f32_e64 s[14:15], v3, v7
	v_cndmask_b32_e64 v7, v3, v7, s[14:15]
	v_cmp_lt_u32_e64 s[14:15], v10, v5
	v_cndmask_b32_e64 v3, v3, v7, s[14:15]
	ds_bpermute_b32 v7, v16, v3
	s_or_b64 s[2:3], s[14:15], s[2:3]
	s_waitcnt lgkmcnt(0)
	v_cmp_lt_f32_e64 s[16:17], v3, v7
	v_cndmask_b32_e64 v7, v3, v7, s[16:17]
	v_cmp_lt_u32_e64 s[16:17], v11, v5
	v_cndmask_b32_e64 v3, v3, v7, s[16:17]
	ds_bpermute_b32 v7, v18, v3
	s_or_b64 s[2:3], s[16:17], s[2:3]
	;; [unrolled: 7-line block ×3, first 2 shown]
	s_waitcnt lgkmcnt(0)
	v_cmp_lt_f32_e32 vcc, v3, v5
	s_and_b64 vcc, s[18:19], vcc
	v_cndmask_b32_e32 v3, v3, v5, vcc
	s_or_b64 vcc, s[18:19], s[2:3]
	v_cndmask_b32_e32 v3, v20, v3, vcc
	s_and_saveexec_b64 s[2:3], s[8:9]
	s_cbranch_execz .LBB3_21
; %bb.20:
	v_lshrrev_b32_e32 v5, 4, v0
	v_and_b32_e32 v5, 60, v5
	ds_write_b32 v5, v3 offset:192
.LBB3_21:
	s_or_b64 exec, exec, s[2:3]
	s_waitcnt lgkmcnt(0)
	s_barrier
	s_and_saveexec_b64 s[14:15], s[10:11]
	s_cbranch_execz .LBB3_23
; %bb.22:
	ds_read_b32 v3, v12 offset:192
	v_cmp_ne_u32_e32 vcc, 15, v6
	v_addc_co_u32_e32 v5, vcc, 0, v1, vcc
	v_lshlrev_b32_e32 v5, 2, v5
	s_waitcnt lgkmcnt(0)
	ds_bpermute_b32 v5, v5, v3
	v_add_u32_e32 v2, 63, v2
	v_add_u32_e32 v7, 1, v6
	v_lshrrev_b32_e32 v2, 6, v2
	v_cmp_gt_u32_e64 s[2:3], 14, v6
	s_waitcnt lgkmcnt(0)
	v_cmp_lt_f32_e32 vcc, v3, v5
	v_cndmask_b32_e32 v5, v3, v5, vcc
	v_cmp_lt_u32_e32 vcc, v7, v2
	v_cndmask_b32_e64 v7, 0, 1, s[2:3]
	v_lshlrev_b32_e32 v7, 1, v7
	v_cndmask_b32_e32 v5, v3, v5, vcc
	v_add_lshl_u32 v7, v7, v1, 2
	ds_bpermute_b32 v7, v7, v5
	v_add_u32_e32 v8, 2, v6
	s_waitcnt lgkmcnt(0)
	v_cmp_lt_f32_e64 s[2:3], v5, v7
	v_cndmask_b32_e64 v7, v5, v7, s[2:3]
	v_cmp_lt_u32_e64 s[2:3], v8, v2
	v_cndmask_b32_e64 v5, v5, v7, s[2:3]
	v_cmp_gt_u32_e64 s[2:3], 12, v6
	v_cndmask_b32_e64 v7, 0, 1, s[2:3]
	v_lshlrev_b32_e32 v7, 2, v7
	v_add_lshl_u32 v7, v7, v1, 2
	ds_bpermute_b32 v7, v7, v5
	v_add_u32_e32 v8, 4, v6
	s_waitcnt lgkmcnt(0)
	v_cmp_lt_f32_e64 s[2:3], v5, v7
	v_cndmask_b32_e64 v7, v5, v7, s[2:3]
	v_cmp_lt_u32_e64 s[2:3], v8, v2
	v_cndmask_b32_e64 v5, v5, v7, s[2:3]
	v_cmp_gt_u32_e64 s[2:3], 8, v6
	v_cndmask_b32_e64 v7, 0, 1, s[2:3]
	v_lshlrev_b32_e32 v7, 3, v7
	v_add_lshl_u32 v1, v7, v1, 2
	ds_bpermute_b32 v1, v1, v5
	v_add_u32_e32 v6, 8, v6
	v_cmp_lt_u32_e64 s[2:3], v6, v2
	s_waitcnt lgkmcnt(0)
	v_cmp_lt_f32_e64 s[8:9], v5, v1
	s_and_b64 s[2:3], s[2:3], s[8:9]
	v_cndmask_b32_e64 v1, v5, v1, s[2:3]
	v_cndmask_b32_e32 v3, v3, v1, vcc
.LBB3_23:
	s_or_b64 exec, exec, s[14:15]
	s_and_saveexec_b64 s[2:3], s[12:13]
	s_cbranch_execz .LBB3_27
; %bb.24:
	s_cmp_eq_u64 s[22:23], 0
	s_cbranch_scc1 .LBB3_26
; %bb.25:
	s_load_dword s8, s[22:23], 0x0
	v_max_f32_e32 v1, v3, v3
	s_waitcnt lgkmcnt(0)
	v_max_f32_e64 v2, s8, s8
	v_min_f32_e32 v3, v1, v2
.LBB3_26:
	s_mov_b32 s10, 0x43e00000
	v_div_scale_f32 v1, s[8:9], s10, s10, v3
	v_rcp_f32_e32 v2, v1
	v_div_scale_f32 v5, vcc, v3, s10, v3
	s_lshl_b64 s[8:9], s[6:7], 2
	v_fma_f32 v6, -v1, v2, 1.0
	v_fmac_f32_e32 v2, v6, v2
	v_mul_f32_e32 v6, v5, v2
	v_fma_f32 v7, -v1, v6, v5
	v_fmac_f32_e32 v6, v7, v2
	v_fma_f32 v1, -v1, v6, v5
	v_div_fmas_f32 v1, v1, v2, v6
	v_div_fixup_f32 v1, v1, s10, v3
	s_add_u32 s8, s26, s8
	v_max_f32_e32 v1, 0x36924925, v1
	v_mov_b32_e32 v2, 0
	s_addc_u32 s9, s27, s9
	ds_write_b32 v2, v1 offset:268
	global_store_dword v2, v1, s[8:9]
.LBB3_27:
	s_or_b64 exec, exec, s[2:3]
	s_waitcnt lgkmcnt(0)
	s_barrier
	s_and_saveexec_b64 s[2:3], s[0:1]
	s_cbranch_execz .LBB3_36
; %bb.28:
	s_ashr_i32 s0, s37, 31
	s_mul_hi_u32 s1, s37, s6
	s_mul_i32 s0, s0, s6
	s_add_i32 s8, s1, s0
	s_ashr_i32 s0, s38, 31
	s_mul_i32 s0, s0, s6
	s_add_i32 s35, s33, s0
	v_mov_b32_e32 v3, 0
	s_lshl_b64 s[0:1], s[34:35], 2
	s_load_dword s10, s[4:5], 0x4c
	ds_read_b32 v1, v3 offset:268
	s_add_u32 s7, s28, s0
	s_mul_i32 s9, s37, s6
	s_addc_u32 s11, s29, s1
	s_add_u32 s12, s24, s9
	s_addc_u32 s8, s25, s8
	s_waitcnt lgkmcnt(0)
	s_and_b32 s13, s10, 0xffff
	s_mov_b64 s[0:1], 0
	v_mov_b32_e32 v5, s11
	v_mov_b32_e32 v6, s31
	s_mov_b32 s14, 0x43f00000
	s_mov_b32 s15, 0x3c7fffff
	;; [unrolled: 1-line block ×4, first 2 shown]
	s_movk_i32 s18, 0x80
	v_mov_b32_e32 v7, s8
	v_mov_b32_e32 v2, v0
	s_branch .LBB3_31
.LBB3_29:                               ;   in Loop: Header=BB3_31 Depth=1
	s_or_b64 exec, exec, s[10:11]
.LBB3_30:                               ;   in Loop: Header=BB3_31 Depth=1
	s_or_b64 exec, exec, s[8:9]
	v_lshrrev_b32_e32 v8, 24, v8
	v_and_or_b32 v10, v8, s18, v9
	v_add_co_u32_e32 v8, vcc, s12, v2
	v_addc_co_u32_e32 v9, vcc, 0, v7, vcc
	v_add_u32_e32 v2, s13, v2
	v_cmp_le_u32_e32 vcc, s37, v2
	s_or_b64 s[0:1], vcc, s[0:1]
	global_store_byte v[8:9], v10, off
	s_andn2_b64 exec, exec, s[0:1]
	s_cbranch_execz .LBB3_36
.LBB3_31:                               ; =>This Inner Loop Header: Depth=1
	v_lshlrev_b64 v[8:9], 2, v[2:3]
	v_add_co_u32_e32 v10, vcc, s7, v8
	v_addc_co_u32_e32 v11, vcc, v5, v9, vcc
	v_add_co_u32_e32 v8, vcc, s30, v8
	global_load_dword v10, v[10:11], off
	v_addc_co_u32_e32 v9, vcc, v6, v9, vcc
	global_load_dword v8, v[8:9], off
	s_waitcnt vmcnt(1)
	v_mul_f32_e32 v9, v4, v10
	s_waitcnt vmcnt(0)
	v_mul_f32_e32 v8, v9, v8
	v_div_scale_f32 v9, s[8:9], v1, v1, v8
	v_rcp_f32_e32 v10, v9
	v_div_scale_f32 v11, vcc, v8, v1, v8
	v_fma_f32 v12, -v9, v10, 1.0
	v_fmac_f32_e32 v10, v12, v10
	v_mul_f32_e32 v12, v11, v10
	v_fma_f32 v13, -v9, v12, v11
	v_fmac_f32_e32 v12, v13, v10
	v_fma_f32 v9, -v9, v12, v11
	v_div_fmas_f32 v9, v9, v10, v12
	v_div_fixup_f32 v8, v9, v1, v8
	v_min_f32_e32 v8, 0x43e00000, v8
	v_max_f32_e32 v8, 0xc3e00000, v8
	v_and_b32_e32 v10, 0x7fffffff, v8
	v_cmp_gt_u32_e32 vcc, s14, v10
	v_mov_b32_e32 v9, 0x7f
	s_and_saveexec_b64 s[8:9], vcc
	s_cbranch_execz .LBB3_30
; %bb.32:                               ;   in Loop: Header=BB3_31 Depth=1
	v_cmp_lt_u32_e32 vcc, s15, v10
                                        ; implicit-def: $vgpr9
	s_and_saveexec_b64 s[10:11], vcc
	s_xor_b64 s[10:11], exec, s[10:11]
; %bb.33:                               ;   in Loop: Header=BB3_31 Depth=1
	v_bfe_u32 v9, v8, 20, 1
	v_add3_u32 v9, v8, v9, s16
	v_lshrrev_b32_e32 v9, 20, v9
; %bb.34:                               ;   in Loop: Header=BB3_31 Depth=1
	s_andn2_saveexec_b64 s[10:11], s[10:11]
	s_cbranch_execz .LBB3_29
; %bb.35:                               ;   in Loop: Header=BB3_31 Depth=1
	v_add_f32_e64 v9, |v8|, s17
	s_branch .LBB3_29
.LBB3_36:
	s_or_b64 exec, exec, s[2:3]
	s_branch .LBB3_177
.LBB3_37:
	s_cbranch_execz .LBB3_177
; %bb.38:
	s_ashr_i32 s0, s38, 31
	s_mul_hi_u32 s1, s38, s6
	s_mul_i32 s0, s0, s6
	s_add_i32 s1, s1, s0
	s_mul_i32 s0, s38, s6
	s_lshl_b64 s[0:1], s[0:1], 2
	s_load_dword s18, s[4:5], 0x40
	s_add_u32 s33, s28, s0
	s_addc_u32 s48, s29, s1
	s_ashr_i32 s49, s37, 2
	s_add_u32 s19, s4, 64
	s_mov_b32 s7, 0
	v_cmp_gt_u32_e64 s[0:1], s49, v0
	s_addc_u32 s20, s5, 0
	v_mov_b32_e32 v10, 0
	s_and_saveexec_b64 s[2:3], s[0:1]
	s_cbranch_execz .LBB3_48
; %bb.39:
	s_waitcnt lgkmcnt(0)
	s_cmp_lt_u32 s6, s18
	s_cselect_b32 s4, 12, 18
	s_add_u32 s4, s19, s4
	s_addc_u32 s5, s20, 0
	v_mov_b32_e32 v3, 0
	global_load_ushort v1, v3, s[4:5]
	s_mov_b64 s[4:5], 0
	v_mov_b32_e32 v8, s48
	v_mov_b32_e32 v2, v0
	v_mov_b32_e32 v10, v3
                                        ; implicit-def: $sgpr8_sgpr9
	s_waitcnt vmcnt(0)
	v_add_u32_e32 v4, v1, v1
	v_mul_lo_u32 v9, v1, 3
	v_lshlrev_b32_e32 v11, 1, v1
	v_add_u32_e32 v12, v4, v1
	s_branch .LBB3_43
.LBB3_40:                               ;   in Loop: Header=BB3_43 Depth=1
	s_or_b64 exec, exec, s[14:15]
	s_orn2_b64 s[14:15], s[16:17], exec
.LBB3_41:                               ;   in Loop: Header=BB3_43 Depth=1
	s_or_b64 exec, exec, s[12:13]
	s_andn2_b64 s[8:9], s[8:9], exec
	s_and_b64 s[12:13], s[14:15], exec
	s_or_b64 s[8:9], s[8:9], s[12:13]
.LBB3_42:                               ;   in Loop: Header=BB3_43 Depth=1
	s_or_b64 exec, exec, s[10:11]
	s_and_b64 s[10:11], exec, s[8:9]
	s_or_b64 s[4:5], s[10:11], s[4:5]
	s_andn2_b64 exec, exec, s[4:5]
	s_cbranch_execz .LBB3_47
.LBB3_43:                               ; =>This Inner Loop Header: Depth=1
	v_lshlrev_b64 v[4:5], 4, v[2:3]
	v_add_co_u32_e32 v4, vcc, s33, v4
	v_addc_co_u32_e32 v5, vcc, v8, v5, vcc
	global_load_dwordx4 v[14:17], v[4:5], off
	v_add_u32_e32 v4, v2, v1
	v_cmp_gt_u32_e32 vcc, s49, v4
	s_or_b64 s[8:9], s[8:9], exec
	s_waitcnt vmcnt(0)
	v_fmac_f32_e32 v10, v14, v14
	v_fmac_f32_e32 v10, v15, v15
	;; [unrolled: 1-line block ×4, first 2 shown]
	s_and_saveexec_b64 s[10:11], vcc
	s_cbranch_execz .LBB3_42
; %bb.44:                               ;   in Loop: Header=BB3_43 Depth=1
	v_mov_b32_e32 v5, v3
	v_lshlrev_b64 v[6:7], 4, v[4:5]
	v_add_co_u32_e32 v6, vcc, s33, v6
	v_addc_co_u32_e32 v7, vcc, v8, v7, vcc
	global_load_dwordx4 v[14:17], v[6:7], off
	v_add_u32_e32 v6, v11, v2
	v_cmp_gt_u32_e32 vcc, s49, v6
	s_mov_b64 s[14:15], -1
	s_waitcnt vmcnt(0)
	v_fmac_f32_e32 v10, v14, v14
	v_fmac_f32_e32 v10, v15, v15
	;; [unrolled: 1-line block ×4, first 2 shown]
	s_and_saveexec_b64 s[12:13], vcc
	s_cbranch_execz .LBB3_41
; %bb.45:                               ;   in Loop: Header=BB3_43 Depth=1
	v_mov_b32_e32 v7, v3
	v_lshlrev_b64 v[6:7], 4, v[6:7]
	v_add_co_u32_e32 v6, vcc, s33, v6
	v_addc_co_u32_e32 v7, vcc, v8, v7, vcc
	global_load_dwordx4 v[14:17], v[6:7], off
	v_add_u32_e32 v2, v9, v2
	v_cmp_gt_u32_e32 vcc, s49, v2
	s_mov_b64 s[16:17], -1
	s_waitcnt vmcnt(0)
	v_fmac_f32_e32 v10, v14, v14
	v_fmac_f32_e32 v10, v15, v15
	;; [unrolled: 1-line block ×4, first 2 shown]
	s_and_saveexec_b64 s[14:15], vcc
	s_xor_b64 s[14:15], exec, s[14:15]
	s_cbranch_execz .LBB3_40
; %bb.46:                               ;   in Loop: Header=BB3_43 Depth=1
	v_lshlrev_b64 v[6:7], 4, v[2:3]
	v_add_co_u32_e32 v6, vcc, s33, v6
	v_addc_co_u32_e32 v7, vcc, v8, v7, vcc
	global_load_dwordx4 v[14:17], v[6:7], off
	v_add_u32_e32 v2, v12, v4
	v_cmp_le_u32_e32 vcc, s49, v2
	s_orn2_b64 s[16:17], vcc, exec
	s_waitcnt vmcnt(0)
	v_fmac_f32_e32 v10, v14, v14
	v_fmac_f32_e32 v10, v15, v15
	;; [unrolled: 1-line block ×4, first 2 shown]
	s_branch .LBB3_40
.LBB3_47:
	s_or_b64 exec, exec, s[4:5]
.LBB3_48:
	s_or_b64 exec, exec, s[2:3]
	s_waitcnt lgkmcnt(0)
	s_cmp_lt_u32 s6, s18
	s_cselect_b32 s2, 12, 18
	s_add_u32 s2, s19, s2
	s_addc_u32 s3, s20, 0
	v_mov_b32_e32 v1, 0
	global_load_ushort v2, v1, s[2:3]
	v_mbcnt_lo_u32_b32 v1, -1, 0
	v_mbcnt_hi_u32_b32 v1, -1, v1
	v_and_b32_e32 v4, 63, v1
	v_cmp_ne_u32_e32 vcc, 63, v4
	v_addc_co_u32_e32 v8, vcc, 0, v1, vcc
	v_lshlrev_b32_e32 v8, 2, v8
	ds_bpermute_b32 v11, v8, v10
	v_and_b32_e32 v3, 0x3c0, v0
	v_cmp_gt_u32_e32 vcc, 62, v4
	v_add_u32_e32 v5, 1, v1
	v_cndmask_b32_e64 v9, 0, 1, vcc
	v_lshlrev_b32_e32 v9, 1, v9
	s_waitcnt lgkmcnt(0)
	v_add_f32_e32 v11, v10, v11
	v_add_lshl_u32 v9, v9, v1, 2
	v_cmp_gt_u32_e32 vcc, 60, v4
	v_add_u32_e32 v6, 2, v1
	v_add_u32_e32 v7, 4, v1
	;; [unrolled: 1-line block ×4, first 2 shown]
	v_cmp_eq_u32_e64 s[14:15], 0, v1
	s_waitcnt vmcnt(0)
	v_sub_u32_e64 v3, v2, v3 clamp
	v_cmp_lt_u32_e64 s[2:3], v5, v3
	v_cndmask_b32_e64 v5, v10, v11, s[2:3]
	ds_bpermute_b32 v11, v9, v5
	v_cndmask_b32_e64 v10, 0, 1, vcc
	v_lshlrev_b32_e32 v10, 2, v10
	v_cmp_lt_u32_e64 s[4:5], v6, v3
	v_add_lshl_u32 v10, v10, v1, 2
	s_waitcnt lgkmcnt(0)
	v_add_f32_e32 v11, v5, v11
	v_cndmask_b32_e64 v5, v5, v11, s[4:5]
	ds_bpermute_b32 v6, v10, v5
	v_cmp_gt_u32_e32 vcc, 56, v4
	v_cndmask_b32_e64 v11, 0, 1, vcc
	v_lshlrev_b32_e32 v11, 3, v11
	v_cmp_lt_u32_e64 s[8:9], v7, v3
	s_waitcnt lgkmcnt(0)
	v_add_f32_e32 v6, v5, v6
	v_add_lshl_u32 v11, v11, v1, 2
	v_cndmask_b32_e64 v5, v5, v6, s[8:9]
	ds_bpermute_b32 v6, v11, v5
	v_cmp_gt_u32_e32 vcc, 48, v4
	v_cndmask_b32_e64 v7, 0, 1, vcc
	v_lshlrev_b32_e32 v7, 4, v7
	v_cmp_lt_u32_e64 s[10:11], v13, v3
	s_waitcnt lgkmcnt(0)
	v_add_f32_e32 v6, v5, v6
	v_add_lshl_u32 v12, v7, v1, 2
	v_cndmask_b32_e64 v5, v5, v6, s[10:11]
	ds_bpermute_b32 v6, v12, v5
	v_cmp_gt_u32_e32 vcc, 32, v4
	v_cndmask_b32_e64 v4, 0, 1, vcc
	v_lshlrev_b32_e32 v4, 5, v4
	v_add_lshl_u32 v13, v4, v1, 2
	s_waitcnt lgkmcnt(0)
	v_add_f32_e32 v4, v5, v6
	v_cmp_lt_u32_e64 s[12:13], v14, v3
	v_cndmask_b32_e64 v4, v5, v4, s[12:13]
	ds_bpermute_b32 v5, v13, v4
	v_add_u32_e32 v6, 32, v1
	v_readfirstlane_b32 s50, v2
	v_cmp_lt_u32_e64 s[20:21], v6, v3
	s_waitcnt lgkmcnt(0)
	v_add_f32_e32 v2, v4, v5
	v_cndmask_b32_e64 v2, v4, v2, s[20:21]
	s_and_saveexec_b64 s[16:17], s[14:15]
	s_cbranch_execz .LBB3_50
; %bb.49:
	v_lshrrev_b32_e32 v3, 4, v0
	v_and_b32_e32 v3, 60, v3
	ds_write_b32 v3, v2
.LBB3_50:
	s_or_b64 exec, exec, s[16:17]
	v_cmp_gt_u32_e64 s[16:17], 16, v0
	s_waitcnt lgkmcnt(0)
	s_barrier
	s_and_saveexec_b64 s[28:29], s[16:17]
	s_cbranch_execz .LBB3_52
; %bb.51:
	v_lshlrev_b32_e32 v2, 2, v1
	ds_read_b32 v2, v2
	v_and_b32_e32 v3, 15, v1
	v_cmp_ne_u32_e32 vcc, 15, v3
	v_addc_co_u32_e32 v4, vcc, 0, v1, vcc
	v_lshlrev_b32_e32 v4, 2, v4
	s_waitcnt lgkmcnt(0)
	ds_bpermute_b32 v4, v4, v2
	s_add_i32 s18, s50, 63
	s_lshr_b32 s34, s18, 6
	v_add_u32_e32 v5, 1, v3
	v_cmp_gt_u32_e64 s[18:19], 14, v3
	v_cmp_gt_u32_e32 vcc, s34, v5
	v_cndmask_b32_e64 v5, 0, 1, s[18:19]
	s_waitcnt lgkmcnt(0)
	v_add_f32_e32 v4, v2, v4
	v_lshlrev_b32_e32 v5, 1, v5
	v_cndmask_b32_e32 v4, v2, v4, vcc
	v_add_lshl_u32 v5, v5, v1, 2
	ds_bpermute_b32 v5, v5, v4
	v_add_u32_e32 v6, 2, v3
	v_cmp_gt_u32_e64 s[18:19], s34, v6
	v_add_u32_e32 v6, 4, v3
	s_waitcnt lgkmcnt(0)
	v_add_f32_e32 v5, v4, v5
	v_cndmask_b32_e64 v4, v4, v5, s[18:19]
	v_cmp_gt_u32_e64 s[18:19], 12, v3
	v_cndmask_b32_e64 v5, 0, 1, s[18:19]
	v_lshlrev_b32_e32 v5, 2, v5
	v_add_lshl_u32 v5, v5, v1, 2
	ds_bpermute_b32 v5, v5, v4
	v_cmp_gt_u32_e64 s[18:19], s34, v6
	s_waitcnt lgkmcnt(0)
	v_add_f32_e32 v5, v4, v5
	v_cndmask_b32_e64 v4, v4, v5, s[18:19]
	v_cmp_gt_u32_e64 s[18:19], 8, v3
	v_cndmask_b32_e64 v5, 0, 1, s[18:19]
	v_lshlrev_b32_e32 v5, 3, v5
	v_add_lshl_u32 v5, v5, v1, 2
	ds_bpermute_b32 v5, v5, v4
	v_add_u32_e32 v3, 8, v3
	v_cmp_gt_u32_e64 s[18:19], s34, v3
	s_waitcnt lgkmcnt(0)
	v_add_f32_e32 v5, v4, v5
	v_cndmask_b32_e64 v3, v4, v5, s[18:19]
	v_cndmask_b32_e32 v2, v2, v3, vcc
.LBB3_52:
	s_or_b64 exec, exec, s[28:29]
	v_cmp_eq_u32_e64 s[18:19], 0, v0
	s_and_saveexec_b64 s[28:29], s[18:19]
	s_cbranch_execz .LBB3_54
; %bb.53:
	v_cvt_f32_i32_e32 v3, s37
	v_div_scale_f32 v4, s[34:35], v3, v3, v2
	v_rcp_f32_e32 v5, v4
	v_div_scale_f32 v6, vcc, v2, v3, v2
	s_mov_b32 s34, 0x800000
	v_fma_f32 v7, -v4, v5, 1.0
	v_fmac_f32_e32 v5, v7, v5
	v_mul_f32_e32 v7, v6, v5
	v_fma_f32 v14, -v4, v7, v6
	v_fmac_f32_e32 v7, v14, v5
	v_fma_f32 v4, -v4, v7, v6
	v_div_fmas_f32 v4, v4, v5, v7
	v_div_fixup_f32 v2, v4, v3, v2
	v_add_f32_e32 v2, s36, v2
	v_mul_f32_e32 v3, 0x4b800000, v2
	v_cmp_gt_f32_e32 vcc, s34, v2
	v_cndmask_b32_e32 v2, v2, v3, vcc
	v_rsq_f32_e32 v2, v2
	v_mul_f32_e32 v3, 0x45800000, v2
	v_cndmask_b32_e32 v2, v2, v3, vcc
	v_mov_b32_e32 v3, 0
	ds_write_b32 v3, v2 offset:256
.LBB3_54:
	s_or_b64 exec, exec, s[28:29]
	v_mov_b32_e32 v15, 0
	s_waitcnt lgkmcnt(0)
	s_barrier
	ds_read_b32 v14, v15 offset:256
	s_and_saveexec_b64 s[28:29], s[0:1]
	s_cbranch_execz .LBB3_64
; %bb.55:
	s_add_i32 s52, s50, s50
	s_mul_i32 s36, s50, 3
	s_lshl_b32 s51, s50, 1
	s_mov_b64 s[34:35], 0
	v_mov_b32_e32 v3, 0
	v_mov_b32_e32 v16, s48
	;; [unrolled: 1-line block ×3, first 2 shown]
	s_add_i32 s52, s52, s50
	v_mov_b32_e32 v15, 0
	v_mov_b32_e32 v2, v0
                                        ; implicit-def: $sgpr38_sgpr39
	s_branch .LBB3_59
.LBB3_56:                               ;   in Loop: Header=BB3_59 Depth=1
	s_or_b64 exec, exec, s[44:45]
	s_orn2_b64 s[44:45], s[46:47], exec
.LBB3_57:                               ;   in Loop: Header=BB3_59 Depth=1
	s_or_b64 exec, exec, s[42:43]
	s_andn2_b64 s[38:39], s[38:39], exec
	s_and_b64 s[42:43], s[44:45], exec
	s_or_b64 s[38:39], s[38:39], s[42:43]
.LBB3_58:                               ;   in Loop: Header=BB3_59 Depth=1
	s_or_b64 exec, exec, s[40:41]
	s_and_b64 s[40:41], exec, s[38:39]
	s_or_b64 s[34:35], s[40:41], s[34:35]
	s_andn2_b64 exec, exec, s[34:35]
	s_cbranch_execz .LBB3_63
.LBB3_59:                               ; =>This Inner Loop Header: Depth=1
	v_lshlrev_b64 v[4:5], 4, v[2:3]
	v_add_co_u32_e32 v6, vcc, s33, v4
	v_addc_co_u32_e32 v7, vcc, v16, v5, vcc
	v_add_co_u32_e32 v4, vcc, s30, v4
	global_load_dwordx4 v[18:21], v[6:7], off
	v_addc_co_u32_e32 v5, vcc, v17, v5, vcc
	global_load_dwordx4 v[22:25], v[4:5], off
	v_add_u32_e32 v4, s50, v2
	v_cmp_gt_u32_e32 vcc, s49, v4
	s_or_b64 s[38:39], s[38:39], exec
	s_waitcnt vmcnt(1) lgkmcnt(0)
	v_mul_f32_e32 v5, v14, v18
	v_mul_f32_e32 v6, v14, v19
	;; [unrolled: 1-line block ×4, first 2 shown]
	s_waitcnt vmcnt(0)
	v_mul_f32_e32 v5, v5, v22
	v_mul_f32_e32 v6, v6, v23
	;; [unrolled: 1-line block ×4, first 2 shown]
	v_max3_f32 v5, v15, |v5|, |v6|
	v_max3_f32 v15, v5, |v7|, |v18|
	s_and_saveexec_b64 s[40:41], vcc
	s_cbranch_execz .LBB3_58
; %bb.60:                               ;   in Loop: Header=BB3_59 Depth=1
	v_mov_b32_e32 v5, v3
	v_lshlrev_b64 v[6:7], 4, v[4:5]
	v_add_co_u32_e32 v18, vcc, s33, v6
	v_addc_co_u32_e32 v19, vcc, v16, v7, vcc
	v_add_co_u32_e32 v6, vcc, s30, v6
	global_load_dwordx4 v[18:21], v[18:19], off
	v_addc_co_u32_e32 v7, vcc, v17, v7, vcc
	global_load_dwordx4 v[22:25], v[6:7], off
	v_add_u32_e32 v6, s51, v2
	v_cmp_gt_u32_e32 vcc, s49, v6
	s_mov_b64 s[44:45], -1
	s_waitcnt vmcnt(1)
	v_mul_f32_e32 v5, v14, v18
	v_mul_f32_e32 v7, v14, v19
	;; [unrolled: 1-line block ×4, first 2 shown]
	s_waitcnt vmcnt(0)
	v_mul_f32_e32 v5, v5, v22
	v_mul_f32_e32 v7, v7, v23
	;; [unrolled: 1-line block ×4, first 2 shown]
	v_max3_f32 v5, v15, |v5|, |v7|
	v_max3_f32 v15, v5, |v18|, |v19|
	s_and_saveexec_b64 s[42:43], vcc
	s_cbranch_execz .LBB3_57
; %bb.61:                               ;   in Loop: Header=BB3_59 Depth=1
	v_mov_b32_e32 v7, v3
	v_lshlrev_b64 v[6:7], 4, v[6:7]
	v_add_co_u32_e32 v18, vcc, s33, v6
	v_addc_co_u32_e32 v19, vcc, v16, v7, vcc
	v_add_co_u32_e32 v6, vcc, s30, v6
	global_load_dwordx4 v[18:21], v[18:19], off
	v_addc_co_u32_e32 v7, vcc, v17, v7, vcc
	global_load_dwordx4 v[22:25], v[6:7], off
	v_add_u32_e32 v2, s36, v2
	v_cmp_gt_u32_e32 vcc, s49, v2
	s_mov_b64 s[46:47], -1
	s_waitcnt vmcnt(1)
	v_mul_f32_e32 v5, v14, v18
	v_mul_f32_e32 v6, v14, v19
	;; [unrolled: 1-line block ×4, first 2 shown]
	s_waitcnt vmcnt(0)
	v_mul_f32_e32 v5, v5, v22
	v_mul_f32_e32 v6, v6, v23
	;; [unrolled: 1-line block ×4, first 2 shown]
	v_max3_f32 v5, v15, |v5|, |v6|
	v_max3_f32 v15, v5, |v7|, |v18|
	s_and_saveexec_b64 s[44:45], vcc
	s_xor_b64 s[44:45], exec, s[44:45]
	s_cbranch_execz .LBB3_56
; %bb.62:                               ;   in Loop: Header=BB3_59 Depth=1
	v_lshlrev_b64 v[6:7], 4, v[2:3]
	v_add_co_u32_e32 v18, vcc, s33, v6
	v_addc_co_u32_e32 v19, vcc, v16, v7, vcc
	v_add_co_u32_e32 v6, vcc, s30, v6
	global_load_dwordx4 v[18:21], v[18:19], off
	v_addc_co_u32_e32 v7, vcc, v17, v7, vcc
	global_load_dwordx4 v[22:25], v[6:7], off
	v_add_u32_e32 v2, s52, v4
	v_cmp_le_u32_e32 vcc, s49, v2
	s_orn2_b64 s[46:47], vcc, exec
	s_waitcnt vmcnt(1)
	v_mul_f32_e32 v4, v14, v18
	v_mul_f32_e32 v5, v14, v19
	;; [unrolled: 1-line block ×4, first 2 shown]
	s_waitcnt vmcnt(0)
	v_mul_f32_e32 v4, v4, v22
	v_mul_f32_e32 v5, v5, v23
	;; [unrolled: 1-line block ×4, first 2 shown]
	v_max3_f32 v4, v15, |v4|, |v5|
	v_max3_f32 v15, v4, |v6|, |v7|
	s_branch .LBB3_56
.LBB3_63:
	s_or_b64 exec, exec, s[34:35]
.LBB3_64:
	s_or_b64 exec, exec, s[28:29]
	ds_bpermute_b32 v2, v8, v15
	s_waitcnt lgkmcnt(0)
	v_cmp_lt_f32_e32 vcc, v15, v2
	v_cndmask_b32_e32 v2, v15, v2, vcc
	v_cndmask_b32_e64 v2, v15, v2, s[2:3]
	ds_bpermute_b32 v3, v9, v2
	s_or_b64 s[2:3], s[2:3], s[4:5]
	s_or_b64 s[2:3], s[8:9], s[2:3]
	;; [unrolled: 1-line block ×4, first 2 shown]
	s_waitcnt lgkmcnt(0)
	v_cmp_lt_f32_e32 vcc, v2, v3
	v_cndmask_b32_e32 v3, v2, v3, vcc
	v_cndmask_b32_e64 v2, v2, v3, s[4:5]
	ds_bpermute_b32 v3, v10, v2
	s_waitcnt lgkmcnt(0)
	v_cmp_lt_f32_e32 vcc, v2, v3
	v_cndmask_b32_e32 v3, v2, v3, vcc
	v_cndmask_b32_e64 v2, v2, v3, s[8:9]
	ds_bpermute_b32 v3, v11, v2
	;; [unrolled: 5-line block ×4, first 2 shown]
	s_waitcnt lgkmcnt(0)
	v_cmp_lt_f32_e32 vcc, v2, v3
	s_and_b64 vcc, s[20:21], vcc
	v_cndmask_b32_e32 v2, v2, v3, vcc
	s_or_b64 vcc, s[20:21], s[2:3]
	v_cndmask_b32_e32 v2, v15, v2, vcc
	s_and_saveexec_b64 s[2:3], s[14:15]
	s_cbranch_execz .LBB3_66
; %bb.65:
	v_lshrrev_b32_e32 v3, 4, v0
	v_and_b32_e32 v3, 60, v3
	ds_write_b32 v3, v2 offset:64
.LBB3_66:
	s_or_b64 exec, exec, s[2:3]
	s_waitcnt lgkmcnt(0)
	s_barrier
	s_and_saveexec_b64 s[8:9], s[16:17]
	s_cbranch_execz .LBB3_68
; %bb.67:
	v_lshlrev_b32_e32 v2, 2, v1
	ds_read_b32 v2, v2 offset:64
	v_and_b32_e32 v3, 15, v1
	v_cmp_ne_u32_e32 vcc, 15, v3
	v_addc_co_u32_e32 v4, vcc, 0, v1, vcc
	v_lshlrev_b32_e32 v4, 2, v4
	s_waitcnt lgkmcnt(0)
	ds_bpermute_b32 v4, v4, v2
	s_add_i32 s2, s50, 63
	s_lshr_b32 s4, s2, 6
	v_add_u32_e32 v5, 1, v3
	v_cmp_gt_u32_e64 s[2:3], 14, v3
	s_waitcnt lgkmcnt(0)
	v_cmp_lt_f32_e32 vcc, v2, v4
	v_cndmask_b32_e32 v4, v2, v4, vcc
	v_cmp_gt_u32_e32 vcc, s4, v5
	v_cndmask_b32_e64 v5, 0, 1, s[2:3]
	v_lshlrev_b32_e32 v5, 1, v5
	v_cndmask_b32_e32 v4, v2, v4, vcc
	v_add_lshl_u32 v5, v5, v1, 2
	ds_bpermute_b32 v5, v5, v4
	v_add_u32_e32 v6, 2, v3
	s_waitcnt lgkmcnt(0)
	v_cmp_lt_f32_e64 s[2:3], v4, v5
	v_cndmask_b32_e64 v5, v4, v5, s[2:3]
	v_cmp_gt_u32_e64 s[2:3], s4, v6
	v_cndmask_b32_e64 v4, v4, v5, s[2:3]
	v_cmp_gt_u32_e64 s[2:3], 12, v3
	v_cndmask_b32_e64 v5, 0, 1, s[2:3]
	v_lshlrev_b32_e32 v5, 2, v5
	v_add_lshl_u32 v5, v5, v1, 2
	ds_bpermute_b32 v5, v5, v4
	v_add_u32_e32 v6, 4, v3
	s_waitcnt lgkmcnt(0)
	v_cmp_lt_f32_e64 s[2:3], v4, v5
	v_cndmask_b32_e64 v5, v4, v5, s[2:3]
	v_cmp_gt_u32_e64 s[2:3], s4, v6
	v_cndmask_b32_e64 v4, v4, v5, s[2:3]
	v_cmp_gt_u32_e64 s[2:3], 8, v3
	v_cndmask_b32_e64 v5, 0, 1, s[2:3]
	v_lshlrev_b32_e32 v5, 3, v5
	v_add_lshl_u32 v1, v5, v1, 2
	ds_bpermute_b32 v1, v1, v4
	v_add_u32_e32 v3, 8, v3
	v_cmp_gt_u32_e64 s[2:3], s4, v3
	s_waitcnt lgkmcnt(0)
	v_cmp_lt_f32_e64 s[4:5], v4, v1
	s_and_b64 s[2:3], s[2:3], s[4:5]
	v_cndmask_b32_e64 v1, v4, v1, s[2:3]
	v_cndmask_b32_e32 v2, v2, v1, vcc
.LBB3_68:
	s_or_b64 exec, exec, s[8:9]
	s_and_saveexec_b64 s[2:3], s[18:19]
	s_cbranch_execz .LBB3_72
; %bb.69:
	s_cmp_eq_u64 s[22:23], 0
	s_cbranch_scc1 .LBB3_71
; %bb.70:
	s_load_dword s4, s[22:23], 0x0
	v_max_f32_e32 v1, v2, v2
	s_waitcnt lgkmcnt(0)
	v_max_f32_e64 v2, s4, s4
	v_min_f32_e32 v2, v1, v2
.LBB3_71:
	s_mov_b32 s8, 0x43e00000
	v_div_scale_f32 v1, s[4:5], s8, s8, v2
	v_rcp_f32_e32 v3, v1
	v_div_scale_f32 v4, vcc, v2, s8, v2
	s_lshl_b64 s[4:5], s[6:7], 2
	v_fma_f32 v5, -v1, v3, 1.0
	v_fmac_f32_e32 v3, v5, v3
	v_mul_f32_e32 v5, v4, v3
	v_fma_f32 v6, -v1, v5, v4
	v_fmac_f32_e32 v5, v6, v3
	v_fma_f32 v1, -v1, v5, v4
	v_div_fmas_f32 v1, v1, v3, v5
	v_div_fixup_f32 v1, v1, s8, v2
	s_add_u32 s4, s26, s4
	v_max_f32_e32 v1, 0x36924925, v1
	v_mov_b32_e32 v2, 0
	s_addc_u32 s5, s27, s5
	ds_write_b32 v2, v1 offset:260
	global_store_dword v2, v1, s[4:5]
.LBB3_72:
	s_or_b64 exec, exec, s[2:3]
	s_waitcnt lgkmcnt(0)
	s_barrier
	s_and_saveexec_b64 s[2:3], s[0:1]
	s_cbranch_execz .LBB3_177
; %bb.73:
	v_mov_b32_e32 v1, 0
	ds_read_b32 v15, v1 offset:260
	s_ashr_i32 s0, s37, 31
	s_mul_hi_u32 s1, s37, s6
	s_mul_i32 s0, s0, s6
	s_add_i32 s1, s1, s0
	s_mul_i32 s0, s37, s6
	s_add_u32 s12, s24, s0
	s_addc_u32 s13, s25, s1
	s_mul_i32 s14, s50, 3
	s_lshl_b32 s15, s50, 1
	s_mov_b64 s[0:1], 0
	v_mov_b32_e32 v16, s48
	v_mov_b32_e32 v17, s31
	s_mov_b32 s16, 0x43f00000
	s_mov_b32 s17, 0x3c7fffff
	;; [unrolled: 1-line block ×4, first 2 shown]
	s_movk_i32 s20, 0x80
	s_movk_i32 s21, 0xff
	s_branch .LBB3_79
.LBB3_74:                               ;   in Loop: Header=BB3_79 Depth=1
	s_or_b64 exec, exec, s[10:11]
.LBB3_75:                               ;   in Loop: Header=BB3_79 Depth=1
	s_or_b64 exec, exec, s[8:9]
	v_and_b32_sdwa v12, v8, s20 dst_sel:DWORD dst_unused:UNUSED_PAD src0_sel:BYTE_3 src1_sel:DWORD
	v_lshlrev_b64 v[8:9], 2, v[0:1]
	v_and_b32_sdwa v3, v3, s20 dst_sel:DWORD dst_unused:UNUSED_PAD src0_sel:BYTE_3 src1_sel:DWORD
	v_mov_b32_e32 v0, s13
	v_add_co_u32_e32 v8, vcc, s12, v8
	v_and_or_b32 v4, v4, s21, v12
	v_lshrrev_b32_e32 v11, 24, v11
	v_addc_co_u32_e32 v9, vcc, v0, v9, vcc
	v_lshlrev_b32_e32 v0, 24, v7
	v_and_b32_e32 v5, 0x80000000, v5
	v_lshlrev_b32_e32 v4, 16, v4
	v_and_or_b32 v2, v2, s21, v3
	v_and_b32_e32 v3, 0xff, v6
	v_or3_b32 v0, v5, v0, v4
	v_lshlrev_b32_e32 v2, 8, v2
	v_and_or_b32 v3, v11, s20, v3
	s_add_i32 s8, s50, s50
	v_or3_b32 v0, v0, v2, v3
	s_add_i32 s8, s8, s50
	global_store_dword v[8:9], v0, off
	v_add_u32_e32 v0, s8, v10
	v_cmp_le_u32_e32 vcc, s49, v0
	s_orn2_b64 s[8:9], vcc, exec
.LBB3_76:                               ;   in Loop: Header=BB3_79 Depth=1
	s_or_b64 exec, exec, s[6:7]
	s_orn2_b64 s[6:7], s[8:9], exec
.LBB3_77:                               ;   in Loop: Header=BB3_79 Depth=1
	s_or_b64 exec, exec, s[4:5]
	s_orn2_b64 s[4:5], s[6:7], exec
.LBB3_78:                               ;   in Loop: Header=BB3_79 Depth=1
	s_or_b64 exec, exec, s[2:3]
	s_and_b64 s[2:3], exec, s[4:5]
	s_or_b64 s[0:1], s[2:3], s[0:1]
	s_andn2_b64 exec, exec, s[0:1]
	s_cbranch_execz .LBB3_177
.LBB3_79:                               ; =>This Inner Loop Header: Depth=1
	v_lshlrev_b64 v[6:7], 4, v[0:1]
	v_add_co_u32_e32 v2, vcc, s33, v6
	v_addc_co_u32_e32 v3, vcc, v16, v7, vcc
	v_add_co_u32_e32 v6, vcc, s30, v6
	global_load_dwordx4 v[2:5], v[2:3], off
	v_addc_co_u32_e32 v7, vcc, v17, v7, vcc
	global_load_dwordx4 v[6:9], v[6:7], off
	s_waitcnt vmcnt(1)
	v_mul_f32_e32 v2, v14, v2
	s_waitcnt vmcnt(0)
	v_mul_f32_e32 v6, v2, v6
	s_waitcnt lgkmcnt(0)
	v_div_scale_f32 v10, s[2:3], v15, v15, v6
	v_rcp_f32_e32 v11, v10
	v_div_scale_f32 v12, vcc, v6, v15, v6
	v_mov_b32_e32 v2, 0x7f
	v_fma_f32 v13, -v10, v11, 1.0
	v_fmac_f32_e32 v11, v13, v11
	v_mul_f32_e32 v13, v12, v11
	v_fma_f32 v18, -v10, v13, v12
	v_fmac_f32_e32 v13, v18, v11
	v_fma_f32 v10, -v10, v13, v12
	v_div_fmas_f32 v10, v10, v11, v13
	v_div_fixup_f32 v6, v10, v15, v6
	v_min_f32_e32 v6, 0x43e00000, v6
	v_max_f32_e32 v10, 0xc3e00000, v6
	v_and_b32_e32 v11, 0x7fffffff, v10
	v_cmp_gt_u32_e32 vcc, s16, v11
	v_mov_b32_e32 v6, 0x7f
	s_and_saveexec_b64 s[2:3], vcc
	s_cbranch_execz .LBB3_85
; %bb.80:                               ;   in Loop: Header=BB3_79 Depth=1
	v_cmp_lt_u32_e32 vcc, s17, v11
                                        ; implicit-def: $vgpr6
	s_and_saveexec_b64 s[4:5], vcc
	s_xor_b64 s[4:5], exec, s[4:5]
; %bb.81:                               ;   in Loop: Header=BB3_79 Depth=1
	v_bfe_u32 v6, v10, 20, 1
	v_add3_u32 v6, v10, v6, s18
	v_lshrrev_b32_e32 v6, 20, v6
; %bb.82:                               ;   in Loop: Header=BB3_79 Depth=1
	s_andn2_saveexec_b64 s[4:5], s[4:5]
; %bb.83:                               ;   in Loop: Header=BB3_79 Depth=1
	v_add_f32_e64 v6, |v10|, s19
; %bb.84:                               ;   in Loop: Header=BB3_79 Depth=1
	s_or_b64 exec, exec, s[4:5]
.LBB3_85:                               ;   in Loop: Header=BB3_79 Depth=1
	s_or_b64 exec, exec, s[2:3]
	v_mul_f32_e32 v3, v14, v3
	v_mul_f32_e32 v3, v3, v7
	v_div_scale_f32 v7, s[2:3], v15, v15, v3
	v_rcp_f32_e32 v11, v7
	v_div_scale_f32 v12, vcc, v3, v15, v3
	v_fma_f32 v13, -v7, v11, 1.0
	v_fmac_f32_e32 v11, v13, v11
	v_mul_f32_e32 v13, v12, v11
	v_fma_f32 v18, -v7, v13, v12
	v_fmac_f32_e32 v13, v18, v11
	v_fma_f32 v7, -v7, v13, v12
	v_div_fmas_f32 v7, v7, v11, v13
	v_div_fixup_f32 v3, v7, v15, v3
	v_min_f32_e32 v3, 0x43e00000, v3
	v_max_f32_e32 v3, 0xc3e00000, v3
	v_and_b32_e32 v7, 0x7fffffff, v3
	v_cmp_gt_u32_e32 vcc, s16, v7
	s_and_saveexec_b64 s[2:3], vcc
	s_cbranch_execz .LBB3_91
; %bb.86:                               ;   in Loop: Header=BB3_79 Depth=1
	v_cmp_lt_u32_e32 vcc, s17, v7
                                        ; implicit-def: $vgpr2
	s_and_saveexec_b64 s[4:5], vcc
	s_xor_b64 s[4:5], exec, s[4:5]
; %bb.87:                               ;   in Loop: Header=BB3_79 Depth=1
	v_bfe_u32 v2, v3, 20, 1
	v_add3_u32 v2, v3, v2, s18
	v_lshrrev_b32_e32 v2, 20, v2
; %bb.88:                               ;   in Loop: Header=BB3_79 Depth=1
	s_andn2_saveexec_b64 s[4:5], s[4:5]
; %bb.89:                               ;   in Loop: Header=BB3_79 Depth=1
	v_add_f32_e64 v2, |v3|, s19
; %bb.90:                               ;   in Loop: Header=BB3_79 Depth=1
	s_or_b64 exec, exec, s[4:5]
.LBB3_91:                               ;   in Loop: Header=BB3_79 Depth=1
	s_or_b64 exec, exec, s[2:3]
	v_mul_f32_e32 v4, v14, v4
	v_mul_f32_e32 v4, v4, v8
	v_div_scale_f32 v7, s[2:3], v15, v15, v4
	v_rcp_f32_e32 v8, v7
	v_div_scale_f32 v11, vcc, v4, v15, v4
	v_fma_f32 v12, -v7, v8, 1.0
	v_fmac_f32_e32 v8, v12, v8
	v_mul_f32_e32 v12, v11, v8
	v_fma_f32 v13, -v7, v12, v11
	v_fmac_f32_e32 v12, v13, v8
	v_fma_f32 v7, -v7, v12, v11
	v_div_fmas_f32 v7, v7, v8, v12
	v_div_fixup_f32 v4, v7, v15, v4
	v_min_f32_e32 v4, 0x43e00000, v4
	v_max_f32_e32 v8, 0xc3e00000, v4
	v_and_b32_e32 v11, 0x7fffffff, v8
	v_cmp_gt_u32_e32 vcc, s16, v11
	v_mov_b32_e32 v7, 0x7f
	v_mov_b32_e32 v4, 0x7f
	s_and_saveexec_b64 s[2:3], vcc
	s_cbranch_execz .LBB3_97
; %bb.92:                               ;   in Loop: Header=BB3_79 Depth=1
	v_cmp_lt_u32_e32 vcc, s17, v11
                                        ; implicit-def: $vgpr4
	s_and_saveexec_b64 s[4:5], vcc
	s_xor_b64 s[4:5], exec, s[4:5]
; %bb.93:                               ;   in Loop: Header=BB3_79 Depth=1
	v_bfe_u32 v4, v8, 20, 1
	v_add3_u32 v4, v8, v4, s18
	v_lshrrev_b32_e32 v4, 20, v4
; %bb.94:                               ;   in Loop: Header=BB3_79 Depth=1
	s_andn2_saveexec_b64 s[4:5], s[4:5]
; %bb.95:                               ;   in Loop: Header=BB3_79 Depth=1
	v_add_f32_e64 v4, |v8|, s19
; %bb.96:                               ;   in Loop: Header=BB3_79 Depth=1
	s_or_b64 exec, exec, s[4:5]
.LBB3_97:                               ;   in Loop: Header=BB3_79 Depth=1
	s_or_b64 exec, exec, s[2:3]
	v_mul_f32_e32 v5, v14, v5
	v_mul_f32_e32 v5, v5, v9
	v_div_scale_f32 v9, s[2:3], v15, v15, v5
	v_rcp_f32_e32 v11, v9
	v_div_scale_f32 v12, vcc, v5, v15, v5
	v_fma_f32 v13, -v9, v11, 1.0
	v_fmac_f32_e32 v11, v13, v11
	v_mul_f32_e32 v13, v12, v11
	v_fma_f32 v18, -v9, v13, v12
	v_fmac_f32_e32 v13, v18, v11
	v_fma_f32 v9, -v9, v13, v12
	v_div_fmas_f32 v9, v9, v11, v13
	v_div_fixup_f32 v5, v9, v15, v5
	v_min_f32_e32 v5, 0x43e00000, v5
	v_max_f32_e32 v5, 0xc3e00000, v5
	v_and_b32_e32 v9, 0x7fffffff, v5
	v_cmp_gt_u32_e32 vcc, s16, v9
	s_and_saveexec_b64 s[2:3], vcc
	s_cbranch_execz .LBB3_103
; %bb.98:                               ;   in Loop: Header=BB3_79 Depth=1
	v_cmp_lt_u32_e32 vcc, s17, v9
                                        ; implicit-def: $vgpr7
	s_and_saveexec_b64 s[4:5], vcc
	s_xor_b64 s[4:5], exec, s[4:5]
; %bb.99:                               ;   in Loop: Header=BB3_79 Depth=1
	v_bfe_u32 v7, v5, 20, 1
	v_add3_u32 v7, v5, v7, s18
	v_lshrrev_b32_e32 v7, 20, v7
; %bb.100:                              ;   in Loop: Header=BB3_79 Depth=1
	s_andn2_saveexec_b64 s[4:5], s[4:5]
; %bb.101:                              ;   in Loop: Header=BB3_79 Depth=1
	v_add_f32_e64 v7, |v5|, s19
; %bb.102:                              ;   in Loop: Header=BB3_79 Depth=1
	s_or_b64 exec, exec, s[4:5]
.LBB3_103:                              ;   in Loop: Header=BB3_79 Depth=1
	s_or_b64 exec, exec, s[2:3]
	v_and_b32_sdwa v11, v8, s20 dst_sel:DWORD dst_unused:UNUSED_PAD src0_sel:BYTE_3 src1_sel:DWORD
	v_and_b32_sdwa v3, v3, s20 dst_sel:DWORD dst_unused:UNUSED_PAD src0_sel:BYTE_3 src1_sel:DWORD
	v_lshlrev_b64 v[8:9], 2, v[0:1]
	v_and_or_b32 v4, v4, s21, v11
	v_lshrrev_b32_e32 v10, 24, v10
	v_mov_b32_e32 v12, s13
	v_add_co_u32_e32 v8, vcc, s12, v8
	v_lshlrev_b32_e32 v7, 24, v7
	v_and_b32_e32 v5, 0x80000000, v5
	v_lshlrev_b32_e32 v4, 16, v4
	v_and_or_b32 v2, v2, s21, v3
	v_and_b32_e32 v3, 0xff, v6
	v_addc_co_u32_e32 v9, vcc, v12, v9, vcc
	v_or3_b32 v4, v5, v7, v4
	v_lshlrev_b32_e32 v2, 8, v2
	v_and_or_b32 v3, v10, s20, v3
	v_add_u32_e32 v10, s50, v0
	v_or3_b32 v2, v4, v2, v3
	v_cmp_gt_u32_e32 vcc, s49, v10
	s_mov_b64 s[4:5], -1
	global_store_dword v[8:9], v2, off
	s_and_saveexec_b64 s[2:3], vcc
	s_cbranch_execz .LBB3_78
; %bb.104:                              ;   in Loop: Header=BB3_79 Depth=1
	v_mov_b32_e32 v11, v1
	v_lshlrev_b64 v[6:7], 4, v[10:11]
	v_mov_b32_e32 v3, s48
	v_add_co_u32_e32 v2, vcc, s33, v6
	v_addc_co_u32_e32 v3, vcc, v3, v7, vcc
	v_mov_b32_e32 v8, s31
	v_add_co_u32_e32 v6, vcc, s30, v6
	global_load_dwordx4 v[2:5], v[2:3], off
	v_addc_co_u32_e32 v7, vcc, v8, v7, vcc
	global_load_dwordx4 v[6:9], v[6:7], off
	s_waitcnt vmcnt(1)
	v_mul_f32_e32 v2, v14, v2
	s_waitcnt vmcnt(0)
	v_mul_f32_e32 v6, v2, v6
	v_div_scale_f32 v12, s[4:5], v15, v15, v6
	v_rcp_f32_e32 v13, v12
	v_div_scale_f32 v18, vcc, v6, v15, v6
	v_mov_b32_e32 v2, 0x7f
	v_fma_f32 v19, -v12, v13, 1.0
	v_fmac_f32_e32 v13, v19, v13
	v_mul_f32_e32 v19, v18, v13
	v_fma_f32 v20, -v12, v19, v18
	v_fmac_f32_e32 v19, v20, v13
	v_fma_f32 v12, -v12, v19, v18
	v_div_fmas_f32 v12, v12, v13, v19
	v_div_fixup_f32 v6, v12, v15, v6
	v_min_f32_e32 v6, 0x43e00000, v6
	v_max_f32_e32 v12, 0xc3e00000, v6
	v_and_b32_e32 v13, 0x7fffffff, v12
	v_cmp_gt_u32_e32 vcc, s16, v13
	v_mov_b32_e32 v6, 0x7f
	s_and_saveexec_b64 s[4:5], vcc
	s_cbranch_execz .LBB3_110
; %bb.105:                              ;   in Loop: Header=BB3_79 Depth=1
	v_cmp_lt_u32_e32 vcc, s17, v13
                                        ; implicit-def: $vgpr6
	s_and_saveexec_b64 s[6:7], vcc
	s_xor_b64 s[6:7], exec, s[6:7]
; %bb.106:                              ;   in Loop: Header=BB3_79 Depth=1
	v_bfe_u32 v6, v12, 20, 1
	v_add3_u32 v6, v12, v6, s18
	v_lshrrev_b32_e32 v6, 20, v6
; %bb.107:                              ;   in Loop: Header=BB3_79 Depth=1
	s_andn2_saveexec_b64 s[6:7], s[6:7]
; %bb.108:                              ;   in Loop: Header=BB3_79 Depth=1
	v_add_f32_e64 v6, |v12|, s19
; %bb.109:                              ;   in Loop: Header=BB3_79 Depth=1
	s_or_b64 exec, exec, s[6:7]
.LBB3_110:                              ;   in Loop: Header=BB3_79 Depth=1
	s_or_b64 exec, exec, s[4:5]
	v_mul_f32_e32 v3, v14, v3
	v_mul_f32_e32 v3, v3, v7
	v_div_scale_f32 v7, s[4:5], v15, v15, v3
	v_rcp_f32_e32 v13, v7
	v_div_scale_f32 v18, vcc, v3, v15, v3
	v_fma_f32 v19, -v7, v13, 1.0
	v_fmac_f32_e32 v13, v19, v13
	v_mul_f32_e32 v19, v18, v13
	v_fma_f32 v20, -v7, v19, v18
	v_fmac_f32_e32 v19, v20, v13
	v_fma_f32 v7, -v7, v19, v18
	v_div_fmas_f32 v7, v7, v13, v19
	v_div_fixup_f32 v3, v7, v15, v3
	v_min_f32_e32 v3, 0x43e00000, v3
	v_max_f32_e32 v3, 0xc3e00000, v3
	v_and_b32_e32 v7, 0x7fffffff, v3
	v_cmp_gt_u32_e32 vcc, s16, v7
	s_and_saveexec_b64 s[4:5], vcc
	s_cbranch_execz .LBB3_116
; %bb.111:                              ;   in Loop: Header=BB3_79 Depth=1
	v_cmp_lt_u32_e32 vcc, s17, v7
                                        ; implicit-def: $vgpr2
	s_and_saveexec_b64 s[6:7], vcc
	s_xor_b64 s[6:7], exec, s[6:7]
; %bb.112:                              ;   in Loop: Header=BB3_79 Depth=1
	v_bfe_u32 v2, v3, 20, 1
	v_add3_u32 v2, v3, v2, s18
	v_lshrrev_b32_e32 v2, 20, v2
; %bb.113:                              ;   in Loop: Header=BB3_79 Depth=1
	s_andn2_saveexec_b64 s[6:7], s[6:7]
; %bb.114:                              ;   in Loop: Header=BB3_79 Depth=1
	v_add_f32_e64 v2, |v3|, s19
; %bb.115:                              ;   in Loop: Header=BB3_79 Depth=1
	s_or_b64 exec, exec, s[6:7]
.LBB3_116:                              ;   in Loop: Header=BB3_79 Depth=1
	s_or_b64 exec, exec, s[4:5]
	v_mul_f32_e32 v4, v14, v4
	v_mul_f32_e32 v4, v4, v8
	v_div_scale_f32 v7, s[4:5], v15, v15, v4
	v_rcp_f32_e32 v8, v7
	v_div_scale_f32 v13, vcc, v4, v15, v4
	v_fma_f32 v18, -v7, v8, 1.0
	v_fmac_f32_e32 v8, v18, v8
	v_mul_f32_e32 v18, v13, v8
	v_fma_f32 v19, -v7, v18, v13
	v_fmac_f32_e32 v18, v19, v8
	v_fma_f32 v7, -v7, v18, v13
	v_div_fmas_f32 v7, v7, v8, v18
	v_div_fixup_f32 v4, v7, v15, v4
	v_min_f32_e32 v4, 0x43e00000, v4
	v_max_f32_e32 v8, 0xc3e00000, v4
	v_and_b32_e32 v13, 0x7fffffff, v8
	v_cmp_gt_u32_e32 vcc, s16, v13
	v_mov_b32_e32 v7, 0x7f
	v_mov_b32_e32 v4, 0x7f
	s_and_saveexec_b64 s[4:5], vcc
	s_cbranch_execz .LBB3_122
; %bb.117:                              ;   in Loop: Header=BB3_79 Depth=1
	v_cmp_lt_u32_e32 vcc, s17, v13
                                        ; implicit-def: $vgpr4
	s_and_saveexec_b64 s[6:7], vcc
	s_xor_b64 s[6:7], exec, s[6:7]
; %bb.118:                              ;   in Loop: Header=BB3_79 Depth=1
	v_bfe_u32 v4, v8, 20, 1
	v_add3_u32 v4, v8, v4, s18
	v_lshrrev_b32_e32 v4, 20, v4
; %bb.119:                              ;   in Loop: Header=BB3_79 Depth=1
	s_andn2_saveexec_b64 s[6:7], s[6:7]
; %bb.120:                              ;   in Loop: Header=BB3_79 Depth=1
	v_add_f32_e64 v4, |v8|, s19
; %bb.121:                              ;   in Loop: Header=BB3_79 Depth=1
	s_or_b64 exec, exec, s[6:7]
.LBB3_122:                              ;   in Loop: Header=BB3_79 Depth=1
	s_or_b64 exec, exec, s[4:5]
	v_mul_f32_e32 v5, v14, v5
	v_mul_f32_e32 v5, v5, v9
	v_div_scale_f32 v9, s[4:5], v15, v15, v5
	v_rcp_f32_e32 v13, v9
	v_div_scale_f32 v18, vcc, v5, v15, v5
	v_fma_f32 v19, -v9, v13, 1.0
	v_fmac_f32_e32 v13, v19, v13
	v_mul_f32_e32 v19, v18, v13
	v_fma_f32 v20, -v9, v19, v18
	v_fmac_f32_e32 v19, v20, v13
	v_fma_f32 v9, -v9, v19, v18
	v_div_fmas_f32 v9, v9, v13, v19
	v_div_fixup_f32 v5, v9, v15, v5
	v_min_f32_e32 v5, 0x43e00000, v5
	v_max_f32_e32 v5, 0xc3e00000, v5
	v_and_b32_e32 v9, 0x7fffffff, v5
	v_cmp_gt_u32_e32 vcc, s16, v9
	s_and_saveexec_b64 s[4:5], vcc
	s_cbranch_execz .LBB3_128
; %bb.123:                              ;   in Loop: Header=BB3_79 Depth=1
	v_cmp_lt_u32_e32 vcc, s17, v9
                                        ; implicit-def: $vgpr7
	s_and_saveexec_b64 s[6:7], vcc
	s_xor_b64 s[6:7], exec, s[6:7]
; %bb.124:                              ;   in Loop: Header=BB3_79 Depth=1
	v_bfe_u32 v7, v5, 20, 1
	v_add3_u32 v7, v5, v7, s18
	v_lshrrev_b32_e32 v7, 20, v7
; %bb.125:                              ;   in Loop: Header=BB3_79 Depth=1
	s_andn2_saveexec_b64 s[6:7], s[6:7]
; %bb.126:                              ;   in Loop: Header=BB3_79 Depth=1
	v_add_f32_e64 v7, |v5|, s19
; %bb.127:                              ;   in Loop: Header=BB3_79 Depth=1
	s_or_b64 exec, exec, s[6:7]
.LBB3_128:                              ;   in Loop: Header=BB3_79 Depth=1
	s_or_b64 exec, exec, s[4:5]
	v_and_b32_sdwa v13, v8, s20 dst_sel:DWORD dst_unused:UNUSED_PAD src0_sel:BYTE_3 src1_sel:DWORD
	v_and_b32_sdwa v3, v3, s20 dst_sel:DWORD dst_unused:UNUSED_PAD src0_sel:BYTE_3 src1_sel:DWORD
	v_lshlrev_b64 v[8:9], 2, v[10:11]
	v_and_or_b32 v4, v4, s21, v13
	v_lshrrev_b32_e32 v12, 24, v12
	v_mov_b32_e32 v11, s13
	v_add_co_u32_e32 v8, vcc, s12, v8
	v_lshlrev_b32_e32 v7, 24, v7
	v_and_b32_e32 v5, 0x80000000, v5
	v_lshlrev_b32_e32 v4, 16, v4
	v_and_or_b32 v2, v2, s21, v3
	v_and_b32_e32 v3, 0xff, v6
	v_addc_co_u32_e32 v9, vcc, v11, v9, vcc
	v_or3_b32 v4, v5, v7, v4
	v_lshlrev_b32_e32 v2, 8, v2
	v_and_or_b32 v3, v12, s20, v3
	v_add_u32_e32 v12, s15, v0
	v_or3_b32 v2, v4, v2, v3
	v_cmp_gt_u32_e32 vcc, s49, v12
	s_mov_b64 s[6:7], -1
	global_store_dword v[8:9], v2, off
	s_and_saveexec_b64 s[4:5], vcc
	s_cbranch_execz .LBB3_77
; %bb.129:                              ;   in Loop: Header=BB3_79 Depth=1
	v_mov_b32_e32 v13, v1
	v_lshlrev_b64 v[6:7], 4, v[12:13]
	v_mov_b32_e32 v3, s48
	v_add_co_u32_e32 v2, vcc, s33, v6
	v_addc_co_u32_e32 v3, vcc, v3, v7, vcc
	v_mov_b32_e32 v8, s31
	v_add_co_u32_e32 v6, vcc, s30, v6
	global_load_dwordx4 v[2:5], v[2:3], off
	v_addc_co_u32_e32 v7, vcc, v8, v7, vcc
	global_load_dwordx4 v[6:9], v[6:7], off
	s_waitcnt vmcnt(1)
	v_mul_f32_e32 v2, v14, v2
	s_waitcnt vmcnt(0)
	v_mul_f32_e32 v6, v2, v6
	v_div_scale_f32 v11, s[6:7], v15, v15, v6
	v_rcp_f32_e32 v18, v11
	v_div_scale_f32 v19, vcc, v6, v15, v6
	v_mov_b32_e32 v2, 0x7f
	v_fma_f32 v20, -v11, v18, 1.0
	v_fmac_f32_e32 v18, v20, v18
	v_mul_f32_e32 v20, v19, v18
	v_fma_f32 v21, -v11, v20, v19
	v_fmac_f32_e32 v20, v21, v18
	v_fma_f32 v11, -v11, v20, v19
	v_div_fmas_f32 v11, v11, v18, v20
	v_div_fixup_f32 v6, v11, v15, v6
	v_min_f32_e32 v6, 0x43e00000, v6
	v_max_f32_e32 v11, 0xc3e00000, v6
	v_and_b32_e32 v18, 0x7fffffff, v11
	v_cmp_gt_u32_e32 vcc, s16, v18
	v_mov_b32_e32 v6, 0x7f
	s_and_saveexec_b64 s[6:7], vcc
	s_cbranch_execz .LBB3_135
; %bb.130:                              ;   in Loop: Header=BB3_79 Depth=1
	v_cmp_lt_u32_e32 vcc, s17, v18
                                        ; implicit-def: $vgpr6
	s_and_saveexec_b64 s[8:9], vcc
	s_xor_b64 s[8:9], exec, s[8:9]
; %bb.131:                              ;   in Loop: Header=BB3_79 Depth=1
	v_bfe_u32 v6, v11, 20, 1
	v_add3_u32 v6, v11, v6, s18
	v_lshrrev_b32_e32 v6, 20, v6
; %bb.132:                              ;   in Loop: Header=BB3_79 Depth=1
	s_andn2_saveexec_b64 s[8:9], s[8:9]
; %bb.133:                              ;   in Loop: Header=BB3_79 Depth=1
	v_add_f32_e64 v6, |v11|, s19
; %bb.134:                              ;   in Loop: Header=BB3_79 Depth=1
	s_or_b64 exec, exec, s[8:9]
.LBB3_135:                              ;   in Loop: Header=BB3_79 Depth=1
	s_or_b64 exec, exec, s[6:7]
	v_mul_f32_e32 v3, v14, v3
	v_mul_f32_e32 v3, v3, v7
	v_div_scale_f32 v7, s[6:7], v15, v15, v3
	v_rcp_f32_e32 v18, v7
	v_div_scale_f32 v19, vcc, v3, v15, v3
	v_fma_f32 v20, -v7, v18, 1.0
	v_fmac_f32_e32 v18, v20, v18
	v_mul_f32_e32 v20, v19, v18
	v_fma_f32 v21, -v7, v20, v19
	v_fmac_f32_e32 v20, v21, v18
	v_fma_f32 v7, -v7, v20, v19
	v_div_fmas_f32 v7, v7, v18, v20
	v_div_fixup_f32 v3, v7, v15, v3
	v_min_f32_e32 v3, 0x43e00000, v3
	v_max_f32_e32 v3, 0xc3e00000, v3
	v_and_b32_e32 v7, 0x7fffffff, v3
	v_cmp_gt_u32_e32 vcc, s16, v7
	s_and_saveexec_b64 s[6:7], vcc
	s_cbranch_execz .LBB3_141
; %bb.136:                              ;   in Loop: Header=BB3_79 Depth=1
	v_cmp_lt_u32_e32 vcc, s17, v7
                                        ; implicit-def: $vgpr2
	s_and_saveexec_b64 s[8:9], vcc
	s_xor_b64 s[8:9], exec, s[8:9]
; %bb.137:                              ;   in Loop: Header=BB3_79 Depth=1
	v_bfe_u32 v2, v3, 20, 1
	v_add3_u32 v2, v3, v2, s18
	v_lshrrev_b32_e32 v2, 20, v2
; %bb.138:                              ;   in Loop: Header=BB3_79 Depth=1
	s_andn2_saveexec_b64 s[8:9], s[8:9]
; %bb.139:                              ;   in Loop: Header=BB3_79 Depth=1
	v_add_f32_e64 v2, |v3|, s19
; %bb.140:                              ;   in Loop: Header=BB3_79 Depth=1
	s_or_b64 exec, exec, s[8:9]
.LBB3_141:                              ;   in Loop: Header=BB3_79 Depth=1
	s_or_b64 exec, exec, s[6:7]
	v_mul_f32_e32 v4, v14, v4
	v_mul_f32_e32 v4, v4, v8
	v_div_scale_f32 v7, s[6:7], v15, v15, v4
	v_rcp_f32_e32 v8, v7
	v_div_scale_f32 v18, vcc, v4, v15, v4
	v_fma_f32 v19, -v7, v8, 1.0
	v_fmac_f32_e32 v8, v19, v8
	v_mul_f32_e32 v19, v18, v8
	v_fma_f32 v20, -v7, v19, v18
	v_fmac_f32_e32 v19, v20, v8
	v_fma_f32 v7, -v7, v19, v18
	v_div_fmas_f32 v7, v7, v8, v19
	v_div_fixup_f32 v4, v7, v15, v4
	v_min_f32_e32 v4, 0x43e00000, v4
	v_max_f32_e32 v8, 0xc3e00000, v4
	v_and_b32_e32 v18, 0x7fffffff, v8
	v_cmp_gt_u32_e32 vcc, s16, v18
	v_mov_b32_e32 v7, 0x7f
	v_mov_b32_e32 v4, 0x7f
	s_and_saveexec_b64 s[6:7], vcc
	s_cbranch_execz .LBB3_147
; %bb.142:                              ;   in Loop: Header=BB3_79 Depth=1
	v_cmp_lt_u32_e32 vcc, s17, v18
                                        ; implicit-def: $vgpr4
	s_and_saveexec_b64 s[8:9], vcc
	s_xor_b64 s[8:9], exec, s[8:9]
; %bb.143:                              ;   in Loop: Header=BB3_79 Depth=1
	v_bfe_u32 v4, v8, 20, 1
	v_add3_u32 v4, v8, v4, s18
	v_lshrrev_b32_e32 v4, 20, v4
; %bb.144:                              ;   in Loop: Header=BB3_79 Depth=1
	s_andn2_saveexec_b64 s[8:9], s[8:9]
; %bb.145:                              ;   in Loop: Header=BB3_79 Depth=1
	v_add_f32_e64 v4, |v8|, s19
; %bb.146:                              ;   in Loop: Header=BB3_79 Depth=1
	s_or_b64 exec, exec, s[8:9]
.LBB3_147:                              ;   in Loop: Header=BB3_79 Depth=1
	s_or_b64 exec, exec, s[6:7]
	v_mul_f32_e32 v5, v14, v5
	v_mul_f32_e32 v5, v5, v9
	v_div_scale_f32 v9, s[6:7], v15, v15, v5
	v_rcp_f32_e32 v18, v9
	v_div_scale_f32 v19, vcc, v5, v15, v5
	v_fma_f32 v20, -v9, v18, 1.0
	v_fmac_f32_e32 v18, v20, v18
	v_mul_f32_e32 v20, v19, v18
	v_fma_f32 v21, -v9, v20, v19
	v_fmac_f32_e32 v20, v21, v18
	v_fma_f32 v9, -v9, v20, v19
	v_div_fmas_f32 v9, v9, v18, v20
	v_div_fixup_f32 v5, v9, v15, v5
	v_min_f32_e32 v5, 0x43e00000, v5
	v_max_f32_e32 v5, 0xc3e00000, v5
	v_and_b32_e32 v9, 0x7fffffff, v5
	v_cmp_gt_u32_e32 vcc, s16, v9
	s_and_saveexec_b64 s[6:7], vcc
	s_cbranch_execz .LBB3_153
; %bb.148:                              ;   in Loop: Header=BB3_79 Depth=1
	v_cmp_lt_u32_e32 vcc, s17, v9
                                        ; implicit-def: $vgpr7
	s_and_saveexec_b64 s[8:9], vcc
	s_xor_b64 s[8:9], exec, s[8:9]
; %bb.149:                              ;   in Loop: Header=BB3_79 Depth=1
	v_bfe_u32 v7, v5, 20, 1
	v_add3_u32 v7, v5, v7, s18
	v_lshrrev_b32_e32 v7, 20, v7
; %bb.150:                              ;   in Loop: Header=BB3_79 Depth=1
	s_andn2_saveexec_b64 s[8:9], s[8:9]
; %bb.151:                              ;   in Loop: Header=BB3_79 Depth=1
	v_add_f32_e64 v7, |v5|, s19
; %bb.152:                              ;   in Loop: Header=BB3_79 Depth=1
	s_or_b64 exec, exec, s[8:9]
.LBB3_153:                              ;   in Loop: Header=BB3_79 Depth=1
	s_or_b64 exec, exec, s[6:7]
	v_and_b32_sdwa v18, v8, s20 dst_sel:DWORD dst_unused:UNUSED_PAD src0_sel:BYTE_3 src1_sel:DWORD
	v_and_b32_sdwa v3, v3, s20 dst_sel:DWORD dst_unused:UNUSED_PAD src0_sel:BYTE_3 src1_sel:DWORD
	v_lshlrev_b64 v[8:9], 2, v[12:13]
	v_and_or_b32 v4, v4, s21, v18
	v_lshrrev_b32_e32 v11, 24, v11
	v_mov_b32_e32 v12, s13
	v_add_co_u32_e32 v8, vcc, s12, v8
	v_lshlrev_b32_e32 v7, 24, v7
	v_and_b32_e32 v5, 0x80000000, v5
	v_lshlrev_b32_e32 v4, 16, v4
	v_and_or_b32 v2, v2, s21, v3
	v_and_b32_e32 v3, 0xff, v6
	v_addc_co_u32_e32 v9, vcc, v12, v9, vcc
	v_or3_b32 v4, v5, v7, v4
	v_lshlrev_b32_e32 v2, 8, v2
	v_and_or_b32 v3, v11, s20, v3
	v_add_u32_e32 v0, s14, v0
	v_or3_b32 v2, v4, v2, v3
	v_cmp_gt_u32_e32 vcc, s49, v0
	s_mov_b64 s[8:9], -1
	global_store_dword v[8:9], v2, off
	s_and_saveexec_b64 s[6:7], vcc
	s_cbranch_execz .LBB3_76
; %bb.154:                              ;   in Loop: Header=BB3_79 Depth=1
	v_lshlrev_b64 v[6:7], 4, v[0:1]
	v_mov_b32_e32 v3, s48
	v_add_co_u32_e32 v2, vcc, s33, v6
	v_addc_co_u32_e32 v3, vcc, v3, v7, vcc
	v_mov_b32_e32 v8, s31
	v_add_co_u32_e32 v6, vcc, s30, v6
	global_load_dwordx4 v[2:5], v[2:3], off
	v_addc_co_u32_e32 v7, vcc, v8, v7, vcc
	global_load_dwordx4 v[6:9], v[6:7], off
	s_waitcnt vmcnt(1)
	v_mul_f32_e32 v2, v14, v2
	s_waitcnt vmcnt(0)
	v_mul_f32_e32 v6, v2, v6
	v_div_scale_f32 v11, s[8:9], v15, v15, v6
	v_rcp_f32_e32 v12, v11
	v_div_scale_f32 v13, vcc, v6, v15, v6
	v_mov_b32_e32 v2, 0x7f
	v_fma_f32 v18, -v11, v12, 1.0
	v_fmac_f32_e32 v12, v18, v12
	v_mul_f32_e32 v18, v13, v12
	v_fma_f32 v19, -v11, v18, v13
	v_fmac_f32_e32 v18, v19, v12
	v_fma_f32 v11, -v11, v18, v13
	v_div_fmas_f32 v11, v11, v12, v18
	v_div_fixup_f32 v6, v11, v15, v6
	v_min_f32_e32 v6, 0x43e00000, v6
	v_max_f32_e32 v11, 0xc3e00000, v6
	v_and_b32_e32 v12, 0x7fffffff, v11
	v_cmp_gt_u32_e32 vcc, s16, v12
	v_mov_b32_e32 v6, 0x7f
	s_and_saveexec_b64 s[8:9], vcc
	s_cbranch_execz .LBB3_160
; %bb.155:                              ;   in Loop: Header=BB3_79 Depth=1
	v_cmp_lt_u32_e32 vcc, s17, v12
                                        ; implicit-def: $vgpr6
	s_and_saveexec_b64 s[10:11], vcc
	s_xor_b64 s[10:11], exec, s[10:11]
; %bb.156:                              ;   in Loop: Header=BB3_79 Depth=1
	v_bfe_u32 v6, v11, 20, 1
	v_add3_u32 v6, v11, v6, s18
	v_lshrrev_b32_e32 v6, 20, v6
; %bb.157:                              ;   in Loop: Header=BB3_79 Depth=1
	s_andn2_saveexec_b64 s[10:11], s[10:11]
; %bb.158:                              ;   in Loop: Header=BB3_79 Depth=1
	v_add_f32_e64 v6, |v11|, s19
; %bb.159:                              ;   in Loop: Header=BB3_79 Depth=1
	s_or_b64 exec, exec, s[10:11]
.LBB3_160:                              ;   in Loop: Header=BB3_79 Depth=1
	s_or_b64 exec, exec, s[8:9]
	v_mul_f32_e32 v3, v14, v3
	v_mul_f32_e32 v3, v3, v7
	v_div_scale_f32 v7, s[8:9], v15, v15, v3
	v_rcp_f32_e32 v12, v7
	v_div_scale_f32 v13, vcc, v3, v15, v3
	v_fma_f32 v18, -v7, v12, 1.0
	v_fmac_f32_e32 v12, v18, v12
	v_mul_f32_e32 v18, v13, v12
	v_fma_f32 v19, -v7, v18, v13
	v_fmac_f32_e32 v18, v19, v12
	v_fma_f32 v7, -v7, v18, v13
	v_div_fmas_f32 v7, v7, v12, v18
	v_div_fixup_f32 v3, v7, v15, v3
	v_min_f32_e32 v3, 0x43e00000, v3
	v_max_f32_e32 v3, 0xc3e00000, v3
	v_and_b32_e32 v7, 0x7fffffff, v3
	v_cmp_gt_u32_e32 vcc, s16, v7
	s_and_saveexec_b64 s[8:9], vcc
	s_cbranch_execz .LBB3_166
; %bb.161:                              ;   in Loop: Header=BB3_79 Depth=1
	v_cmp_lt_u32_e32 vcc, s17, v7
                                        ; implicit-def: $vgpr2
	s_and_saveexec_b64 s[10:11], vcc
	s_xor_b64 s[10:11], exec, s[10:11]
; %bb.162:                              ;   in Loop: Header=BB3_79 Depth=1
	v_bfe_u32 v2, v3, 20, 1
	v_add3_u32 v2, v3, v2, s18
	v_lshrrev_b32_e32 v2, 20, v2
; %bb.163:                              ;   in Loop: Header=BB3_79 Depth=1
	s_andn2_saveexec_b64 s[10:11], s[10:11]
; %bb.164:                              ;   in Loop: Header=BB3_79 Depth=1
	v_add_f32_e64 v2, |v3|, s19
; %bb.165:                              ;   in Loop: Header=BB3_79 Depth=1
	s_or_b64 exec, exec, s[10:11]
.LBB3_166:                              ;   in Loop: Header=BB3_79 Depth=1
	s_or_b64 exec, exec, s[8:9]
	v_mul_f32_e32 v4, v14, v4
	v_mul_f32_e32 v4, v4, v8
	v_div_scale_f32 v7, s[8:9], v15, v15, v4
	v_rcp_f32_e32 v8, v7
	v_div_scale_f32 v12, vcc, v4, v15, v4
	v_fma_f32 v13, -v7, v8, 1.0
	v_fmac_f32_e32 v8, v13, v8
	v_mul_f32_e32 v13, v12, v8
	v_fma_f32 v18, -v7, v13, v12
	v_fmac_f32_e32 v13, v18, v8
	v_fma_f32 v7, -v7, v13, v12
	v_div_fmas_f32 v7, v7, v8, v13
	v_div_fixup_f32 v4, v7, v15, v4
	v_min_f32_e32 v4, 0x43e00000, v4
	v_max_f32_e32 v8, 0xc3e00000, v4
	v_and_b32_e32 v12, 0x7fffffff, v8
	v_cmp_gt_u32_e32 vcc, s16, v12
	v_mov_b32_e32 v7, 0x7f
	v_mov_b32_e32 v4, 0x7f
	s_and_saveexec_b64 s[8:9], vcc
	s_cbranch_execz .LBB3_172
; %bb.167:                              ;   in Loop: Header=BB3_79 Depth=1
	v_cmp_lt_u32_e32 vcc, s17, v12
                                        ; implicit-def: $vgpr4
	s_and_saveexec_b64 s[10:11], vcc
	s_xor_b64 s[10:11], exec, s[10:11]
; %bb.168:                              ;   in Loop: Header=BB3_79 Depth=1
	v_bfe_u32 v4, v8, 20, 1
	v_add3_u32 v4, v8, v4, s18
	v_lshrrev_b32_e32 v4, 20, v4
; %bb.169:                              ;   in Loop: Header=BB3_79 Depth=1
	s_andn2_saveexec_b64 s[10:11], s[10:11]
; %bb.170:                              ;   in Loop: Header=BB3_79 Depth=1
	v_add_f32_e64 v4, |v8|, s19
; %bb.171:                              ;   in Loop: Header=BB3_79 Depth=1
	s_or_b64 exec, exec, s[10:11]
.LBB3_172:                              ;   in Loop: Header=BB3_79 Depth=1
	s_or_b64 exec, exec, s[8:9]
	v_mul_f32_e32 v5, v14, v5
	v_mul_f32_e32 v5, v5, v9
	v_div_scale_f32 v9, s[8:9], v15, v15, v5
	v_rcp_f32_e32 v12, v9
	v_div_scale_f32 v13, vcc, v5, v15, v5
	v_fma_f32 v18, -v9, v12, 1.0
	v_fmac_f32_e32 v12, v18, v12
	v_mul_f32_e32 v18, v13, v12
	v_fma_f32 v19, -v9, v18, v13
	v_fmac_f32_e32 v18, v19, v12
	v_fma_f32 v9, -v9, v18, v13
	v_div_fmas_f32 v9, v9, v12, v18
	v_div_fixup_f32 v5, v9, v15, v5
	v_min_f32_e32 v5, 0x43e00000, v5
	v_max_f32_e32 v5, 0xc3e00000, v5
	v_and_b32_e32 v9, 0x7fffffff, v5
	v_cmp_gt_u32_e32 vcc, s16, v9
	s_and_saveexec_b64 s[8:9], vcc
	s_cbranch_execz .LBB3_75
; %bb.173:                              ;   in Loop: Header=BB3_79 Depth=1
	v_cmp_lt_u32_e32 vcc, s17, v9
                                        ; implicit-def: $vgpr7
	s_and_saveexec_b64 s[10:11], vcc
	s_xor_b64 s[10:11], exec, s[10:11]
; %bb.174:                              ;   in Loop: Header=BB3_79 Depth=1
	v_bfe_u32 v7, v5, 20, 1
	v_add3_u32 v7, v5, v7, s18
	v_lshrrev_b32_e32 v7, 20, v7
; %bb.175:                              ;   in Loop: Header=BB3_79 Depth=1
	s_andn2_saveexec_b64 s[10:11], s[10:11]
	s_cbranch_execz .LBB3_74
; %bb.176:                              ;   in Loop: Header=BB3_79 Depth=1
	v_add_f32_e64 v7, |v5|, s19
	s_branch .LBB3_74
.LBB3_177:
	s_endpgm
	.section	.rodata,"a",@progbits
	.p2align	6, 0x0
	.amdhsa_kernel _ZN4vllm39rms_norm_dynamic_per_token_quant_kernelIfN3c1013Float8_e4m3fnELb0EEEvPT0_PfPKT_S8_PKffiiPS6_
		.amdhsa_group_segment_fixed_size 272
		.amdhsa_private_segment_fixed_size 0
		.amdhsa_kernarg_size 320
		.amdhsa_user_sgpr_count 6
		.amdhsa_user_sgpr_private_segment_buffer 1
		.amdhsa_user_sgpr_dispatch_ptr 0
		.amdhsa_user_sgpr_queue_ptr 0
		.amdhsa_user_sgpr_kernarg_segment_ptr 1
		.amdhsa_user_sgpr_dispatch_id 0
		.amdhsa_user_sgpr_flat_scratch_init 0
		.amdhsa_user_sgpr_kernarg_preload_length 0
		.amdhsa_user_sgpr_kernarg_preload_offset 0
		.amdhsa_user_sgpr_private_segment_size 0
		.amdhsa_uses_dynamic_stack 0
		.amdhsa_system_sgpr_private_segment_wavefront_offset 0
		.amdhsa_system_sgpr_workgroup_id_x 1
		.amdhsa_system_sgpr_workgroup_id_y 0
		.amdhsa_system_sgpr_workgroup_id_z 0
		.amdhsa_system_sgpr_workgroup_info 0
		.amdhsa_system_vgpr_workitem_id 0
		.amdhsa_next_free_vgpr 29
		.amdhsa_next_free_sgpr 53
		.amdhsa_accum_offset 32
		.amdhsa_reserve_vcc 1
		.amdhsa_reserve_flat_scratch 0
		.amdhsa_float_round_mode_32 0
		.amdhsa_float_round_mode_16_64 0
		.amdhsa_float_denorm_mode_32 3
		.amdhsa_float_denorm_mode_16_64 3
		.amdhsa_dx10_clamp 1
		.amdhsa_ieee_mode 1
		.amdhsa_fp16_overflow 0
		.amdhsa_tg_split 0
		.amdhsa_exception_fp_ieee_invalid_op 0
		.amdhsa_exception_fp_denorm_src 0
		.amdhsa_exception_fp_ieee_div_zero 0
		.amdhsa_exception_fp_ieee_overflow 0
		.amdhsa_exception_fp_ieee_underflow 0
		.amdhsa_exception_fp_ieee_inexact 0
		.amdhsa_exception_int_div_zero 0
	.end_amdhsa_kernel
	.section	.text._ZN4vllm39rms_norm_dynamic_per_token_quant_kernelIfN3c1013Float8_e4m3fnELb0EEEvPT0_PfPKT_S8_PKffiiPS6_,"axG",@progbits,_ZN4vllm39rms_norm_dynamic_per_token_quant_kernelIfN3c1013Float8_e4m3fnELb0EEEvPT0_PfPKT_S8_PKffiiPS6_,comdat
.Lfunc_end3:
	.size	_ZN4vllm39rms_norm_dynamic_per_token_quant_kernelIfN3c1013Float8_e4m3fnELb0EEEvPT0_PfPKT_S8_PKffiiPS6_, .Lfunc_end3-_ZN4vllm39rms_norm_dynamic_per_token_quant_kernelIfN3c1013Float8_e4m3fnELb0EEEvPT0_PfPKT_S8_PKffiiPS6_
                                        ; -- End function
	.section	.AMDGPU.csdata,"",@progbits
; Kernel info:
; codeLenInByte = 9088
; NumSgprs: 57
; NumVgprs: 29
; NumAgprs: 0
; TotalNumVgprs: 29
; ScratchSize: 0
; MemoryBound: 0
; FloatMode: 240
; IeeeMode: 1
; LDSByteSize: 272 bytes/workgroup (compile time only)
; SGPRBlocks: 7
; VGPRBlocks: 3
; NumSGPRsForWavesPerEU: 57
; NumVGPRsForWavesPerEU: 29
; AccumOffset: 32
; Occupancy: 8
; WaveLimiterHint : 0
; COMPUTE_PGM_RSRC2:SCRATCH_EN: 0
; COMPUTE_PGM_RSRC2:USER_SGPR: 6
; COMPUTE_PGM_RSRC2:TRAP_HANDLER: 0
; COMPUTE_PGM_RSRC2:TGID_X_EN: 1
; COMPUTE_PGM_RSRC2:TGID_Y_EN: 0
; COMPUTE_PGM_RSRC2:TGID_Z_EN: 0
; COMPUTE_PGM_RSRC2:TIDIG_COMP_CNT: 0
; COMPUTE_PGM_RSRC3_GFX90A:ACCUM_OFFSET: 7
; COMPUTE_PGM_RSRC3_GFX90A:TG_SPLIT: 0
	.section	.text._ZN4vllm39rms_norm_dynamic_per_token_quant_kernelIfN3c1015Float8_e4m3fnuzELb0EEEvPT0_PfPKT_S8_PKffiiPS6_,"axG",@progbits,_ZN4vllm39rms_norm_dynamic_per_token_quant_kernelIfN3c1015Float8_e4m3fnuzELb0EEEvPT0_PfPKT_S8_PKffiiPS6_,comdat
	.protected	_ZN4vllm39rms_norm_dynamic_per_token_quant_kernelIfN3c1015Float8_e4m3fnuzELb0EEEvPT0_PfPKT_S8_PKffiiPS6_ ; -- Begin function _ZN4vllm39rms_norm_dynamic_per_token_quant_kernelIfN3c1015Float8_e4m3fnuzELb0EEEvPT0_PfPKT_S8_PKffiiPS6_
	.globl	_ZN4vllm39rms_norm_dynamic_per_token_quant_kernelIfN3c1015Float8_e4m3fnuzELb0EEEvPT0_PfPKT_S8_PKffiiPS6_
	.p2align	8
	.type	_ZN4vllm39rms_norm_dynamic_per_token_quant_kernelIfN3c1015Float8_e4m3fnuzELb0EEEvPT0_PfPKT_S8_PKffiiPS6_,@function
_ZN4vllm39rms_norm_dynamic_per_token_quant_kernelIfN3c1015Float8_e4m3fnuzELb0EEEvPT0_PfPKT_S8_PKffiiPS6_: ; @_ZN4vllm39rms_norm_dynamic_per_token_quant_kernelIfN3c1015Float8_e4m3fnuzELb0EEEvPT0_PfPKT_S8_PKffiiPS6_
; %bb.0:
	s_load_dwordx4 s[36:39], s[4:5], 0x28
	s_load_dwordx2 s[22:23], s[4:5], 0x20
	s_load_dwordx8 s[24:31], s[4:5], 0x0
	s_waitcnt lgkmcnt(0)
	s_or_b32 s0, s38, s37
	s_and_b32 s0, s0, 3
	s_cmp_lg_u32 s0, 0
	s_cbranch_scc0 .LBB4_39
; %bb.1:
	v_cmp_gt_u32_e64 s[0:1], s37, v0
	v_cmp_le_u32_e64 s[2:3], s37, v0
                                        ; implicit-def: $sgpr7
                                        ; implicit-def: $sgpr10_sgpr11
	s_and_saveexec_b64 s[8:9], s[2:3]
	s_xor_b64 s[8:9], exec, s[8:9]
; %bb.2:
	s_add_u32 s10, s4, 64
	s_addc_u32 s11, s5, 0
	s_mov_b32 s7, 0
; %bb.3:
	s_or_saveexec_b64 s[8:9], s[8:9]
	v_mov_b32_e32 v6, s7
	v_pk_mov_b32 v[2:3], s[10:11], s[10:11] op_sel:[0,1]
	v_mov_b32_e32 v1, s6
	s_xor_b64 exec, exec, s[8:9]
	s_cbranch_execz .LBB4_7
; %bb.4:
	s_ashr_i32 s7, s38, 31
	s_mul_hi_u32 s10, s38, s6
	s_mul_i32 s7, s7, s6
	s_add_i32 s11, s10, s7
	s_mul_i32 s10, s38, s6
	s_load_dword s12, s[4:5], 0x4c
	s_lshl_b64 s[10:11], s[10:11], 2
	s_add_u32 s7, s28, s10
	s_addc_u32 s15, s29, s11
	s_add_u32 s10, s4, 64
	s_addc_u32 s11, s5, 0
	s_waitcnt lgkmcnt(0)
	s_and_b32 s14, s12, 0xffff
	s_mov_b64 s[12:13], 0
	v_mov_b32_e32 v3, 0
	v_mov_b32_e32 v1, s15
	;; [unrolled: 1-line block ×4, first 2 shown]
.LBB4_5:                                ; =>This Inner Loop Header: Depth=1
	v_lshlrev_b64 v[4:5], 2, v[2:3]
	v_add_co_u32_e32 v4, vcc, s7, v4
	v_addc_co_u32_e32 v5, vcc, v1, v5, vcc
	global_load_dword v4, v[4:5], off
	v_add_u32_e32 v2, s14, v2
	v_cmp_le_u32_e32 vcc, s37, v2
	s_or_b64 s[12:13], vcc, s[12:13]
	s_waitcnt vmcnt(0)
	v_fmac_f32_e32 v6, v4, v4
	s_andn2_b64 exec, exec, s[12:13]
	s_cbranch_execnz .LBB4_5
; %bb.6:
	s_or_b64 exec, exec, s[12:13]
	v_pk_mov_b32 v[2:3], s[10:11], s[10:11] op_sel:[0,1]
	v_mov_b32_e32 v1, s6
.LBB4_7:
	s_or_b64 exec, exec, s[8:9]
	global_load_dword v4, v[2:3], off
	v_and_b32_e32 v5, 0x3c0, v0
	s_waitcnt vmcnt(0)
	v_cmp_lt_u32_e32 vcc, v1, v4
	v_cndmask_b32_e64 v1, 18, 12, vcc
	v_add_co_u32_e32 v2, vcc, v2, v1
	v_addc_co_u32_e32 v3, vcc, 0, v3, vcc
	global_load_ushort v1, v[2:3], off
	v_mbcnt_lo_u32_b32 v2, -1, 0
	v_mbcnt_hi_u32_b32 v4, -1, v2
	v_and_b32_e32 v2, 63, v4
	v_cmp_ne_u32_e32 vcc, 63, v2
	v_addc_co_u32_e32 v3, vcc, 0, v4, vcc
	v_lshlrev_b32_e32 v14, 2, v3
	ds_bpermute_b32 v3, v14, v6
	v_cmp_gt_u32_e32 vcc, 62, v2
	v_cndmask_b32_e64 v12, 0, 1, vcc
	v_lshlrev_b32_e32 v12, 1, v12
	v_add_u32_e32 v7, 1, v4
	v_add_lshl_u32 v13, v12, v4, 2
	s_waitcnt lgkmcnt(0)
	v_add_f32_e32 v3, v6, v3
	v_add_u32_e32 v8, 2, v4
	v_add_u32_e32 v10, 4, v4
	v_add_u32_e32 v11, 8, v4
	v_add_u32_e32 v9, 16, v4
	v_add_u32_e32 v19, 32, v4
	v_cmp_eq_u32_e64 s[8:9], 0, v4
	s_waitcnt vmcnt(0)
	v_sub_u32_e64 v12, v1, v5 clamp
	v_cmp_lt_u32_e32 vcc, v7, v12
	v_cndmask_b32_e32 v3, v6, v3, vcc
	ds_bpermute_b32 v6, v13, v3
	v_cmp_gt_u32_e32 vcc, 60, v2
	v_cndmask_b32_e64 v15, 0, 1, vcc
	v_lshlrev_b32_e32 v15, 2, v15
	v_cmp_lt_u32_e32 vcc, v8, v12
	s_waitcnt lgkmcnt(0)
	v_add_f32_e32 v6, v3, v6
	v_add_lshl_u32 v15, v15, v4, 2
	v_cndmask_b32_e32 v3, v3, v6, vcc
	ds_bpermute_b32 v6, v15, v3
	v_cmp_gt_u32_e32 vcc, 56, v2
	v_cndmask_b32_e64 v16, 0, 1, vcc
	v_lshlrev_b32_e32 v16, 3, v16
	v_cmp_lt_u32_e32 vcc, v10, v12
	s_waitcnt lgkmcnt(0)
	v_add_f32_e32 v6, v3, v6
	v_add_lshl_u32 v16, v16, v4, 2
	;; [unrolled: 9-line block ×3, first 2 shown]
	v_cndmask_b32_e32 v3, v3, v6, vcc
	ds_bpermute_b32 v6, v18, v3
	v_cmp_gt_u32_e32 vcc, 32, v2
	v_cndmask_b32_e64 v2, 0, 1, vcc
	v_lshlrev_b32_e32 v2, 5, v2
	v_add_lshl_u32 v17, v2, v4, 2
	s_waitcnt lgkmcnt(0)
	v_add_f32_e32 v2, v3, v6
	v_cmp_lt_u32_e32 vcc, v9, v12
	v_cndmask_b32_e32 v2, v3, v2, vcc
	ds_bpermute_b32 v3, v17, v2
	v_cmp_lt_u32_e32 vcc, v19, v12
	s_waitcnt lgkmcnt(0)
	v_add_f32_e32 v3, v2, v3
	v_cndmask_b32_e32 v2, v2, v3, vcc
	s_and_saveexec_b64 s[10:11], s[8:9]
	s_cbranch_execz .LBB4_9
; %bb.8:
	v_lshrrev_b32_e32 v3, 4, v0
	v_and_b32_e32 v3, 60, v3
	ds_write_b32 v3, v2 offset:128
.LBB4_9:
	s_or_b64 exec, exec, s[10:11]
	v_cmp_gt_u32_e64 s[10:11], 16, v0
	v_lshlrev_b32_e32 v12, 2, v4
	v_and_b32_e32 v6, 15, v4
	s_waitcnt lgkmcnt(0)
	s_barrier
	s_and_saveexec_b64 s[14:15], s[10:11]
	s_cbranch_execz .LBB4_11
; %bb.10:
	ds_read_b32 v2, v12 offset:128
	v_cmp_ne_u32_e32 vcc, 15, v6
	v_addc_co_u32_e32 v3, vcc, 0, v4, vcc
	v_lshlrev_b32_e32 v3, 2, v3
	s_waitcnt lgkmcnt(0)
	ds_bpermute_b32 v3, v3, v2
	v_add_u32_e32 v1, 63, v1
	v_add_u32_e32 v20, 1, v6
	v_lshrrev_b32_e32 v1, 6, v1
	v_cmp_gt_u32_e64 s[12:13], 14, v6
	v_cmp_lt_u32_e32 vcc, v20, v1
	v_cndmask_b32_e64 v20, 0, 1, s[12:13]
	s_waitcnt lgkmcnt(0)
	v_add_f32_e32 v3, v2, v3
	v_lshlrev_b32_e32 v20, 1, v20
	v_cndmask_b32_e32 v3, v2, v3, vcc
	v_add_lshl_u32 v20, v20, v4, 2
	ds_bpermute_b32 v20, v20, v3
	v_add_u32_e32 v21, 2, v6
	v_cmp_lt_u32_e64 s[12:13], v21, v1
	v_add_u32_e32 v21, 4, v6
	s_waitcnt lgkmcnt(0)
	v_add_f32_e32 v20, v3, v20
	v_cndmask_b32_e64 v3, v3, v20, s[12:13]
	v_cmp_gt_u32_e64 s[12:13], 12, v6
	v_cndmask_b32_e64 v20, 0, 1, s[12:13]
	v_lshlrev_b32_e32 v20, 2, v20
	v_add_lshl_u32 v20, v20, v4, 2
	ds_bpermute_b32 v20, v20, v3
	v_cmp_lt_u32_e64 s[12:13], v21, v1
	v_add_u32_e32 v21, 8, v6
	s_waitcnt lgkmcnt(0)
	v_add_f32_e32 v20, v3, v20
	v_cndmask_b32_e64 v3, v3, v20, s[12:13]
	v_cmp_gt_u32_e64 s[12:13], 8, v6
	v_cndmask_b32_e64 v20, 0, 1, s[12:13]
	v_lshlrev_b32_e32 v20, 3, v20
	v_add_lshl_u32 v20, v20, v4, 2
	ds_bpermute_b32 v20, v20, v3
	v_cmp_lt_u32_e64 s[12:13], v21, v1
	s_waitcnt lgkmcnt(0)
	v_add_f32_e32 v20, v3, v20
	v_cndmask_b32_e64 v1, v3, v20, s[12:13]
	v_cndmask_b32_e32 v2, v2, v1, vcc
.LBB4_11:
	s_or_b64 exec, exec, s[14:15]
	s_mov_b32 s7, 0
	v_cmp_eq_u32_e64 s[12:13], 0, v0
	s_and_saveexec_b64 s[14:15], s[12:13]
	s_cbranch_execz .LBB4_13
; %bb.12:
	v_cvt_f32_i32_e32 v1, s37
	v_div_scale_f32 v3, s[16:17], v1, v1, v2
	v_rcp_f32_e32 v20, v3
	v_div_scale_f32 v21, vcc, v2, v1, v2
	s_mov_b32 s16, 0x800000
	v_fma_f32 v22, -v3, v20, 1.0
	v_fmac_f32_e32 v20, v22, v20
	v_mul_f32_e32 v22, v21, v20
	v_fma_f32 v23, -v3, v22, v21
	v_fmac_f32_e32 v22, v23, v20
	v_fma_f32 v3, -v3, v22, v21
	v_div_fmas_f32 v3, v3, v20, v22
	v_div_fixup_f32 v1, v3, v1, v2
	v_add_f32_e32 v1, s36, v1
	v_mul_f32_e32 v2, 0x4b800000, v1
	v_cmp_gt_f32_e32 vcc, s16, v1
	v_cndmask_b32_e32 v1, v1, v2, vcc
	v_rsq_f32_e32 v1, v1
	v_mul_f32_e32 v2, 0x45800000, v1
	v_cndmask_b32_e32 v1, v1, v2, vcc
	v_mov_b32_e32 v2, 0
	ds_write_b32 v2, v1 offset:264
.LBB4_13:
	s_or_b64 exec, exec, s[14:15]
	v_mov_b32_e32 v1, 0
	s_waitcnt lgkmcnt(0)
	s_barrier
	ds_read_b32 v1, v1 offset:264
	s_waitcnt lgkmcnt(0)
	s_barrier
	s_waitcnt lgkmcnt(0)
                                        ; implicit-def: $sgpr16
                                        ; implicit-def: $sgpr14_sgpr15
	s_and_saveexec_b64 s[18:19], s[2:3]
	s_xor_b64 s[2:3], exec, s[18:19]
; %bb.14:
	s_add_u32 s14, s4, 64
	s_addc_u32 s15, s5, 0
	s_mov_b32 s16, 0
; %bb.15:
	s_or_saveexec_b64 s[2:3], s[2:3]
	v_mov_b32_e32 v20, s16
	v_pk_mov_b32 v[2:3], s[14:15], s[14:15] op_sel:[0,1]
	s_mul_hi_u32 s33, s38, s6
	s_mul_i32 s34, s38, s6
	s_xor_b64 exec, exec, s[2:3]
	s_cbranch_execz .LBB4_19
; %bb.16:
	s_ashr_i32 s14, s38, 31
	s_mul_i32 s14, s14, s6
	s_add_i32 s35, s33, s14
	s_load_dword s16, s[4:5], 0x4c
	s_lshl_b64 s[14:15], s[34:35], 2
	s_add_u32 s18, s28, s14
	s_addc_u32 s20, s29, s15
	s_add_u32 s14, s4, 64
	s_addc_u32 s15, s5, 0
	s_waitcnt lgkmcnt(0)
	s_and_b32 s19, s16, 0xffff
	s_mov_b64 s[16:17], 0
	v_mov_b32_e32 v3, 0
	v_mov_b32_e32 v21, s20
	;; [unrolled: 1-line block ×5, first 2 shown]
.LBB4_17:                               ; =>This Inner Loop Header: Depth=1
	v_lshlrev_b64 v[24:25], 2, v[2:3]
	v_add_co_u32_e32 v26, vcc, s18, v24
	v_addc_co_u32_e32 v27, vcc, v21, v25, vcc
	v_add_co_u32_e32 v24, vcc, s30, v24
	v_addc_co_u32_e32 v25, vcc, v22, v25, vcc
	global_load_dword v23, v[26:27], off
	global_load_dword v28, v[24:25], off
	v_add_u32_e32 v2, s19, v2
	v_max_f32_e32 v20, v20, v20
	v_cmp_le_u32_e32 vcc, s37, v2
	s_or_b64 s[16:17], vcc, s[16:17]
	s_waitcnt vmcnt(1)
	v_mul_f32_e32 v23, v1, v23
	s_waitcnt vmcnt(0)
	v_mul_f32_e32 v23, v23, v28
	v_max_f32_e64 v20, v20, |v23|
	s_andn2_b64 exec, exec, s[16:17]
	s_cbranch_execnz .LBB4_17
; %bb.18:
	s_or_b64 exec, exec, s[16:17]
	v_pk_mov_b32 v[2:3], s[14:15], s[14:15] op_sel:[0,1]
.LBB4_19:
	s_or_b64 exec, exec, s[2:3]
	global_load_dword v21, v[2:3], off
	s_waitcnt vmcnt(0)
	v_cmp_lt_u32_e32 vcc, s6, v21
	v_cndmask_b32_e64 v21, 18, 12, vcc
	v_add_co_u32_e32 v2, vcc, v2, v21
	v_addc_co_u32_e32 v3, vcc, 0, v3, vcc
	global_load_ushort v2, v[2:3], off
	ds_bpermute_b32 v3, v14, v20
	s_waitcnt lgkmcnt(0)
	v_cmp_lt_f32_e32 vcc, v20, v3
	v_cndmask_b32_e32 v3, v20, v3, vcc
	s_waitcnt vmcnt(0)
	v_sub_u32_e64 v5, v2, v5 clamp
	v_cmp_lt_u32_e32 vcc, v7, v5
	v_cndmask_b32_e32 v3, v20, v3, vcc
	ds_bpermute_b32 v7, v13, v3
	v_cmp_lt_u32_e64 s[18:19], v19, v5
	s_waitcnt lgkmcnt(0)
	v_cmp_lt_f32_e64 s[2:3], v3, v7
	v_cndmask_b32_e64 v7, v3, v7, s[2:3]
	v_cmp_lt_u32_e64 s[2:3], v8, v5
	v_cndmask_b32_e64 v3, v3, v7, s[2:3]
	ds_bpermute_b32 v7, v15, v3
	s_or_b64 s[2:3], vcc, s[2:3]
	s_waitcnt lgkmcnt(0)
	v_cmp_lt_f32_e64 s[14:15], v3, v7
	v_cndmask_b32_e64 v7, v3, v7, s[14:15]
	v_cmp_lt_u32_e64 s[14:15], v10, v5
	v_cndmask_b32_e64 v3, v3, v7, s[14:15]
	ds_bpermute_b32 v7, v16, v3
	s_or_b64 s[2:3], s[14:15], s[2:3]
	s_waitcnt lgkmcnt(0)
	v_cmp_lt_f32_e64 s[16:17], v3, v7
	v_cndmask_b32_e64 v7, v3, v7, s[16:17]
	v_cmp_lt_u32_e64 s[16:17], v11, v5
	v_cndmask_b32_e64 v3, v3, v7, s[16:17]
	ds_bpermute_b32 v7, v18, v3
	s_or_b64 s[2:3], s[16:17], s[2:3]
	;; [unrolled: 7-line block ×3, first 2 shown]
	s_waitcnt lgkmcnt(0)
	v_cmp_lt_f32_e32 vcc, v3, v5
	s_and_b64 vcc, s[18:19], vcc
	v_cndmask_b32_e32 v3, v3, v5, vcc
	s_or_b64 vcc, s[18:19], s[2:3]
	v_cndmask_b32_e32 v3, v20, v3, vcc
	s_and_saveexec_b64 s[2:3], s[8:9]
	s_cbranch_execz .LBB4_21
; %bb.20:
	v_lshrrev_b32_e32 v5, 4, v0
	v_and_b32_e32 v5, 60, v5
	ds_write_b32 v5, v3 offset:192
.LBB4_21:
	s_or_b64 exec, exec, s[2:3]
	s_waitcnt lgkmcnt(0)
	s_barrier
	s_and_saveexec_b64 s[14:15], s[10:11]
	s_cbranch_execz .LBB4_23
; %bb.22:
	ds_read_b32 v3, v12 offset:192
	v_cmp_ne_u32_e32 vcc, 15, v6
	v_addc_co_u32_e32 v5, vcc, 0, v4, vcc
	v_lshlrev_b32_e32 v5, 2, v5
	s_waitcnt lgkmcnt(0)
	ds_bpermute_b32 v5, v5, v3
	v_add_u32_e32 v2, 63, v2
	v_add_u32_e32 v7, 1, v6
	v_lshrrev_b32_e32 v2, 6, v2
	v_cmp_gt_u32_e64 s[2:3], 14, v6
	s_waitcnt lgkmcnt(0)
	v_cmp_lt_f32_e32 vcc, v3, v5
	v_cndmask_b32_e32 v5, v3, v5, vcc
	v_cmp_lt_u32_e32 vcc, v7, v2
	v_cndmask_b32_e64 v7, 0, 1, s[2:3]
	v_lshlrev_b32_e32 v7, 1, v7
	v_cndmask_b32_e32 v5, v3, v5, vcc
	v_add_lshl_u32 v7, v7, v4, 2
	ds_bpermute_b32 v7, v7, v5
	v_add_u32_e32 v8, 2, v6
	s_waitcnt lgkmcnt(0)
	v_cmp_lt_f32_e64 s[2:3], v5, v7
	v_cndmask_b32_e64 v7, v5, v7, s[2:3]
	v_cmp_lt_u32_e64 s[2:3], v8, v2
	v_cndmask_b32_e64 v5, v5, v7, s[2:3]
	v_cmp_gt_u32_e64 s[2:3], 12, v6
	v_cndmask_b32_e64 v7, 0, 1, s[2:3]
	v_lshlrev_b32_e32 v7, 2, v7
	v_add_lshl_u32 v7, v7, v4, 2
	ds_bpermute_b32 v7, v7, v5
	v_add_u32_e32 v8, 4, v6
	s_waitcnt lgkmcnt(0)
	v_cmp_lt_f32_e64 s[2:3], v5, v7
	v_cndmask_b32_e64 v7, v5, v7, s[2:3]
	v_cmp_lt_u32_e64 s[2:3], v8, v2
	v_cndmask_b32_e64 v5, v5, v7, s[2:3]
	v_cmp_gt_u32_e64 s[2:3], 8, v6
	v_cndmask_b32_e64 v7, 0, 1, s[2:3]
	v_lshlrev_b32_e32 v7, 3, v7
	v_add_lshl_u32 v4, v7, v4, 2
	ds_bpermute_b32 v4, v4, v5
	v_add_u32_e32 v6, 8, v6
	v_cmp_lt_u32_e64 s[2:3], v6, v2
	s_waitcnt lgkmcnt(0)
	v_cmp_lt_f32_e64 s[8:9], v5, v4
	s_and_b64 s[2:3], s[2:3], s[8:9]
	v_cndmask_b32_e64 v2, v5, v4, s[2:3]
	v_cndmask_b32_e32 v3, v3, v2, vcc
.LBB4_23:
	s_or_b64 exec, exec, s[14:15]
	s_and_saveexec_b64 s[2:3], s[12:13]
	s_cbranch_execz .LBB4_27
; %bb.24:
	s_cmp_eq_u64 s[22:23], 0
	s_cbranch_scc1 .LBB4_26
; %bb.25:
	s_load_dword s8, s[22:23], 0x0
	v_max_f32_e32 v2, v3, v3
	s_waitcnt lgkmcnt(0)
	v_max_f32_e64 v3, s8, s8
	v_min_f32_e32 v3, v2, v3
.LBB4_26:
	s_mov_b32 s10, 0x43600000
	v_div_scale_f32 v2, s[8:9], s10, s10, v3
	v_rcp_f32_e32 v4, v2
	v_div_scale_f32 v5, vcc, v3, s10, v3
	s_lshl_b64 s[8:9], s[6:7], 2
	v_fma_f32 v6, -v2, v4, 1.0
	v_fmac_f32_e32 v4, v6, v4
	v_mul_f32_e32 v6, v5, v4
	v_fma_f32 v7, -v2, v6, v5
	v_fmac_f32_e32 v6, v7, v4
	v_fma_f32 v2, -v2, v6, v5
	v_div_fmas_f32 v2, v2, v4, v6
	v_div_fixup_f32 v2, v2, s10, v3
	s_add_u32 s8, s26, s8
	v_max_f32_e32 v2, 0x37124925, v2
	v_mov_b32_e32 v3, 0
	s_addc_u32 s9, s27, s9
	ds_write_b32 v3, v2 offset:268
	global_store_dword v3, v2, s[8:9]
.LBB4_27:
	s_or_b64 exec, exec, s[2:3]
	s_waitcnt lgkmcnt(0)
	s_barrier
	s_and_saveexec_b64 s[2:3], s[0:1]
	s_cbranch_execz .LBB4_38
; %bb.28:
	s_ashr_i32 s0, s37, 31
	s_mul_hi_u32 s1, s37, s6
	s_mul_i32 s0, s0, s6
	s_add_i32 s8, s1, s0
	s_ashr_i32 s0, s38, 31
	s_mul_i32 s0, s0, s6
	s_add_i32 s35, s33, s0
	v_mov_b32_e32 v3, 0
	s_lshl_b64 s[0:1], s[34:35], 2
	s_load_dword s10, s[4:5], 0x4c
	ds_read_b32 v4, v3 offset:268
	s_add_u32 s7, s28, s0
	s_mul_i32 s9, s37, s6
	s_addc_u32 s11, s29, s1
	s_add_u32 s14, s24, s9
	s_addc_u32 s8, s25, s8
	s_waitcnt lgkmcnt(0)
	s_and_b32 s15, s10, 0xffff
	s_mov_b64 s[0:1], 0
	v_mov_b32_e32 v5, s11
	v_mov_b32_e32 v6, s31
	s_mov_b32 s16, 0x43800000
	s_mov_b32 s17, 0x3bffffff
	;; [unrolled: 1-line block ×4, first 2 shown]
	s_movk_i32 s20, 0x80
	v_mov_b32_e32 v7, s8
	v_mov_b32_e32 v2, v0
	s_branch .LBB4_31
.LBB4_29:                               ;   in Loop: Header=BB4_31 Depth=1
	s_or_b64 exec, exec, s[12:13]
.LBB4_30:                               ;   in Loop: Header=BB4_31 Depth=1
	s_or_b64 exec, exec, s[8:9]
	v_add_co_u32_e32 v8, vcc, s14, v2
	v_addc_co_u32_e32 v9, vcc, 0, v7, vcc
	v_add_u32_e32 v2, s15, v2
	v_cmp_le_u32_e32 vcc, s37, v2
	s_or_b64 s[0:1], vcc, s[0:1]
	global_store_byte v[8:9], v10, off
	s_andn2_b64 exec, exec, s[0:1]
	s_cbranch_execz .LBB4_38
.LBB4_31:                               ; =>This Inner Loop Header: Depth=1
	v_lshlrev_b64 v[8:9], 2, v[2:3]
	v_add_co_u32_e32 v10, vcc, s7, v8
	v_addc_co_u32_e32 v11, vcc, v5, v9, vcc
	v_add_co_u32_e32 v8, vcc, s30, v8
	global_load_dword v10, v[10:11], off
	v_addc_co_u32_e32 v9, vcc, v6, v9, vcc
	global_load_dword v8, v[8:9], off
	s_waitcnt vmcnt(1)
	v_mul_f32_e32 v9, v1, v10
	s_waitcnt vmcnt(0)
	v_mul_f32_e32 v8, v9, v8
	v_div_scale_f32 v9, s[8:9], v4, v4, v8
	v_rcp_f32_e32 v10, v9
	v_div_scale_f32 v11, vcc, v8, v4, v8
	v_fma_f32 v12, -v9, v10, 1.0
	v_fmac_f32_e32 v10, v12, v10
	v_mul_f32_e32 v12, v11, v10
	v_fma_f32 v13, -v9, v12, v11
	v_fmac_f32_e32 v12, v13, v10
	v_fma_f32 v9, -v9, v12, v11
	v_div_fmas_f32 v9, v9, v10, v12
	v_div_fixup_f32 v8, v9, v4, v8
	v_min_f32_e32 v8, 0x43600000, v8
	v_max_f32_e32 v8, 0xc3600000, v8
	v_and_b32_e32 v9, 0x7fffffff, v8
	v_cmp_gt_u32_e32 vcc, s16, v9
	v_mov_b32_e32 v10, 0x80
	s_and_saveexec_b64 s[8:9], vcc
	s_cbranch_execz .LBB4_30
; %bb.32:                               ;   in Loop: Header=BB4_31 Depth=1
	v_cmp_lt_u32_e32 vcc, s17, v9
	s_mov_b64 s[10:11], 0
                                        ; implicit-def: $vgpr9
	s_and_saveexec_b64 s[12:13], vcc
	s_xor_b64 s[12:13], exec, s[12:13]
	s_cbranch_execnz .LBB4_35
; %bb.33:                               ;   in Loop: Header=BB4_31 Depth=1
	s_or_saveexec_b64 s[12:13], s[12:13]
                                        ; implicit-def: $sgpr21
	s_xor_b64 exec, exec, s[12:13]
	s_cbranch_execnz .LBB4_36
.LBB4_34:                               ;   in Loop: Header=BB4_31 Depth=1
	s_or_b64 exec, exec, s[12:13]
	v_mov_b32_e32 v10, s21
	s_and_saveexec_b64 s[12:13], s[10:11]
	s_cbranch_execz .LBB4_29
	s_branch .LBB4_37
.LBB4_35:                               ;   in Loop: Header=BB4_31 Depth=1
	v_bfe_u32 v9, v8, 20, 1
	v_add3_u32 v9, v8, v9, s18
	s_mov_b64 s[10:11], exec
	v_lshrrev_b32_e32 v9, 20, v9
	s_or_saveexec_b64 s[12:13], s[12:13]
                                        ; implicit-def: $sgpr21
	s_xor_b64 exec, exec, s[12:13]
	s_cbranch_execz .LBB4_34
.LBB4_36:                               ;   in Loop: Header=BB4_31 Depth=1
	v_add_f32_e64 v9, |v8|, s19
	v_and_b32_e32 v9, 0xff, v9
	v_cmp_ne_u32_e32 vcc, 0, v9
	s_andn2_b64 s[10:11], s[10:11], exec
	s_and_b64 s[34:35], vcc, exec
	s_mov_b32 s21, 0
	s_or_b64 s[10:11], s[10:11], s[34:35]
	s_or_b64 exec, exec, s[12:13]
	v_mov_b32_e32 v10, s21
	s_and_saveexec_b64 s[12:13], s[10:11]
	s_cbranch_execz .LBB4_29
.LBB4_37:                               ;   in Loop: Header=BB4_31 Depth=1
	v_lshrrev_b32_e32 v8, 24, v8
	v_and_or_b32 v10, v8, s20, v9
	s_branch .LBB4_29
.LBB4_38:
	s_or_b64 exec, exec, s[2:3]
	s_branch .LBB4_211
.LBB4_39:
	s_cbranch_execz .LBB4_211
; %bb.40:
	s_ashr_i32 s0, s38, 31
	s_mul_hi_u32 s1, s38, s6
	s_mul_i32 s0, s0, s6
	s_add_i32 s1, s1, s0
	s_mul_i32 s0, s38, s6
	s_lshl_b64 s[0:1], s[0:1], 2
	s_load_dword s18, s[4:5], 0x40
	s_add_u32 s33, s28, s0
	s_addc_u32 s48, s29, s1
	s_ashr_i32 s49, s37, 2
	s_add_u32 s19, s4, 64
	s_mov_b32 s7, 0
	v_cmp_gt_u32_e64 s[0:1], s49, v0
	s_addc_u32 s20, s5, 0
	v_mov_b32_e32 v10, 0
	s_and_saveexec_b64 s[2:3], s[0:1]
	s_cbranch_execz .LBB4_50
; %bb.41:
	s_waitcnt lgkmcnt(0)
	s_cmp_lt_u32 s6, s18
	s_cselect_b32 s4, 12, 18
	s_add_u32 s4, s19, s4
	s_addc_u32 s5, s20, 0
	v_mov_b32_e32 v3, 0
	global_load_ushort v1, v3, s[4:5]
	s_mov_b64 s[4:5], 0
	v_mov_b32_e32 v8, s48
	v_mov_b32_e32 v2, v0
	;; [unrolled: 1-line block ×3, first 2 shown]
                                        ; implicit-def: $sgpr8_sgpr9
	s_waitcnt vmcnt(0)
	v_add_u32_e32 v4, v1, v1
	v_mul_lo_u32 v9, v1, 3
	v_lshlrev_b32_e32 v11, 1, v1
	v_add_u32_e32 v12, v4, v1
	s_branch .LBB4_45
.LBB4_42:                               ;   in Loop: Header=BB4_45 Depth=1
	s_or_b64 exec, exec, s[14:15]
	s_orn2_b64 s[14:15], s[16:17], exec
.LBB4_43:                               ;   in Loop: Header=BB4_45 Depth=1
	s_or_b64 exec, exec, s[12:13]
	s_andn2_b64 s[8:9], s[8:9], exec
	s_and_b64 s[12:13], s[14:15], exec
	s_or_b64 s[8:9], s[8:9], s[12:13]
.LBB4_44:                               ;   in Loop: Header=BB4_45 Depth=1
	s_or_b64 exec, exec, s[10:11]
	s_and_b64 s[10:11], exec, s[8:9]
	s_or_b64 s[4:5], s[10:11], s[4:5]
	s_andn2_b64 exec, exec, s[4:5]
	s_cbranch_execz .LBB4_49
.LBB4_45:                               ; =>This Inner Loop Header: Depth=1
	v_lshlrev_b64 v[4:5], 4, v[2:3]
	v_add_co_u32_e32 v4, vcc, s33, v4
	v_addc_co_u32_e32 v5, vcc, v8, v5, vcc
	global_load_dwordx4 v[14:17], v[4:5], off
	v_add_u32_e32 v4, v2, v1
	v_cmp_gt_u32_e32 vcc, s49, v4
	s_or_b64 s[8:9], s[8:9], exec
	s_waitcnt vmcnt(0)
	v_fmac_f32_e32 v10, v14, v14
	v_fmac_f32_e32 v10, v15, v15
	;; [unrolled: 1-line block ×4, first 2 shown]
	s_and_saveexec_b64 s[10:11], vcc
	s_cbranch_execz .LBB4_44
; %bb.46:                               ;   in Loop: Header=BB4_45 Depth=1
	v_mov_b32_e32 v5, v3
	v_lshlrev_b64 v[6:7], 4, v[4:5]
	v_add_co_u32_e32 v6, vcc, s33, v6
	v_addc_co_u32_e32 v7, vcc, v8, v7, vcc
	global_load_dwordx4 v[14:17], v[6:7], off
	v_add_u32_e32 v6, v11, v2
	v_cmp_gt_u32_e32 vcc, s49, v6
	s_mov_b64 s[14:15], -1
	s_waitcnt vmcnt(0)
	v_fmac_f32_e32 v10, v14, v14
	v_fmac_f32_e32 v10, v15, v15
	;; [unrolled: 1-line block ×4, first 2 shown]
	s_and_saveexec_b64 s[12:13], vcc
	s_cbranch_execz .LBB4_43
; %bb.47:                               ;   in Loop: Header=BB4_45 Depth=1
	v_mov_b32_e32 v7, v3
	v_lshlrev_b64 v[6:7], 4, v[6:7]
	v_add_co_u32_e32 v6, vcc, s33, v6
	v_addc_co_u32_e32 v7, vcc, v8, v7, vcc
	global_load_dwordx4 v[14:17], v[6:7], off
	v_add_u32_e32 v2, v9, v2
	v_cmp_gt_u32_e32 vcc, s49, v2
	s_mov_b64 s[16:17], -1
	s_waitcnt vmcnt(0)
	v_fmac_f32_e32 v10, v14, v14
	v_fmac_f32_e32 v10, v15, v15
	;; [unrolled: 1-line block ×4, first 2 shown]
	s_and_saveexec_b64 s[14:15], vcc
	s_xor_b64 s[14:15], exec, s[14:15]
	s_cbranch_execz .LBB4_42
; %bb.48:                               ;   in Loop: Header=BB4_45 Depth=1
	v_lshlrev_b64 v[6:7], 4, v[2:3]
	v_add_co_u32_e32 v6, vcc, s33, v6
	v_addc_co_u32_e32 v7, vcc, v8, v7, vcc
	global_load_dwordx4 v[14:17], v[6:7], off
	v_add_u32_e32 v2, v12, v4
	v_cmp_le_u32_e32 vcc, s49, v2
	s_orn2_b64 s[16:17], vcc, exec
	s_waitcnt vmcnt(0)
	v_fmac_f32_e32 v10, v14, v14
	v_fmac_f32_e32 v10, v15, v15
	v_fmac_f32_e32 v10, v16, v16
	v_fmac_f32_e32 v10, v17, v17
	s_branch .LBB4_42
.LBB4_49:
	s_or_b64 exec, exec, s[4:5]
.LBB4_50:
	s_or_b64 exec, exec, s[2:3]
	s_waitcnt lgkmcnt(0)
	s_cmp_lt_u32 s6, s18
	s_cselect_b32 s2, 12, 18
	s_add_u32 s2, s19, s2
	s_addc_u32 s3, s20, 0
	v_mov_b32_e32 v1, 0
	global_load_ushort v2, v1, s[2:3]
	v_mbcnt_lo_u32_b32 v1, -1, 0
	v_mbcnt_hi_u32_b32 v1, -1, v1
	v_and_b32_e32 v4, 63, v1
	v_cmp_ne_u32_e32 vcc, 63, v4
	v_addc_co_u32_e32 v8, vcc, 0, v1, vcc
	v_lshlrev_b32_e32 v8, 2, v8
	ds_bpermute_b32 v11, v8, v10
	v_and_b32_e32 v3, 0x3c0, v0
	v_cmp_gt_u32_e32 vcc, 62, v4
	v_add_u32_e32 v5, 1, v1
	v_cndmask_b32_e64 v9, 0, 1, vcc
	v_lshlrev_b32_e32 v9, 1, v9
	s_waitcnt lgkmcnt(0)
	v_add_f32_e32 v11, v10, v11
	v_add_lshl_u32 v9, v9, v1, 2
	v_cmp_gt_u32_e32 vcc, 60, v4
	v_add_u32_e32 v6, 2, v1
	v_add_u32_e32 v7, 4, v1
	;; [unrolled: 1-line block ×4, first 2 shown]
	v_cmp_eq_u32_e64 s[14:15], 0, v1
	s_waitcnt vmcnt(0)
	v_sub_u32_e64 v3, v2, v3 clamp
	v_cmp_lt_u32_e64 s[2:3], v5, v3
	v_cndmask_b32_e64 v5, v10, v11, s[2:3]
	ds_bpermute_b32 v11, v9, v5
	v_cndmask_b32_e64 v10, 0, 1, vcc
	v_lshlrev_b32_e32 v10, 2, v10
	v_cmp_lt_u32_e64 s[4:5], v6, v3
	v_add_lshl_u32 v10, v10, v1, 2
	s_waitcnt lgkmcnt(0)
	v_add_f32_e32 v11, v5, v11
	v_cndmask_b32_e64 v5, v5, v11, s[4:5]
	ds_bpermute_b32 v6, v10, v5
	v_cmp_gt_u32_e32 vcc, 56, v4
	v_cndmask_b32_e64 v11, 0, 1, vcc
	v_lshlrev_b32_e32 v11, 3, v11
	v_cmp_lt_u32_e64 s[8:9], v7, v3
	s_waitcnt lgkmcnt(0)
	v_add_f32_e32 v6, v5, v6
	v_add_lshl_u32 v11, v11, v1, 2
	v_cndmask_b32_e64 v5, v5, v6, s[8:9]
	ds_bpermute_b32 v6, v11, v5
	v_cmp_gt_u32_e32 vcc, 48, v4
	v_cndmask_b32_e64 v7, 0, 1, vcc
	v_lshlrev_b32_e32 v7, 4, v7
	v_cmp_lt_u32_e64 s[10:11], v13, v3
	s_waitcnt lgkmcnt(0)
	v_add_f32_e32 v6, v5, v6
	v_add_lshl_u32 v12, v7, v1, 2
	v_cndmask_b32_e64 v5, v5, v6, s[10:11]
	ds_bpermute_b32 v6, v12, v5
	v_cmp_gt_u32_e32 vcc, 32, v4
	v_cndmask_b32_e64 v4, 0, 1, vcc
	v_lshlrev_b32_e32 v4, 5, v4
	v_add_lshl_u32 v13, v4, v1, 2
	s_waitcnt lgkmcnt(0)
	v_add_f32_e32 v4, v5, v6
	v_cmp_lt_u32_e64 s[12:13], v14, v3
	v_cndmask_b32_e64 v4, v5, v4, s[12:13]
	ds_bpermute_b32 v5, v13, v4
	v_add_u32_e32 v6, 32, v1
	v_readfirstlane_b32 s50, v2
	v_cmp_lt_u32_e64 s[20:21], v6, v3
	s_waitcnt lgkmcnt(0)
	v_add_f32_e32 v2, v4, v5
	v_cndmask_b32_e64 v2, v4, v2, s[20:21]
	s_and_saveexec_b64 s[16:17], s[14:15]
	s_cbranch_execz .LBB4_52
; %bb.51:
	v_lshrrev_b32_e32 v3, 4, v0
	v_and_b32_e32 v3, 60, v3
	ds_write_b32 v3, v2
.LBB4_52:
	s_or_b64 exec, exec, s[16:17]
	v_cmp_gt_u32_e64 s[16:17], 16, v0
	s_waitcnt lgkmcnt(0)
	s_barrier
	s_and_saveexec_b64 s[28:29], s[16:17]
	s_cbranch_execz .LBB4_54
; %bb.53:
	v_lshlrev_b32_e32 v2, 2, v1
	ds_read_b32 v2, v2
	v_and_b32_e32 v3, 15, v1
	v_cmp_ne_u32_e32 vcc, 15, v3
	v_addc_co_u32_e32 v4, vcc, 0, v1, vcc
	v_lshlrev_b32_e32 v4, 2, v4
	s_waitcnt lgkmcnt(0)
	ds_bpermute_b32 v4, v4, v2
	s_add_i32 s18, s50, 63
	s_lshr_b32 s34, s18, 6
	v_add_u32_e32 v5, 1, v3
	v_cmp_gt_u32_e64 s[18:19], 14, v3
	v_cmp_gt_u32_e32 vcc, s34, v5
	v_cndmask_b32_e64 v5, 0, 1, s[18:19]
	s_waitcnt lgkmcnt(0)
	v_add_f32_e32 v4, v2, v4
	v_lshlrev_b32_e32 v5, 1, v5
	v_cndmask_b32_e32 v4, v2, v4, vcc
	v_add_lshl_u32 v5, v5, v1, 2
	ds_bpermute_b32 v5, v5, v4
	v_add_u32_e32 v6, 2, v3
	v_cmp_gt_u32_e64 s[18:19], s34, v6
	v_add_u32_e32 v6, 4, v3
	s_waitcnt lgkmcnt(0)
	v_add_f32_e32 v5, v4, v5
	v_cndmask_b32_e64 v4, v4, v5, s[18:19]
	v_cmp_gt_u32_e64 s[18:19], 12, v3
	v_cndmask_b32_e64 v5, 0, 1, s[18:19]
	v_lshlrev_b32_e32 v5, 2, v5
	v_add_lshl_u32 v5, v5, v1, 2
	ds_bpermute_b32 v5, v5, v4
	v_cmp_gt_u32_e64 s[18:19], s34, v6
	s_waitcnt lgkmcnt(0)
	v_add_f32_e32 v5, v4, v5
	v_cndmask_b32_e64 v4, v4, v5, s[18:19]
	v_cmp_gt_u32_e64 s[18:19], 8, v3
	v_cndmask_b32_e64 v5, 0, 1, s[18:19]
	v_lshlrev_b32_e32 v5, 3, v5
	v_add_lshl_u32 v5, v5, v1, 2
	ds_bpermute_b32 v5, v5, v4
	v_add_u32_e32 v3, 8, v3
	v_cmp_gt_u32_e64 s[18:19], s34, v3
	s_waitcnt lgkmcnt(0)
	v_add_f32_e32 v5, v4, v5
	v_cndmask_b32_e64 v3, v4, v5, s[18:19]
	v_cndmask_b32_e32 v2, v2, v3, vcc
.LBB4_54:
	s_or_b64 exec, exec, s[28:29]
	v_cmp_eq_u32_e64 s[18:19], 0, v0
	s_and_saveexec_b64 s[28:29], s[18:19]
	s_cbranch_execz .LBB4_56
; %bb.55:
	v_cvt_f32_i32_e32 v3, s37
	v_div_scale_f32 v4, s[34:35], v3, v3, v2
	v_rcp_f32_e32 v5, v4
	v_div_scale_f32 v6, vcc, v2, v3, v2
	s_mov_b32 s34, 0x800000
	v_fma_f32 v7, -v4, v5, 1.0
	v_fmac_f32_e32 v5, v7, v5
	v_mul_f32_e32 v7, v6, v5
	v_fma_f32 v14, -v4, v7, v6
	v_fmac_f32_e32 v7, v14, v5
	v_fma_f32 v4, -v4, v7, v6
	v_div_fmas_f32 v4, v4, v5, v7
	v_div_fixup_f32 v2, v4, v3, v2
	v_add_f32_e32 v2, s36, v2
	v_mul_f32_e32 v3, 0x4b800000, v2
	v_cmp_gt_f32_e32 vcc, s34, v2
	v_cndmask_b32_e32 v2, v2, v3, vcc
	v_rsq_f32_e32 v2, v2
	v_mul_f32_e32 v3, 0x45800000, v2
	v_cndmask_b32_e32 v2, v2, v3, vcc
	v_mov_b32_e32 v3, 0
	ds_write_b32 v3, v2 offset:256
.LBB4_56:
	s_or_b64 exec, exec, s[28:29]
	v_mov_b32_e32 v15, 0
	s_waitcnt lgkmcnt(0)
	s_barrier
	ds_read_b32 v14, v15 offset:256
	s_and_saveexec_b64 s[28:29], s[0:1]
	s_cbranch_execz .LBB4_66
; %bb.57:
	s_add_i32 s52, s50, s50
	s_mul_i32 s36, s50, 3
	s_lshl_b32 s51, s50, 1
	s_mov_b64 s[34:35], 0
	v_mov_b32_e32 v3, 0
	v_mov_b32_e32 v16, s48
	;; [unrolled: 1-line block ×3, first 2 shown]
	s_add_i32 s52, s52, s50
	v_mov_b32_e32 v15, 0
	v_mov_b32_e32 v2, v0
                                        ; implicit-def: $sgpr38_sgpr39
	s_branch .LBB4_61
.LBB4_58:                               ;   in Loop: Header=BB4_61 Depth=1
	s_or_b64 exec, exec, s[44:45]
	s_orn2_b64 s[44:45], s[46:47], exec
.LBB4_59:                               ;   in Loop: Header=BB4_61 Depth=1
	s_or_b64 exec, exec, s[42:43]
	s_andn2_b64 s[38:39], s[38:39], exec
	s_and_b64 s[42:43], s[44:45], exec
	s_or_b64 s[38:39], s[38:39], s[42:43]
.LBB4_60:                               ;   in Loop: Header=BB4_61 Depth=1
	s_or_b64 exec, exec, s[40:41]
	s_and_b64 s[40:41], exec, s[38:39]
	s_or_b64 s[34:35], s[40:41], s[34:35]
	s_andn2_b64 exec, exec, s[34:35]
	s_cbranch_execz .LBB4_65
.LBB4_61:                               ; =>This Inner Loop Header: Depth=1
	v_lshlrev_b64 v[4:5], 4, v[2:3]
	v_add_co_u32_e32 v6, vcc, s33, v4
	v_addc_co_u32_e32 v7, vcc, v16, v5, vcc
	v_add_co_u32_e32 v4, vcc, s30, v4
	global_load_dwordx4 v[18:21], v[6:7], off
	v_addc_co_u32_e32 v5, vcc, v17, v5, vcc
	global_load_dwordx4 v[22:25], v[4:5], off
	v_add_u32_e32 v4, s50, v2
	v_cmp_gt_u32_e32 vcc, s49, v4
	s_or_b64 s[38:39], s[38:39], exec
	s_waitcnt vmcnt(1) lgkmcnt(0)
	v_mul_f32_e32 v5, v14, v18
	v_mul_f32_e32 v6, v14, v19
	;; [unrolled: 1-line block ×4, first 2 shown]
	s_waitcnt vmcnt(0)
	v_mul_f32_e32 v5, v5, v22
	v_mul_f32_e32 v6, v6, v23
	;; [unrolled: 1-line block ×4, first 2 shown]
	v_max3_f32 v5, v15, |v5|, |v6|
	v_max3_f32 v15, v5, |v7|, |v18|
	s_and_saveexec_b64 s[40:41], vcc
	s_cbranch_execz .LBB4_60
; %bb.62:                               ;   in Loop: Header=BB4_61 Depth=1
	v_mov_b32_e32 v5, v3
	v_lshlrev_b64 v[6:7], 4, v[4:5]
	v_add_co_u32_e32 v18, vcc, s33, v6
	v_addc_co_u32_e32 v19, vcc, v16, v7, vcc
	v_add_co_u32_e32 v6, vcc, s30, v6
	global_load_dwordx4 v[18:21], v[18:19], off
	v_addc_co_u32_e32 v7, vcc, v17, v7, vcc
	global_load_dwordx4 v[22:25], v[6:7], off
	v_add_u32_e32 v6, s51, v2
	v_cmp_gt_u32_e32 vcc, s49, v6
	s_mov_b64 s[44:45], -1
	s_waitcnt vmcnt(1)
	v_mul_f32_e32 v5, v14, v18
	v_mul_f32_e32 v7, v14, v19
	;; [unrolled: 1-line block ×4, first 2 shown]
	s_waitcnt vmcnt(0)
	v_mul_f32_e32 v5, v5, v22
	v_mul_f32_e32 v7, v7, v23
	;; [unrolled: 1-line block ×4, first 2 shown]
	v_max3_f32 v5, v15, |v5|, |v7|
	v_max3_f32 v15, v5, |v18|, |v19|
	s_and_saveexec_b64 s[42:43], vcc
	s_cbranch_execz .LBB4_59
; %bb.63:                               ;   in Loop: Header=BB4_61 Depth=1
	v_mov_b32_e32 v7, v3
	v_lshlrev_b64 v[6:7], 4, v[6:7]
	v_add_co_u32_e32 v18, vcc, s33, v6
	v_addc_co_u32_e32 v19, vcc, v16, v7, vcc
	v_add_co_u32_e32 v6, vcc, s30, v6
	global_load_dwordx4 v[18:21], v[18:19], off
	v_addc_co_u32_e32 v7, vcc, v17, v7, vcc
	global_load_dwordx4 v[22:25], v[6:7], off
	v_add_u32_e32 v2, s36, v2
	v_cmp_gt_u32_e32 vcc, s49, v2
	s_mov_b64 s[46:47], -1
	s_waitcnt vmcnt(1)
	v_mul_f32_e32 v5, v14, v18
	v_mul_f32_e32 v6, v14, v19
	;; [unrolled: 1-line block ×4, first 2 shown]
	s_waitcnt vmcnt(0)
	v_mul_f32_e32 v5, v5, v22
	v_mul_f32_e32 v6, v6, v23
	;; [unrolled: 1-line block ×4, first 2 shown]
	v_max3_f32 v5, v15, |v5|, |v6|
	v_max3_f32 v15, v5, |v7|, |v18|
	s_and_saveexec_b64 s[44:45], vcc
	s_xor_b64 s[44:45], exec, s[44:45]
	s_cbranch_execz .LBB4_58
; %bb.64:                               ;   in Loop: Header=BB4_61 Depth=1
	v_lshlrev_b64 v[6:7], 4, v[2:3]
	v_add_co_u32_e32 v18, vcc, s33, v6
	v_addc_co_u32_e32 v19, vcc, v16, v7, vcc
	v_add_co_u32_e32 v6, vcc, s30, v6
	global_load_dwordx4 v[18:21], v[18:19], off
	v_addc_co_u32_e32 v7, vcc, v17, v7, vcc
	global_load_dwordx4 v[22:25], v[6:7], off
	v_add_u32_e32 v2, s52, v4
	v_cmp_le_u32_e32 vcc, s49, v2
	s_orn2_b64 s[46:47], vcc, exec
	s_waitcnt vmcnt(1)
	v_mul_f32_e32 v4, v14, v18
	v_mul_f32_e32 v5, v14, v19
	;; [unrolled: 1-line block ×4, first 2 shown]
	s_waitcnt vmcnt(0)
	v_mul_f32_e32 v4, v4, v22
	v_mul_f32_e32 v5, v5, v23
	;; [unrolled: 1-line block ×4, first 2 shown]
	v_max3_f32 v4, v15, |v4|, |v5|
	v_max3_f32 v15, v4, |v6|, |v7|
	s_branch .LBB4_58
.LBB4_65:
	s_or_b64 exec, exec, s[34:35]
.LBB4_66:
	s_or_b64 exec, exec, s[28:29]
	ds_bpermute_b32 v2, v8, v15
	s_waitcnt lgkmcnt(0)
	v_cmp_lt_f32_e32 vcc, v15, v2
	v_cndmask_b32_e32 v2, v15, v2, vcc
	v_cndmask_b32_e64 v2, v15, v2, s[2:3]
	ds_bpermute_b32 v3, v9, v2
	s_or_b64 s[2:3], s[2:3], s[4:5]
	s_or_b64 s[2:3], s[8:9], s[2:3]
	s_or_b64 s[2:3], s[10:11], s[2:3]
	s_or_b64 s[2:3], s[12:13], s[2:3]
	s_waitcnt lgkmcnt(0)
	v_cmp_lt_f32_e32 vcc, v2, v3
	v_cndmask_b32_e32 v3, v2, v3, vcc
	v_cndmask_b32_e64 v2, v2, v3, s[4:5]
	ds_bpermute_b32 v3, v10, v2
	s_waitcnt lgkmcnt(0)
	v_cmp_lt_f32_e32 vcc, v2, v3
	v_cndmask_b32_e32 v3, v2, v3, vcc
	v_cndmask_b32_e64 v2, v2, v3, s[8:9]
	ds_bpermute_b32 v3, v11, v2
	;; [unrolled: 5-line block ×4, first 2 shown]
	s_waitcnt lgkmcnt(0)
	v_cmp_lt_f32_e32 vcc, v2, v3
	s_and_b64 vcc, s[20:21], vcc
	v_cndmask_b32_e32 v2, v2, v3, vcc
	s_or_b64 vcc, s[20:21], s[2:3]
	v_cndmask_b32_e32 v2, v15, v2, vcc
	s_and_saveexec_b64 s[2:3], s[14:15]
	s_cbranch_execz .LBB4_68
; %bb.67:
	v_lshrrev_b32_e32 v3, 4, v0
	v_and_b32_e32 v3, 60, v3
	ds_write_b32 v3, v2 offset:64
.LBB4_68:
	s_or_b64 exec, exec, s[2:3]
	s_waitcnt lgkmcnt(0)
	s_barrier
	s_and_saveexec_b64 s[8:9], s[16:17]
	s_cbranch_execz .LBB4_70
; %bb.69:
	v_lshlrev_b32_e32 v2, 2, v1
	ds_read_b32 v2, v2 offset:64
	v_and_b32_e32 v3, 15, v1
	v_cmp_ne_u32_e32 vcc, 15, v3
	v_addc_co_u32_e32 v4, vcc, 0, v1, vcc
	v_lshlrev_b32_e32 v4, 2, v4
	s_waitcnt lgkmcnt(0)
	ds_bpermute_b32 v4, v4, v2
	s_add_i32 s2, s50, 63
	s_lshr_b32 s4, s2, 6
	v_add_u32_e32 v5, 1, v3
	v_cmp_gt_u32_e64 s[2:3], 14, v3
	s_waitcnt lgkmcnt(0)
	v_cmp_lt_f32_e32 vcc, v2, v4
	v_cndmask_b32_e32 v4, v2, v4, vcc
	v_cmp_gt_u32_e32 vcc, s4, v5
	v_cndmask_b32_e64 v5, 0, 1, s[2:3]
	v_lshlrev_b32_e32 v5, 1, v5
	v_cndmask_b32_e32 v4, v2, v4, vcc
	v_add_lshl_u32 v5, v5, v1, 2
	ds_bpermute_b32 v5, v5, v4
	v_add_u32_e32 v6, 2, v3
	s_waitcnt lgkmcnt(0)
	v_cmp_lt_f32_e64 s[2:3], v4, v5
	v_cndmask_b32_e64 v5, v4, v5, s[2:3]
	v_cmp_gt_u32_e64 s[2:3], s4, v6
	v_cndmask_b32_e64 v4, v4, v5, s[2:3]
	v_cmp_gt_u32_e64 s[2:3], 12, v3
	v_cndmask_b32_e64 v5, 0, 1, s[2:3]
	v_lshlrev_b32_e32 v5, 2, v5
	v_add_lshl_u32 v5, v5, v1, 2
	ds_bpermute_b32 v5, v5, v4
	v_add_u32_e32 v6, 4, v3
	s_waitcnt lgkmcnt(0)
	v_cmp_lt_f32_e64 s[2:3], v4, v5
	v_cndmask_b32_e64 v5, v4, v5, s[2:3]
	v_cmp_gt_u32_e64 s[2:3], s4, v6
	v_cndmask_b32_e64 v4, v4, v5, s[2:3]
	v_cmp_gt_u32_e64 s[2:3], 8, v3
	v_cndmask_b32_e64 v5, 0, 1, s[2:3]
	v_lshlrev_b32_e32 v5, 3, v5
	v_add_lshl_u32 v1, v5, v1, 2
	ds_bpermute_b32 v1, v1, v4
	v_add_u32_e32 v3, 8, v3
	v_cmp_gt_u32_e64 s[2:3], s4, v3
	s_waitcnt lgkmcnt(0)
	v_cmp_lt_f32_e64 s[4:5], v4, v1
	s_and_b64 s[2:3], s[2:3], s[4:5]
	v_cndmask_b32_e64 v1, v4, v1, s[2:3]
	v_cndmask_b32_e32 v2, v2, v1, vcc
.LBB4_70:
	s_or_b64 exec, exec, s[8:9]
	s_and_saveexec_b64 s[2:3], s[18:19]
	s_cbranch_execz .LBB4_74
; %bb.71:
	s_cmp_eq_u64 s[22:23], 0
	s_cbranch_scc1 .LBB4_73
; %bb.72:
	s_load_dword s4, s[22:23], 0x0
	v_max_f32_e32 v1, v2, v2
	s_waitcnt lgkmcnt(0)
	v_max_f32_e64 v2, s4, s4
	v_min_f32_e32 v2, v1, v2
.LBB4_73:
	s_mov_b32 s8, 0x43600000
	v_div_scale_f32 v1, s[4:5], s8, s8, v2
	v_rcp_f32_e32 v3, v1
	v_div_scale_f32 v4, vcc, v2, s8, v2
	s_lshl_b64 s[4:5], s[6:7], 2
	v_fma_f32 v5, -v1, v3, 1.0
	v_fmac_f32_e32 v3, v5, v3
	v_mul_f32_e32 v5, v4, v3
	v_fma_f32 v6, -v1, v5, v4
	v_fmac_f32_e32 v5, v6, v3
	v_fma_f32 v1, -v1, v5, v4
	v_div_fmas_f32 v1, v1, v3, v5
	v_div_fixup_f32 v1, v1, s8, v2
	s_add_u32 s4, s26, s4
	v_max_f32_e32 v1, 0x37124925, v1
	v_mov_b32_e32 v2, 0
	s_addc_u32 s5, s27, s5
	ds_write_b32 v2, v1 offset:260
	global_store_dword v2, v1, s[4:5]
.LBB4_74:
	s_or_b64 exec, exec, s[2:3]
	s_waitcnt lgkmcnt(0)
	s_barrier
	s_and_saveexec_b64 s[2:3], s[0:1]
	s_cbranch_execz .LBB4_211
; %bb.75:
	v_mov_b32_e32 v1, 0
	ds_read_b32 v15, v1 offset:260
	s_ashr_i32 s0, s37, 31
	s_mul_hi_u32 s1, s37, s6
	s_mul_i32 s0, s0, s6
	s_add_i32 s1, s1, s0
	s_mul_i32 s0, s37, s6
	s_add_u32 s14, s24, s0
	s_addc_u32 s15, s25, s1
	s_mul_i32 s16, s50, 3
	s_lshl_b32 s17, s50, 1
	s_mov_b64 s[0:1], 0
	v_mov_b32_e32 v16, s48
	v_mov_b32_e32 v17, s31
	s_mov_b32 s18, 0x43800000
	s_mov_b32 s19, 0x3bffffff
	s_mov_b32 s20, 0x487ffff
	s_mov_b32 s21, 0x46000000
	s_movk_i32 s22, 0x80
	s_mov_b32 s23, 0x4020c0c
	s_branch .LBB4_81
.LBB4_76:                               ;   in Loop: Header=BB4_81 Depth=1
	s_or_b64 exec, exec, s[12:13]
.LBB4_77:                               ;   in Loop: Header=BB4_81 Depth=1
	s_or_b64 exec, exec, s[8:9]
	v_lshlrev_b64 v[8:9], 2, v[0:1]
	v_mov_b32_e32 v0, s15
	v_add_co_u32_e32 v8, vcc, s14, v8
	v_addc_co_u32_e32 v9, vcc, v0, v9, vcc
	v_lshlrev_b32_e32 v0, 16, v4
	v_lshlrev_b32_e32 v2, 8, v2
	v_perm_b32 v0, v3, v0, s23
	v_and_b32_e32 v2, 0xff00, v2
	v_and_b32_e32 v3, 0xff, v6
	s_add_i32 s8, s50, s50
	v_or3_b32 v0, v0, v2, v3
	s_add_i32 s8, s8, s50
	global_store_dword v[8:9], v0, off
	v_add_u32_e32 v0, s8, v10
	v_cmp_le_u32_e32 vcc, s49, v0
	s_orn2_b64 s[8:9], vcc, exec
.LBB4_78:                               ;   in Loop: Header=BB4_81 Depth=1
	s_or_b64 exec, exec, s[6:7]
	s_orn2_b64 s[6:7], s[8:9], exec
.LBB4_79:                               ;   in Loop: Header=BB4_81 Depth=1
	s_or_b64 exec, exec, s[4:5]
	s_orn2_b64 s[4:5], s[6:7], exec
.LBB4_80:                               ;   in Loop: Header=BB4_81 Depth=1
	s_or_b64 exec, exec, s[2:3]
	s_and_b64 s[2:3], exec, s[4:5]
	s_or_b64 s[0:1], s[2:3], s[0:1]
	s_andn2_b64 exec, exec, s[0:1]
	s_cbranch_execz .LBB4_211
.LBB4_81:                               ; =>This Inner Loop Header: Depth=1
	v_lshlrev_b64 v[6:7], 4, v[0:1]
	v_add_co_u32_e32 v2, vcc, s33, v6
	v_addc_co_u32_e32 v3, vcc, v16, v7, vcc
	v_add_co_u32_e32 v6, vcc, s30, v6
	global_load_dwordx4 v[2:5], v[2:3], off
	v_addc_co_u32_e32 v7, vcc, v17, v7, vcc
	global_load_dwordx4 v[6:9], v[6:7], off
	s_waitcnt vmcnt(1)
	v_mul_f32_e32 v2, v14, v2
	s_waitcnt vmcnt(0)
	v_mul_f32_e32 v6, v2, v6
	s_waitcnt lgkmcnt(0)
	v_div_scale_f32 v10, s[2:3], v15, v15, v6
	v_rcp_f32_e32 v11, v10
	v_div_scale_f32 v12, vcc, v6, v15, v6
	v_mov_b32_e32 v2, 0x80
	v_fma_f32 v13, -v10, v11, 1.0
	v_fmac_f32_e32 v11, v13, v11
	v_mul_f32_e32 v13, v12, v11
	v_fma_f32 v18, -v10, v13, v12
	v_fmac_f32_e32 v13, v18, v11
	v_fma_f32 v10, -v10, v13, v12
	v_div_fmas_f32 v10, v10, v11, v13
	v_div_fixup_f32 v6, v10, v15, v6
	v_min_f32_e32 v6, 0x43600000, v6
	v_max_f32_e32 v10, 0xc3600000, v6
	v_and_b32_e32 v11, 0x7fffffff, v10
	v_cmp_gt_u32_e32 vcc, s18, v11
	v_mov_b32_e32 v6, 0x80
	s_and_saveexec_b64 s[2:3], vcc
	s_cbranch_execz .LBB4_87
; %bb.82:                               ;   in Loop: Header=BB4_81 Depth=1
	v_cmp_lt_u32_e32 vcc, s19, v11
	s_mov_b64 s[4:5], 0
                                        ; implicit-def: $vgpr11
	s_and_saveexec_b64 s[6:7], vcc
	s_xor_b64 s[6:7], exec, s[6:7]
	s_cbranch_execnz .LBB4_178
; %bb.83:                               ;   in Loop: Header=BB4_81 Depth=1
	s_or_saveexec_b64 s[6:7], s[6:7]
                                        ; implicit-def: $sgpr8
	s_xor_b64 exec, exec, s[6:7]
	s_cbranch_execnz .LBB4_179
.LBB4_84:                               ;   in Loop: Header=BB4_81 Depth=1
	s_or_b64 exec, exec, s[6:7]
	v_mov_b32_e32 v6, s8
	s_and_saveexec_b64 s[6:7], s[4:5]
.LBB4_85:                               ;   in Loop: Header=BB4_81 Depth=1
	v_lshrrev_b32_e32 v6, 24, v10
	v_and_or_b32 v6, v6, s22, v11
.LBB4_86:                               ;   in Loop: Header=BB4_81 Depth=1
	s_or_b64 exec, exec, s[6:7]
.LBB4_87:                               ;   in Loop: Header=BB4_81 Depth=1
	s_or_b64 exec, exec, s[2:3]
	v_mul_f32_e32 v3, v14, v3
	v_mul_f32_e32 v3, v3, v7
	v_div_scale_f32 v7, s[2:3], v15, v15, v3
	v_rcp_f32_e32 v10, v7
	v_div_scale_f32 v11, vcc, v3, v15, v3
	v_fma_f32 v12, -v7, v10, 1.0
	v_fmac_f32_e32 v10, v12, v10
	v_mul_f32_e32 v12, v11, v10
	v_fma_f32 v13, -v7, v12, v11
	v_fmac_f32_e32 v12, v13, v10
	v_fma_f32 v7, -v7, v12, v11
	v_div_fmas_f32 v7, v7, v10, v12
	v_div_fixup_f32 v3, v7, v15, v3
	v_min_f32_e32 v3, 0x43600000, v3
	v_max_f32_e32 v3, 0xc3600000, v3
	v_and_b32_e32 v7, 0x7fffffff, v3
	v_cmp_gt_u32_e32 vcc, s18, v7
	s_and_saveexec_b64 s[2:3], vcc
	s_cbranch_execz .LBB4_93
; %bb.88:                               ;   in Loop: Header=BB4_81 Depth=1
	v_cmp_lt_u32_e32 vcc, s19, v7
	s_mov_b64 s[4:5], 0
                                        ; implicit-def: $vgpr7
	s_and_saveexec_b64 s[6:7], vcc
	s_xor_b64 s[6:7], exec, s[6:7]
	s_cbranch_execnz .LBB4_180
; %bb.89:                               ;   in Loop: Header=BB4_81 Depth=1
	s_or_saveexec_b64 s[6:7], s[6:7]
                                        ; implicit-def: $sgpr8
	s_xor_b64 exec, exec, s[6:7]
	s_cbranch_execnz .LBB4_181
.LBB4_90:                               ;   in Loop: Header=BB4_81 Depth=1
	s_or_b64 exec, exec, s[6:7]
	v_mov_b32_e32 v2, s8
	s_and_saveexec_b64 s[6:7], s[4:5]
.LBB4_91:                               ;   in Loop: Header=BB4_81 Depth=1
	v_lshrrev_b32_e32 v2, 24, v3
	v_and_or_b32 v2, v2, s22, v7
.LBB4_92:                               ;   in Loop: Header=BB4_81 Depth=1
	s_or_b64 exec, exec, s[6:7]
.LBB4_93:                               ;   in Loop: Header=BB4_81 Depth=1
	s_or_b64 exec, exec, s[2:3]
	v_mul_f32_e32 v3, v14, v4
	v_mul_f32_e32 v3, v3, v8
	v_div_scale_f32 v4, s[2:3], v15, v15, v3
	v_rcp_f32_e32 v7, v4
	v_div_scale_f32 v8, vcc, v3, v15, v3
	v_fma_f32 v10, -v4, v7, 1.0
	v_fmac_f32_e32 v7, v10, v7
	v_mul_f32_e32 v10, v8, v7
	v_fma_f32 v11, -v4, v10, v8
	v_fmac_f32_e32 v10, v11, v7
	v_fma_f32 v4, -v4, v10, v8
	v_div_fmas_f32 v4, v4, v7, v10
	v_div_fixup_f32 v3, v4, v15, v3
	v_min_f32_e32 v3, 0x43600000, v3
	v_max_f32_e32 v7, 0xc3600000, v3
	v_and_b32_e32 v8, 0x7fffffff, v7
	v_cmp_gt_u32_e32 vcc, s18, v8
	v_mov_b32_e32 v3, 0x80
	v_mov_b32_e32 v4, 0x80
	s_and_saveexec_b64 s[2:3], vcc
	s_cbranch_execz .LBB4_99
; %bb.94:                               ;   in Loop: Header=BB4_81 Depth=1
	v_cmp_lt_u32_e32 vcc, s19, v8
	s_mov_b64 s[4:5], 0
                                        ; implicit-def: $vgpr8
	s_and_saveexec_b64 s[6:7], vcc
	s_xor_b64 s[6:7], exec, s[6:7]
	s_cbranch_execnz .LBB4_182
; %bb.95:                               ;   in Loop: Header=BB4_81 Depth=1
	s_or_saveexec_b64 s[6:7], s[6:7]
                                        ; implicit-def: $sgpr8
	s_xor_b64 exec, exec, s[6:7]
	s_cbranch_execnz .LBB4_183
.LBB4_96:                               ;   in Loop: Header=BB4_81 Depth=1
	s_or_b64 exec, exec, s[6:7]
	v_mov_b32_e32 v4, s8
	s_and_saveexec_b64 s[6:7], s[4:5]
.LBB4_97:                               ;   in Loop: Header=BB4_81 Depth=1
	v_lshrrev_b32_e32 v4, 24, v7
	v_and_or_b32 v4, v4, s22, v8
.LBB4_98:                               ;   in Loop: Header=BB4_81 Depth=1
	s_or_b64 exec, exec, s[6:7]
.LBB4_99:                               ;   in Loop: Header=BB4_81 Depth=1
	s_or_b64 exec, exec, s[2:3]
	v_mul_f32_e32 v5, v14, v5
	v_mul_f32_e32 v5, v5, v9
	v_div_scale_f32 v7, s[2:3], v15, v15, v5
	v_rcp_f32_e32 v8, v7
	v_div_scale_f32 v9, vcc, v5, v15, v5
	v_fma_f32 v10, -v7, v8, 1.0
	v_fmac_f32_e32 v8, v10, v8
	v_mul_f32_e32 v10, v9, v8
	v_fma_f32 v11, -v7, v10, v9
	v_fmac_f32_e32 v10, v11, v8
	v_fma_f32 v7, -v7, v10, v9
	v_div_fmas_f32 v7, v7, v8, v10
	v_div_fixup_f32 v5, v7, v15, v5
	v_min_f32_e32 v5, 0x43600000, v5
	v_max_f32_e32 v5, 0xc3600000, v5
	v_and_b32_e32 v7, 0x7fffffff, v5
	v_cmp_gt_u32_e32 vcc, s18, v7
	s_and_saveexec_b64 s[2:3], vcc
	s_cbranch_execz .LBB4_105
; %bb.100:                              ;   in Loop: Header=BB4_81 Depth=1
	v_cmp_lt_u32_e32 vcc, s19, v7
	s_mov_b64 s[4:5], 0
                                        ; implicit-def: $vgpr7
	s_and_saveexec_b64 s[6:7], vcc
	s_xor_b64 s[6:7], exec, s[6:7]
	s_cbranch_execnz .LBB4_184
; %bb.101:                              ;   in Loop: Header=BB4_81 Depth=1
	s_or_saveexec_b64 s[6:7], s[6:7]
                                        ; implicit-def: $sgpr8
	s_xor_b64 exec, exec, s[6:7]
	s_cbranch_execnz .LBB4_185
.LBB4_102:                              ;   in Loop: Header=BB4_81 Depth=1
	s_or_b64 exec, exec, s[6:7]
	v_mov_b32_e32 v3, s8
	s_and_saveexec_b64 s[6:7], s[4:5]
.LBB4_103:                              ;   in Loop: Header=BB4_81 Depth=1
	v_lshrrev_b32_e32 v3, 24, v5
	v_and_or_b32 v3, v3, s22, v7
.LBB4_104:                              ;   in Loop: Header=BB4_81 Depth=1
	s_or_b64 exec, exec, s[6:7]
.LBB4_105:                              ;   in Loop: Header=BB4_81 Depth=1
	s_or_b64 exec, exec, s[2:3]
	v_lshlrev_b64 v[8:9], 2, v[0:1]
	v_mov_b32_e32 v5, s15
	v_add_co_u32_e32 v8, vcc, s14, v8
	v_lshlrev_b32_e32 v4, 16, v4
	v_lshlrev_b32_e32 v2, 8, v2
	v_addc_co_u32_e32 v9, vcc, v5, v9, vcc
	v_perm_b32 v3, v3, v4, s23
	v_and_b32_e32 v2, 0xff00, v2
	v_and_b32_e32 v4, 0xff, v6
	v_add_u32_e32 v10, s50, v0
	v_or3_b32 v2, v3, v2, v4
	v_cmp_gt_u32_e32 vcc, s49, v10
	s_mov_b64 s[4:5], -1
	global_store_dword v[8:9], v2, off
	s_and_saveexec_b64 s[2:3], vcc
	s_cbranch_execz .LBB4_80
; %bb.106:                              ;   in Loop: Header=BB4_81 Depth=1
	v_mov_b32_e32 v11, v1
	v_lshlrev_b64 v[6:7], 4, v[10:11]
	v_mov_b32_e32 v3, s48
	v_add_co_u32_e32 v2, vcc, s33, v6
	v_addc_co_u32_e32 v3, vcc, v3, v7, vcc
	v_mov_b32_e32 v8, s31
	v_add_co_u32_e32 v6, vcc, s30, v6
	global_load_dwordx4 v[2:5], v[2:3], off
	v_addc_co_u32_e32 v7, vcc, v8, v7, vcc
	global_load_dwordx4 v[6:9], v[6:7], off
	s_waitcnt vmcnt(1)
	v_mul_f32_e32 v2, v14, v2
	s_waitcnt vmcnt(0)
	v_mul_f32_e32 v6, v2, v6
	v_div_scale_f32 v12, s[4:5], v15, v15, v6
	v_rcp_f32_e32 v13, v12
	v_div_scale_f32 v18, vcc, v6, v15, v6
	v_mov_b32_e32 v2, 0x80
	v_fma_f32 v19, -v12, v13, 1.0
	v_fmac_f32_e32 v13, v19, v13
	v_mul_f32_e32 v19, v18, v13
	v_fma_f32 v20, -v12, v19, v18
	v_fmac_f32_e32 v19, v20, v13
	v_fma_f32 v12, -v12, v19, v18
	v_div_fmas_f32 v12, v12, v13, v19
	v_div_fixup_f32 v6, v12, v15, v6
	v_min_f32_e32 v6, 0x43600000, v6
	v_max_f32_e32 v12, 0xc3600000, v6
	v_and_b32_e32 v13, 0x7fffffff, v12
	v_cmp_gt_u32_e32 vcc, s18, v13
	v_mov_b32_e32 v6, 0x80
	s_and_saveexec_b64 s[4:5], vcc
	s_cbranch_execz .LBB4_112
; %bb.107:                              ;   in Loop: Header=BB4_81 Depth=1
	v_cmp_lt_u32_e32 vcc, s19, v13
	s_mov_b64 s[6:7], 0
                                        ; implicit-def: $vgpr13
	s_and_saveexec_b64 s[8:9], vcc
	s_xor_b64 s[8:9], exec, s[8:9]
	s_cbranch_execnz .LBB4_186
; %bb.108:                              ;   in Loop: Header=BB4_81 Depth=1
	s_or_saveexec_b64 s[8:9], s[8:9]
                                        ; implicit-def: $sgpr10
	s_xor_b64 exec, exec, s[8:9]
	s_cbranch_execnz .LBB4_187
.LBB4_109:                              ;   in Loop: Header=BB4_81 Depth=1
	s_or_b64 exec, exec, s[8:9]
	v_mov_b32_e32 v6, s10
	s_and_saveexec_b64 s[8:9], s[6:7]
.LBB4_110:                              ;   in Loop: Header=BB4_81 Depth=1
	v_lshrrev_b32_e32 v6, 24, v12
	v_and_or_b32 v6, v6, s22, v13
.LBB4_111:                              ;   in Loop: Header=BB4_81 Depth=1
	s_or_b64 exec, exec, s[8:9]
.LBB4_112:                              ;   in Loop: Header=BB4_81 Depth=1
	s_or_b64 exec, exec, s[4:5]
	v_mul_f32_e32 v3, v14, v3
	v_mul_f32_e32 v3, v3, v7
	v_div_scale_f32 v7, s[4:5], v15, v15, v3
	v_rcp_f32_e32 v12, v7
	v_div_scale_f32 v13, vcc, v3, v15, v3
	v_fma_f32 v18, -v7, v12, 1.0
	v_fmac_f32_e32 v12, v18, v12
	v_mul_f32_e32 v18, v13, v12
	v_fma_f32 v19, -v7, v18, v13
	v_fmac_f32_e32 v18, v19, v12
	v_fma_f32 v7, -v7, v18, v13
	v_div_fmas_f32 v7, v7, v12, v18
	v_div_fixup_f32 v3, v7, v15, v3
	v_min_f32_e32 v3, 0x43600000, v3
	v_max_f32_e32 v3, 0xc3600000, v3
	v_and_b32_e32 v7, 0x7fffffff, v3
	v_cmp_gt_u32_e32 vcc, s18, v7
	s_and_saveexec_b64 s[4:5], vcc
	s_cbranch_execz .LBB4_118
; %bb.113:                              ;   in Loop: Header=BB4_81 Depth=1
	v_cmp_lt_u32_e32 vcc, s19, v7
	s_mov_b64 s[6:7], 0
                                        ; implicit-def: $vgpr7
	s_and_saveexec_b64 s[8:9], vcc
	s_xor_b64 s[8:9], exec, s[8:9]
	s_cbranch_execnz .LBB4_188
; %bb.114:                              ;   in Loop: Header=BB4_81 Depth=1
	s_or_saveexec_b64 s[8:9], s[8:9]
                                        ; implicit-def: $sgpr10
	s_xor_b64 exec, exec, s[8:9]
	s_cbranch_execnz .LBB4_189
.LBB4_115:                              ;   in Loop: Header=BB4_81 Depth=1
	s_or_b64 exec, exec, s[8:9]
	v_mov_b32_e32 v2, s10
	s_and_saveexec_b64 s[8:9], s[6:7]
.LBB4_116:                              ;   in Loop: Header=BB4_81 Depth=1
	v_lshrrev_b32_e32 v2, 24, v3
	v_and_or_b32 v2, v2, s22, v7
.LBB4_117:                              ;   in Loop: Header=BB4_81 Depth=1
	s_or_b64 exec, exec, s[8:9]
.LBB4_118:                              ;   in Loop: Header=BB4_81 Depth=1
	s_or_b64 exec, exec, s[4:5]
	v_mul_f32_e32 v3, v14, v4
	v_mul_f32_e32 v3, v3, v8
	v_div_scale_f32 v4, s[4:5], v15, v15, v3
	v_rcp_f32_e32 v7, v4
	v_div_scale_f32 v8, vcc, v3, v15, v3
	v_fma_f32 v12, -v4, v7, 1.0
	v_fmac_f32_e32 v7, v12, v7
	v_mul_f32_e32 v12, v8, v7
	v_fma_f32 v13, -v4, v12, v8
	v_fmac_f32_e32 v12, v13, v7
	v_fma_f32 v4, -v4, v12, v8
	v_div_fmas_f32 v4, v4, v7, v12
	v_div_fixup_f32 v3, v4, v15, v3
	v_min_f32_e32 v3, 0x43600000, v3
	v_max_f32_e32 v7, 0xc3600000, v3
	v_and_b32_e32 v8, 0x7fffffff, v7
	v_cmp_gt_u32_e32 vcc, s18, v8
	v_mov_b32_e32 v3, 0x80
	v_mov_b32_e32 v4, 0x80
	s_and_saveexec_b64 s[4:5], vcc
	s_cbranch_execz .LBB4_124
; %bb.119:                              ;   in Loop: Header=BB4_81 Depth=1
	v_cmp_lt_u32_e32 vcc, s19, v8
	s_mov_b64 s[6:7], 0
                                        ; implicit-def: $vgpr8
	s_and_saveexec_b64 s[8:9], vcc
	s_xor_b64 s[8:9], exec, s[8:9]
	s_cbranch_execnz .LBB4_190
; %bb.120:                              ;   in Loop: Header=BB4_81 Depth=1
	s_or_saveexec_b64 s[8:9], s[8:9]
                                        ; implicit-def: $sgpr10
	s_xor_b64 exec, exec, s[8:9]
	s_cbranch_execnz .LBB4_191
.LBB4_121:                              ;   in Loop: Header=BB4_81 Depth=1
	s_or_b64 exec, exec, s[8:9]
	v_mov_b32_e32 v4, s10
	s_and_saveexec_b64 s[8:9], s[6:7]
.LBB4_122:                              ;   in Loop: Header=BB4_81 Depth=1
	v_lshrrev_b32_e32 v4, 24, v7
	v_and_or_b32 v4, v4, s22, v8
.LBB4_123:                              ;   in Loop: Header=BB4_81 Depth=1
	s_or_b64 exec, exec, s[8:9]
.LBB4_124:                              ;   in Loop: Header=BB4_81 Depth=1
	s_or_b64 exec, exec, s[4:5]
	v_mul_f32_e32 v5, v14, v5
	v_mul_f32_e32 v5, v5, v9
	v_div_scale_f32 v7, s[4:5], v15, v15, v5
	v_rcp_f32_e32 v8, v7
	v_div_scale_f32 v9, vcc, v5, v15, v5
	v_fma_f32 v12, -v7, v8, 1.0
	v_fmac_f32_e32 v8, v12, v8
	v_mul_f32_e32 v12, v9, v8
	v_fma_f32 v13, -v7, v12, v9
	v_fmac_f32_e32 v12, v13, v8
	v_fma_f32 v7, -v7, v12, v9
	v_div_fmas_f32 v7, v7, v8, v12
	v_div_fixup_f32 v5, v7, v15, v5
	v_min_f32_e32 v5, 0x43600000, v5
	v_max_f32_e32 v5, 0xc3600000, v5
	v_and_b32_e32 v7, 0x7fffffff, v5
	v_cmp_gt_u32_e32 vcc, s18, v7
	s_and_saveexec_b64 s[4:5], vcc
	s_cbranch_execz .LBB4_130
; %bb.125:                              ;   in Loop: Header=BB4_81 Depth=1
	v_cmp_lt_u32_e32 vcc, s19, v7
	s_mov_b64 s[6:7], 0
                                        ; implicit-def: $vgpr7
	s_and_saveexec_b64 s[8:9], vcc
	s_xor_b64 s[8:9], exec, s[8:9]
	s_cbranch_execnz .LBB4_192
; %bb.126:                              ;   in Loop: Header=BB4_81 Depth=1
	s_or_saveexec_b64 s[8:9], s[8:9]
                                        ; implicit-def: $sgpr10
	s_xor_b64 exec, exec, s[8:9]
	s_cbranch_execnz .LBB4_193
.LBB4_127:                              ;   in Loop: Header=BB4_81 Depth=1
	s_or_b64 exec, exec, s[8:9]
	v_mov_b32_e32 v3, s10
	s_and_saveexec_b64 s[8:9], s[6:7]
.LBB4_128:                              ;   in Loop: Header=BB4_81 Depth=1
	v_lshrrev_b32_e32 v3, 24, v5
	v_and_or_b32 v3, v3, s22, v7
.LBB4_129:                              ;   in Loop: Header=BB4_81 Depth=1
	s_or_b64 exec, exec, s[8:9]
.LBB4_130:                              ;   in Loop: Header=BB4_81 Depth=1
	s_or_b64 exec, exec, s[4:5]
	v_lshlrev_b64 v[8:9], 2, v[10:11]
	v_mov_b32_e32 v5, s15
	v_add_co_u32_e32 v8, vcc, s14, v8
	v_lshlrev_b32_e32 v4, 16, v4
	v_lshlrev_b32_e32 v2, 8, v2
	v_addc_co_u32_e32 v9, vcc, v5, v9, vcc
	v_perm_b32 v3, v3, v4, s23
	v_and_b32_e32 v2, 0xff00, v2
	v_and_b32_e32 v4, 0xff, v6
	v_add_u32_e32 v12, s17, v0
	v_or3_b32 v2, v3, v2, v4
	v_cmp_gt_u32_e32 vcc, s49, v12
	s_mov_b64 s[6:7], -1
	global_store_dword v[8:9], v2, off
	s_and_saveexec_b64 s[4:5], vcc
	s_cbranch_execz .LBB4_79
; %bb.131:                              ;   in Loop: Header=BB4_81 Depth=1
	v_mov_b32_e32 v13, v1
	v_lshlrev_b64 v[6:7], 4, v[12:13]
	v_mov_b32_e32 v3, s48
	v_add_co_u32_e32 v2, vcc, s33, v6
	v_addc_co_u32_e32 v3, vcc, v3, v7, vcc
	v_mov_b32_e32 v8, s31
	v_add_co_u32_e32 v6, vcc, s30, v6
	global_load_dwordx4 v[2:5], v[2:3], off
	v_addc_co_u32_e32 v7, vcc, v8, v7, vcc
	global_load_dwordx4 v[6:9], v[6:7], off
	s_waitcnt vmcnt(1)
	v_mul_f32_e32 v2, v14, v2
	s_waitcnt vmcnt(0)
	v_mul_f32_e32 v6, v2, v6
	v_div_scale_f32 v11, s[6:7], v15, v15, v6
	v_rcp_f32_e32 v18, v11
	v_div_scale_f32 v19, vcc, v6, v15, v6
	v_mov_b32_e32 v2, 0x80
	v_fma_f32 v20, -v11, v18, 1.0
	v_fmac_f32_e32 v18, v20, v18
	v_mul_f32_e32 v20, v19, v18
	v_fma_f32 v21, -v11, v20, v19
	v_fmac_f32_e32 v20, v21, v18
	v_fma_f32 v11, -v11, v20, v19
	v_div_fmas_f32 v11, v11, v18, v20
	v_div_fixup_f32 v6, v11, v15, v6
	v_min_f32_e32 v6, 0x43600000, v6
	v_max_f32_e32 v11, 0xc3600000, v6
	v_and_b32_e32 v18, 0x7fffffff, v11
	v_cmp_gt_u32_e32 vcc, s18, v18
	v_mov_b32_e32 v6, 0x80
	s_and_saveexec_b64 s[6:7], vcc
	s_cbranch_execz .LBB4_137
; %bb.132:                              ;   in Loop: Header=BB4_81 Depth=1
	v_cmp_lt_u32_e32 vcc, s19, v18
	s_mov_b64 s[8:9], 0
                                        ; implicit-def: $vgpr18
	s_and_saveexec_b64 s[10:11], vcc
	s_xor_b64 s[10:11], exec, s[10:11]
	s_cbranch_execnz .LBB4_194
; %bb.133:                              ;   in Loop: Header=BB4_81 Depth=1
	s_or_saveexec_b64 s[10:11], s[10:11]
                                        ; implicit-def: $sgpr12
	s_xor_b64 exec, exec, s[10:11]
	s_cbranch_execnz .LBB4_195
.LBB4_134:                              ;   in Loop: Header=BB4_81 Depth=1
	s_or_b64 exec, exec, s[10:11]
	v_mov_b32_e32 v6, s12
	s_and_saveexec_b64 s[10:11], s[8:9]
.LBB4_135:                              ;   in Loop: Header=BB4_81 Depth=1
	v_lshrrev_b32_e32 v6, 24, v11
	v_and_or_b32 v6, v6, s22, v18
.LBB4_136:                              ;   in Loop: Header=BB4_81 Depth=1
	s_or_b64 exec, exec, s[10:11]
.LBB4_137:                              ;   in Loop: Header=BB4_81 Depth=1
	s_or_b64 exec, exec, s[6:7]
	v_mul_f32_e32 v3, v14, v3
	v_mul_f32_e32 v3, v3, v7
	v_div_scale_f32 v7, s[6:7], v15, v15, v3
	v_rcp_f32_e32 v11, v7
	v_div_scale_f32 v18, vcc, v3, v15, v3
	v_fma_f32 v19, -v7, v11, 1.0
	v_fmac_f32_e32 v11, v19, v11
	v_mul_f32_e32 v19, v18, v11
	v_fma_f32 v20, -v7, v19, v18
	v_fmac_f32_e32 v19, v20, v11
	v_fma_f32 v7, -v7, v19, v18
	v_div_fmas_f32 v7, v7, v11, v19
	v_div_fixup_f32 v3, v7, v15, v3
	v_min_f32_e32 v3, 0x43600000, v3
	v_max_f32_e32 v3, 0xc3600000, v3
	v_and_b32_e32 v7, 0x7fffffff, v3
	v_cmp_gt_u32_e32 vcc, s18, v7
	s_and_saveexec_b64 s[6:7], vcc
	s_cbranch_execz .LBB4_143
; %bb.138:                              ;   in Loop: Header=BB4_81 Depth=1
	v_cmp_lt_u32_e32 vcc, s19, v7
	s_mov_b64 s[8:9], 0
                                        ; implicit-def: $vgpr7
	s_and_saveexec_b64 s[10:11], vcc
	s_xor_b64 s[10:11], exec, s[10:11]
	s_cbranch_execnz .LBB4_196
; %bb.139:                              ;   in Loop: Header=BB4_81 Depth=1
	s_or_saveexec_b64 s[10:11], s[10:11]
                                        ; implicit-def: $sgpr12
	s_xor_b64 exec, exec, s[10:11]
	s_cbranch_execnz .LBB4_197
.LBB4_140:                              ;   in Loop: Header=BB4_81 Depth=1
	s_or_b64 exec, exec, s[10:11]
	v_mov_b32_e32 v2, s12
	s_and_saveexec_b64 s[10:11], s[8:9]
.LBB4_141:                              ;   in Loop: Header=BB4_81 Depth=1
	v_lshrrev_b32_e32 v2, 24, v3
	v_and_or_b32 v2, v2, s22, v7
.LBB4_142:                              ;   in Loop: Header=BB4_81 Depth=1
	s_or_b64 exec, exec, s[10:11]
.LBB4_143:                              ;   in Loop: Header=BB4_81 Depth=1
	s_or_b64 exec, exec, s[6:7]
	v_mul_f32_e32 v3, v14, v4
	v_mul_f32_e32 v3, v3, v8
	v_div_scale_f32 v4, s[6:7], v15, v15, v3
	v_rcp_f32_e32 v7, v4
	v_div_scale_f32 v8, vcc, v3, v15, v3
	v_fma_f32 v11, -v4, v7, 1.0
	v_fmac_f32_e32 v7, v11, v7
	v_mul_f32_e32 v11, v8, v7
	v_fma_f32 v18, -v4, v11, v8
	v_fmac_f32_e32 v11, v18, v7
	v_fma_f32 v4, -v4, v11, v8
	v_div_fmas_f32 v4, v4, v7, v11
	v_div_fixup_f32 v3, v4, v15, v3
	v_min_f32_e32 v3, 0x43600000, v3
	v_max_f32_e32 v7, 0xc3600000, v3
	v_and_b32_e32 v8, 0x7fffffff, v7
	v_cmp_gt_u32_e32 vcc, s18, v8
	v_mov_b32_e32 v3, 0x80
	v_mov_b32_e32 v4, 0x80
	s_and_saveexec_b64 s[6:7], vcc
	s_cbranch_execz .LBB4_149
; %bb.144:                              ;   in Loop: Header=BB4_81 Depth=1
	v_cmp_lt_u32_e32 vcc, s19, v8
	s_mov_b64 s[8:9], 0
                                        ; implicit-def: $vgpr8
	s_and_saveexec_b64 s[10:11], vcc
	s_xor_b64 s[10:11], exec, s[10:11]
	s_cbranch_execnz .LBB4_198
; %bb.145:                              ;   in Loop: Header=BB4_81 Depth=1
	s_or_saveexec_b64 s[10:11], s[10:11]
                                        ; implicit-def: $sgpr12
	s_xor_b64 exec, exec, s[10:11]
	s_cbranch_execnz .LBB4_199
.LBB4_146:                              ;   in Loop: Header=BB4_81 Depth=1
	s_or_b64 exec, exec, s[10:11]
	v_mov_b32_e32 v4, s12
	s_and_saveexec_b64 s[10:11], s[8:9]
.LBB4_147:                              ;   in Loop: Header=BB4_81 Depth=1
	v_lshrrev_b32_e32 v4, 24, v7
	v_and_or_b32 v4, v4, s22, v8
.LBB4_148:                              ;   in Loop: Header=BB4_81 Depth=1
	s_or_b64 exec, exec, s[10:11]
.LBB4_149:                              ;   in Loop: Header=BB4_81 Depth=1
	s_or_b64 exec, exec, s[6:7]
	v_mul_f32_e32 v5, v14, v5
	v_mul_f32_e32 v5, v5, v9
	v_div_scale_f32 v7, s[6:7], v15, v15, v5
	v_rcp_f32_e32 v8, v7
	v_div_scale_f32 v9, vcc, v5, v15, v5
	v_fma_f32 v11, -v7, v8, 1.0
	v_fmac_f32_e32 v8, v11, v8
	v_mul_f32_e32 v11, v9, v8
	v_fma_f32 v18, -v7, v11, v9
	v_fmac_f32_e32 v11, v18, v8
	v_fma_f32 v7, -v7, v11, v9
	v_div_fmas_f32 v7, v7, v8, v11
	v_div_fixup_f32 v5, v7, v15, v5
	v_min_f32_e32 v5, 0x43600000, v5
	v_max_f32_e32 v5, 0xc3600000, v5
	v_and_b32_e32 v7, 0x7fffffff, v5
	v_cmp_gt_u32_e32 vcc, s18, v7
	s_and_saveexec_b64 s[6:7], vcc
	s_cbranch_execz .LBB4_155
; %bb.150:                              ;   in Loop: Header=BB4_81 Depth=1
	v_cmp_lt_u32_e32 vcc, s19, v7
	s_mov_b64 s[8:9], 0
                                        ; implicit-def: $vgpr7
	s_and_saveexec_b64 s[10:11], vcc
	s_xor_b64 s[10:11], exec, s[10:11]
	s_cbranch_execnz .LBB4_200
; %bb.151:                              ;   in Loop: Header=BB4_81 Depth=1
	s_or_saveexec_b64 s[10:11], s[10:11]
                                        ; implicit-def: $sgpr12
	s_xor_b64 exec, exec, s[10:11]
	s_cbranch_execnz .LBB4_201
.LBB4_152:                              ;   in Loop: Header=BB4_81 Depth=1
	s_or_b64 exec, exec, s[10:11]
	v_mov_b32_e32 v3, s12
	s_and_saveexec_b64 s[10:11], s[8:9]
.LBB4_153:                              ;   in Loop: Header=BB4_81 Depth=1
	v_lshrrev_b32_e32 v3, 24, v5
	v_and_or_b32 v3, v3, s22, v7
.LBB4_154:                              ;   in Loop: Header=BB4_81 Depth=1
	s_or_b64 exec, exec, s[10:11]
.LBB4_155:                              ;   in Loop: Header=BB4_81 Depth=1
	s_or_b64 exec, exec, s[6:7]
	v_lshlrev_b64 v[8:9], 2, v[12:13]
	v_mov_b32_e32 v5, s15
	v_add_co_u32_e32 v8, vcc, s14, v8
	v_lshlrev_b32_e32 v4, 16, v4
	v_lshlrev_b32_e32 v2, 8, v2
	v_addc_co_u32_e32 v9, vcc, v5, v9, vcc
	v_perm_b32 v3, v3, v4, s23
	v_and_b32_e32 v2, 0xff00, v2
	v_and_b32_e32 v4, 0xff, v6
	v_add_u32_e32 v0, s16, v0
	v_or3_b32 v2, v3, v2, v4
	v_cmp_gt_u32_e32 vcc, s49, v0
	s_mov_b64 s[8:9], -1
	global_store_dword v[8:9], v2, off
	s_and_saveexec_b64 s[6:7], vcc
	s_cbranch_execz .LBB4_78
; %bb.156:                              ;   in Loop: Header=BB4_81 Depth=1
	v_lshlrev_b64 v[6:7], 4, v[0:1]
	v_mov_b32_e32 v3, s48
	v_add_co_u32_e32 v2, vcc, s33, v6
	v_addc_co_u32_e32 v3, vcc, v3, v7, vcc
	v_mov_b32_e32 v8, s31
	v_add_co_u32_e32 v6, vcc, s30, v6
	global_load_dwordx4 v[2:5], v[2:3], off
	v_addc_co_u32_e32 v7, vcc, v8, v7, vcc
	global_load_dwordx4 v[6:9], v[6:7], off
	s_waitcnt vmcnt(1)
	v_mul_f32_e32 v2, v14, v2
	s_waitcnt vmcnt(0)
	v_mul_f32_e32 v6, v2, v6
	v_div_scale_f32 v11, s[8:9], v15, v15, v6
	v_rcp_f32_e32 v12, v11
	v_div_scale_f32 v13, vcc, v6, v15, v6
	v_mov_b32_e32 v2, 0x80
	v_fma_f32 v18, -v11, v12, 1.0
	v_fmac_f32_e32 v12, v18, v12
	v_mul_f32_e32 v18, v13, v12
	v_fma_f32 v19, -v11, v18, v13
	v_fmac_f32_e32 v18, v19, v12
	v_fma_f32 v11, -v11, v18, v13
	v_div_fmas_f32 v11, v11, v12, v18
	v_div_fixup_f32 v6, v11, v15, v6
	v_min_f32_e32 v6, 0x43600000, v6
	v_max_f32_e32 v11, 0xc3600000, v6
	v_and_b32_e32 v12, 0x7fffffff, v11
	v_cmp_gt_u32_e32 vcc, s18, v12
	v_mov_b32_e32 v6, 0x80
	s_and_saveexec_b64 s[8:9], vcc
	s_cbranch_execz .LBB4_162
; %bb.157:                              ;   in Loop: Header=BB4_81 Depth=1
	v_cmp_lt_u32_e32 vcc, s19, v12
	s_mov_b64 s[10:11], 0
                                        ; implicit-def: $vgpr12
	s_and_saveexec_b64 s[12:13], vcc
	s_xor_b64 s[12:13], exec, s[12:13]
	s_cbranch_execnz .LBB4_202
; %bb.158:                              ;   in Loop: Header=BB4_81 Depth=1
	s_or_saveexec_b64 s[12:13], s[12:13]
                                        ; implicit-def: $sgpr24
	s_xor_b64 exec, exec, s[12:13]
	s_cbranch_execnz .LBB4_203
.LBB4_159:                              ;   in Loop: Header=BB4_81 Depth=1
	s_or_b64 exec, exec, s[12:13]
	v_mov_b32_e32 v6, s24
	s_and_saveexec_b64 s[12:13], s[10:11]
.LBB4_160:                              ;   in Loop: Header=BB4_81 Depth=1
	v_lshrrev_b32_e32 v6, 24, v11
	v_and_or_b32 v6, v6, s22, v12
.LBB4_161:                              ;   in Loop: Header=BB4_81 Depth=1
	s_or_b64 exec, exec, s[12:13]
.LBB4_162:                              ;   in Loop: Header=BB4_81 Depth=1
	s_or_b64 exec, exec, s[8:9]
	v_mul_f32_e32 v3, v14, v3
	v_mul_f32_e32 v3, v3, v7
	v_div_scale_f32 v7, s[8:9], v15, v15, v3
	v_rcp_f32_e32 v11, v7
	v_div_scale_f32 v12, vcc, v3, v15, v3
	v_fma_f32 v13, -v7, v11, 1.0
	v_fmac_f32_e32 v11, v13, v11
	v_mul_f32_e32 v13, v12, v11
	v_fma_f32 v18, -v7, v13, v12
	v_fmac_f32_e32 v13, v18, v11
	v_fma_f32 v7, -v7, v13, v12
	v_div_fmas_f32 v7, v7, v11, v13
	v_div_fixup_f32 v3, v7, v15, v3
	v_min_f32_e32 v3, 0x43600000, v3
	v_max_f32_e32 v3, 0xc3600000, v3
	v_and_b32_e32 v7, 0x7fffffff, v3
	v_cmp_gt_u32_e32 vcc, s18, v7
	s_and_saveexec_b64 s[8:9], vcc
	s_cbranch_execz .LBB4_168
; %bb.163:                              ;   in Loop: Header=BB4_81 Depth=1
	v_cmp_lt_u32_e32 vcc, s19, v7
	s_mov_b64 s[10:11], 0
                                        ; implicit-def: $vgpr7
	s_and_saveexec_b64 s[12:13], vcc
	s_xor_b64 s[12:13], exec, s[12:13]
	s_cbranch_execnz .LBB4_204
; %bb.164:                              ;   in Loop: Header=BB4_81 Depth=1
	s_or_saveexec_b64 s[12:13], s[12:13]
                                        ; implicit-def: $sgpr24
	s_xor_b64 exec, exec, s[12:13]
	s_cbranch_execnz .LBB4_205
.LBB4_165:                              ;   in Loop: Header=BB4_81 Depth=1
	s_or_b64 exec, exec, s[12:13]
	v_mov_b32_e32 v2, s24
	s_and_saveexec_b64 s[12:13], s[10:11]
.LBB4_166:                              ;   in Loop: Header=BB4_81 Depth=1
	v_lshrrev_b32_e32 v2, 24, v3
	v_and_or_b32 v2, v2, s22, v7
.LBB4_167:                              ;   in Loop: Header=BB4_81 Depth=1
	s_or_b64 exec, exec, s[12:13]
.LBB4_168:                              ;   in Loop: Header=BB4_81 Depth=1
	s_or_b64 exec, exec, s[8:9]
	v_mul_f32_e32 v3, v14, v4
	v_mul_f32_e32 v3, v3, v8
	v_div_scale_f32 v4, s[8:9], v15, v15, v3
	v_rcp_f32_e32 v7, v4
	v_div_scale_f32 v8, vcc, v3, v15, v3
	v_fma_f32 v11, -v4, v7, 1.0
	v_fmac_f32_e32 v7, v11, v7
	v_mul_f32_e32 v11, v8, v7
	v_fma_f32 v12, -v4, v11, v8
	v_fmac_f32_e32 v11, v12, v7
	v_fma_f32 v4, -v4, v11, v8
	v_div_fmas_f32 v4, v4, v7, v11
	v_div_fixup_f32 v3, v4, v15, v3
	v_min_f32_e32 v3, 0x43600000, v3
	v_max_f32_e32 v7, 0xc3600000, v3
	v_and_b32_e32 v8, 0x7fffffff, v7
	v_cmp_gt_u32_e32 vcc, s18, v8
	v_mov_b32_e32 v3, 0x80
	v_mov_b32_e32 v4, 0x80
	s_and_saveexec_b64 s[8:9], vcc
	s_cbranch_execz .LBB4_174
; %bb.169:                              ;   in Loop: Header=BB4_81 Depth=1
	v_cmp_lt_u32_e32 vcc, s19, v8
	s_mov_b64 s[10:11], 0
                                        ; implicit-def: $vgpr8
	s_and_saveexec_b64 s[12:13], vcc
	s_xor_b64 s[12:13], exec, s[12:13]
	s_cbranch_execnz .LBB4_206
; %bb.170:                              ;   in Loop: Header=BB4_81 Depth=1
	s_or_saveexec_b64 s[12:13], s[12:13]
                                        ; implicit-def: $sgpr24
	s_xor_b64 exec, exec, s[12:13]
	s_cbranch_execnz .LBB4_207
.LBB4_171:                              ;   in Loop: Header=BB4_81 Depth=1
	s_or_b64 exec, exec, s[12:13]
	v_mov_b32_e32 v4, s24
	s_and_saveexec_b64 s[12:13], s[10:11]
.LBB4_172:                              ;   in Loop: Header=BB4_81 Depth=1
	v_lshrrev_b32_e32 v4, 24, v7
	v_and_or_b32 v4, v4, s22, v8
.LBB4_173:                              ;   in Loop: Header=BB4_81 Depth=1
	s_or_b64 exec, exec, s[12:13]
.LBB4_174:                              ;   in Loop: Header=BB4_81 Depth=1
	s_or_b64 exec, exec, s[8:9]
	v_mul_f32_e32 v5, v14, v5
	v_mul_f32_e32 v5, v5, v9
	v_div_scale_f32 v7, s[8:9], v15, v15, v5
	v_rcp_f32_e32 v8, v7
	v_div_scale_f32 v9, vcc, v5, v15, v5
	v_fma_f32 v11, -v7, v8, 1.0
	v_fmac_f32_e32 v8, v11, v8
	v_mul_f32_e32 v11, v9, v8
	v_fma_f32 v12, -v7, v11, v9
	v_fmac_f32_e32 v11, v12, v8
	v_fma_f32 v7, -v7, v11, v9
	v_div_fmas_f32 v7, v7, v8, v11
	v_div_fixup_f32 v5, v7, v15, v5
	v_min_f32_e32 v5, 0x43600000, v5
	v_max_f32_e32 v5, 0xc3600000, v5
	v_and_b32_e32 v7, 0x7fffffff, v5
	v_cmp_gt_u32_e32 vcc, s18, v7
	s_and_saveexec_b64 s[8:9], vcc
	s_cbranch_execz .LBB4_77
; %bb.175:                              ;   in Loop: Header=BB4_81 Depth=1
	v_cmp_lt_u32_e32 vcc, s19, v7
	s_mov_b64 s[10:11], 0
                                        ; implicit-def: $vgpr7
	s_and_saveexec_b64 s[12:13], vcc
	s_xor_b64 s[12:13], exec, s[12:13]
	s_cbranch_execnz .LBB4_208
; %bb.176:                              ;   in Loop: Header=BB4_81 Depth=1
	s_or_saveexec_b64 s[12:13], s[12:13]
                                        ; implicit-def: $sgpr24
	s_xor_b64 exec, exec, s[12:13]
	s_cbranch_execnz .LBB4_209
.LBB4_177:                              ;   in Loop: Header=BB4_81 Depth=1
	s_or_b64 exec, exec, s[12:13]
	v_mov_b32_e32 v3, s24
	s_and_saveexec_b64 s[12:13], s[10:11]
	s_cbranch_execz .LBB4_76
	s_branch .LBB4_210
.LBB4_178:                              ;   in Loop: Header=BB4_81 Depth=1
	v_bfe_u32 v6, v10, 20, 1
	v_add3_u32 v6, v10, v6, s20
	s_mov_b64 s[4:5], exec
	v_lshrrev_b32_e32 v11, 20, v6
	s_or_saveexec_b64 s[6:7], s[6:7]
                                        ; implicit-def: $sgpr8
	s_xor_b64 exec, exec, s[6:7]
	s_cbranch_execz .LBB4_84
.LBB4_179:                              ;   in Loop: Header=BB4_81 Depth=1
	v_add_f32_e64 v6, |v10|, s21
	v_and_b32_e32 v11, 0xff, v6
	v_cmp_ne_u32_e32 vcc, 0, v11
	s_andn2_b64 s[4:5], s[4:5], exec
	s_and_b64 s[10:11], vcc, exec
	s_mov_b32 s8, 0
	s_or_b64 s[4:5], s[4:5], s[10:11]
	s_or_b64 exec, exec, s[6:7]
	v_mov_b32_e32 v6, s8
	s_and_saveexec_b64 s[6:7], s[4:5]
	s_cbranch_execnz .LBB4_85
	s_branch .LBB4_86
.LBB4_180:                              ;   in Loop: Header=BB4_81 Depth=1
	v_bfe_u32 v2, v3, 20, 1
	v_add3_u32 v2, v3, v2, s20
	s_mov_b64 s[4:5], exec
	v_lshrrev_b32_e32 v7, 20, v2
	s_or_saveexec_b64 s[6:7], s[6:7]
                                        ; implicit-def: $sgpr8
	s_xor_b64 exec, exec, s[6:7]
	s_cbranch_execz .LBB4_90
.LBB4_181:                              ;   in Loop: Header=BB4_81 Depth=1
	v_add_f32_e64 v2, |v3|, s21
	v_and_b32_e32 v7, 0xff, v2
	v_cmp_ne_u32_e32 vcc, 0, v7
	s_andn2_b64 s[4:5], s[4:5], exec
	s_and_b64 s[10:11], vcc, exec
	s_mov_b32 s8, 0
	s_or_b64 s[4:5], s[4:5], s[10:11]
	s_or_b64 exec, exec, s[6:7]
	v_mov_b32_e32 v2, s8
	s_and_saveexec_b64 s[6:7], s[4:5]
	s_cbranch_execnz .LBB4_91
	s_branch .LBB4_92
.LBB4_182:                              ;   in Loop: Header=BB4_81 Depth=1
	v_bfe_u32 v4, v7, 20, 1
	v_add3_u32 v4, v7, v4, s20
	s_mov_b64 s[4:5], exec
	v_lshrrev_b32_e32 v8, 20, v4
	s_or_saveexec_b64 s[6:7], s[6:7]
                                        ; implicit-def: $sgpr8
	s_xor_b64 exec, exec, s[6:7]
	s_cbranch_execz .LBB4_96
.LBB4_183:                              ;   in Loop: Header=BB4_81 Depth=1
	v_add_f32_e64 v4, |v7|, s21
	v_and_b32_e32 v8, 0xff, v4
	v_cmp_ne_u32_e32 vcc, 0, v8
	s_andn2_b64 s[4:5], s[4:5], exec
	s_and_b64 s[10:11], vcc, exec
	s_mov_b32 s8, 0
	s_or_b64 s[4:5], s[4:5], s[10:11]
	s_or_b64 exec, exec, s[6:7]
	v_mov_b32_e32 v4, s8
	s_and_saveexec_b64 s[6:7], s[4:5]
	s_cbranch_execnz .LBB4_97
	s_branch .LBB4_98
.LBB4_184:                              ;   in Loop: Header=BB4_81 Depth=1
	v_bfe_u32 v3, v5, 20, 1
	v_add3_u32 v3, v5, v3, s20
	s_mov_b64 s[4:5], exec
	v_lshrrev_b32_e32 v7, 20, v3
	s_or_saveexec_b64 s[6:7], s[6:7]
                                        ; implicit-def: $sgpr8
	s_xor_b64 exec, exec, s[6:7]
	s_cbranch_execz .LBB4_102
.LBB4_185:                              ;   in Loop: Header=BB4_81 Depth=1
	v_add_f32_e64 v3, |v5|, s21
	v_and_b32_e32 v7, 0xff, v3
	v_cmp_ne_u32_e32 vcc, 0, v7
	s_andn2_b64 s[4:5], s[4:5], exec
	s_and_b64 s[10:11], vcc, exec
	s_mov_b32 s8, 0
	s_or_b64 s[4:5], s[4:5], s[10:11]
	s_or_b64 exec, exec, s[6:7]
	v_mov_b32_e32 v3, s8
	s_and_saveexec_b64 s[6:7], s[4:5]
	s_cbranch_execnz .LBB4_103
	s_branch .LBB4_104
.LBB4_186:                              ;   in Loop: Header=BB4_81 Depth=1
	v_bfe_u32 v6, v12, 20, 1
	v_add3_u32 v6, v12, v6, s20
	s_mov_b64 s[6:7], exec
	v_lshrrev_b32_e32 v13, 20, v6
	s_or_saveexec_b64 s[8:9], s[8:9]
                                        ; implicit-def: $sgpr10
	s_xor_b64 exec, exec, s[8:9]
	s_cbranch_execz .LBB4_109
.LBB4_187:                              ;   in Loop: Header=BB4_81 Depth=1
	v_add_f32_e64 v6, |v12|, s21
	v_and_b32_e32 v13, 0xff, v6
	v_cmp_ne_u32_e32 vcc, 0, v13
	s_andn2_b64 s[6:7], s[6:7], exec
	s_and_b64 s[12:13], vcc, exec
	s_mov_b32 s10, 0
	s_or_b64 s[6:7], s[6:7], s[12:13]
	s_or_b64 exec, exec, s[8:9]
	v_mov_b32_e32 v6, s10
	s_and_saveexec_b64 s[8:9], s[6:7]
	s_cbranch_execnz .LBB4_110
	s_branch .LBB4_111
.LBB4_188:                              ;   in Loop: Header=BB4_81 Depth=1
	v_bfe_u32 v2, v3, 20, 1
	v_add3_u32 v2, v3, v2, s20
	s_mov_b64 s[6:7], exec
	v_lshrrev_b32_e32 v7, 20, v2
	s_or_saveexec_b64 s[8:9], s[8:9]
                                        ; implicit-def: $sgpr10
	s_xor_b64 exec, exec, s[8:9]
	s_cbranch_execz .LBB4_115
.LBB4_189:                              ;   in Loop: Header=BB4_81 Depth=1
	v_add_f32_e64 v2, |v3|, s21
	v_and_b32_e32 v7, 0xff, v2
	v_cmp_ne_u32_e32 vcc, 0, v7
	s_andn2_b64 s[6:7], s[6:7], exec
	s_and_b64 s[12:13], vcc, exec
	s_mov_b32 s10, 0
	s_or_b64 s[6:7], s[6:7], s[12:13]
	s_or_b64 exec, exec, s[8:9]
	v_mov_b32_e32 v2, s10
	s_and_saveexec_b64 s[8:9], s[6:7]
	s_cbranch_execnz .LBB4_116
	s_branch .LBB4_117
.LBB4_190:                              ;   in Loop: Header=BB4_81 Depth=1
	v_bfe_u32 v4, v7, 20, 1
	v_add3_u32 v4, v7, v4, s20
	s_mov_b64 s[6:7], exec
	v_lshrrev_b32_e32 v8, 20, v4
	s_or_saveexec_b64 s[8:9], s[8:9]
                                        ; implicit-def: $sgpr10
	s_xor_b64 exec, exec, s[8:9]
	s_cbranch_execz .LBB4_121
.LBB4_191:                              ;   in Loop: Header=BB4_81 Depth=1
	v_add_f32_e64 v4, |v7|, s21
	v_and_b32_e32 v8, 0xff, v4
	v_cmp_ne_u32_e32 vcc, 0, v8
	s_andn2_b64 s[6:7], s[6:7], exec
	s_and_b64 s[12:13], vcc, exec
	s_mov_b32 s10, 0
	s_or_b64 s[6:7], s[6:7], s[12:13]
	s_or_b64 exec, exec, s[8:9]
	v_mov_b32_e32 v4, s10
	s_and_saveexec_b64 s[8:9], s[6:7]
	s_cbranch_execnz .LBB4_122
	s_branch .LBB4_123
.LBB4_192:                              ;   in Loop: Header=BB4_81 Depth=1
	v_bfe_u32 v3, v5, 20, 1
	v_add3_u32 v3, v5, v3, s20
	s_mov_b64 s[6:7], exec
	v_lshrrev_b32_e32 v7, 20, v3
	s_or_saveexec_b64 s[8:9], s[8:9]
                                        ; implicit-def: $sgpr10
	s_xor_b64 exec, exec, s[8:9]
	s_cbranch_execz .LBB4_127
.LBB4_193:                              ;   in Loop: Header=BB4_81 Depth=1
	v_add_f32_e64 v3, |v5|, s21
	v_and_b32_e32 v7, 0xff, v3
	v_cmp_ne_u32_e32 vcc, 0, v7
	s_andn2_b64 s[6:7], s[6:7], exec
	s_and_b64 s[12:13], vcc, exec
	s_mov_b32 s10, 0
	s_or_b64 s[6:7], s[6:7], s[12:13]
	s_or_b64 exec, exec, s[8:9]
	v_mov_b32_e32 v3, s10
	s_and_saveexec_b64 s[8:9], s[6:7]
	s_cbranch_execnz .LBB4_128
	s_branch .LBB4_129
.LBB4_194:                              ;   in Loop: Header=BB4_81 Depth=1
	v_bfe_u32 v6, v11, 20, 1
	v_add3_u32 v6, v11, v6, s20
	s_mov_b64 s[8:9], exec
	v_lshrrev_b32_e32 v18, 20, v6
	s_or_saveexec_b64 s[10:11], s[10:11]
                                        ; implicit-def: $sgpr12
	s_xor_b64 exec, exec, s[10:11]
	s_cbranch_execz .LBB4_134
.LBB4_195:                              ;   in Loop: Header=BB4_81 Depth=1
	v_add_f32_e64 v6, |v11|, s21
	v_and_b32_e32 v18, 0xff, v6
	v_cmp_ne_u32_e32 vcc, 0, v18
	s_andn2_b64 s[8:9], s[8:9], exec
	s_and_b64 s[24:25], vcc, exec
	s_mov_b32 s12, 0
	s_or_b64 s[8:9], s[8:9], s[24:25]
	s_or_b64 exec, exec, s[10:11]
	v_mov_b32_e32 v6, s12
	s_and_saveexec_b64 s[10:11], s[8:9]
	s_cbranch_execnz .LBB4_135
	s_branch .LBB4_136
.LBB4_196:                              ;   in Loop: Header=BB4_81 Depth=1
	v_bfe_u32 v2, v3, 20, 1
	v_add3_u32 v2, v3, v2, s20
	s_mov_b64 s[8:9], exec
	v_lshrrev_b32_e32 v7, 20, v2
	s_or_saveexec_b64 s[10:11], s[10:11]
                                        ; implicit-def: $sgpr12
	s_xor_b64 exec, exec, s[10:11]
	s_cbranch_execz .LBB4_140
.LBB4_197:                              ;   in Loop: Header=BB4_81 Depth=1
	v_add_f32_e64 v2, |v3|, s21
	v_and_b32_e32 v7, 0xff, v2
	v_cmp_ne_u32_e32 vcc, 0, v7
	s_andn2_b64 s[8:9], s[8:9], exec
	s_and_b64 s[24:25], vcc, exec
	s_mov_b32 s12, 0
	s_or_b64 s[8:9], s[8:9], s[24:25]
	s_or_b64 exec, exec, s[10:11]
	v_mov_b32_e32 v2, s12
	s_and_saveexec_b64 s[10:11], s[8:9]
	s_cbranch_execnz .LBB4_141
	s_branch .LBB4_142
.LBB4_198:                              ;   in Loop: Header=BB4_81 Depth=1
	v_bfe_u32 v4, v7, 20, 1
	v_add3_u32 v4, v7, v4, s20
	s_mov_b64 s[8:9], exec
	v_lshrrev_b32_e32 v8, 20, v4
	s_or_saveexec_b64 s[10:11], s[10:11]
                                        ; implicit-def: $sgpr12
	s_xor_b64 exec, exec, s[10:11]
	s_cbranch_execz .LBB4_146
.LBB4_199:                              ;   in Loop: Header=BB4_81 Depth=1
	v_add_f32_e64 v4, |v7|, s21
	v_and_b32_e32 v8, 0xff, v4
	v_cmp_ne_u32_e32 vcc, 0, v8
	s_andn2_b64 s[8:9], s[8:9], exec
	s_and_b64 s[24:25], vcc, exec
	s_mov_b32 s12, 0
	s_or_b64 s[8:9], s[8:9], s[24:25]
	s_or_b64 exec, exec, s[10:11]
	v_mov_b32_e32 v4, s12
	s_and_saveexec_b64 s[10:11], s[8:9]
	s_cbranch_execnz .LBB4_147
	s_branch .LBB4_148
.LBB4_200:                              ;   in Loop: Header=BB4_81 Depth=1
	v_bfe_u32 v3, v5, 20, 1
	v_add3_u32 v3, v5, v3, s20
	s_mov_b64 s[8:9], exec
	v_lshrrev_b32_e32 v7, 20, v3
	s_or_saveexec_b64 s[10:11], s[10:11]
                                        ; implicit-def: $sgpr12
	s_xor_b64 exec, exec, s[10:11]
	s_cbranch_execz .LBB4_152
.LBB4_201:                              ;   in Loop: Header=BB4_81 Depth=1
	v_add_f32_e64 v3, |v5|, s21
	v_and_b32_e32 v7, 0xff, v3
	v_cmp_ne_u32_e32 vcc, 0, v7
	s_andn2_b64 s[8:9], s[8:9], exec
	s_and_b64 s[24:25], vcc, exec
	s_mov_b32 s12, 0
	s_or_b64 s[8:9], s[8:9], s[24:25]
	s_or_b64 exec, exec, s[10:11]
	v_mov_b32_e32 v3, s12
	s_and_saveexec_b64 s[10:11], s[8:9]
	s_cbranch_execnz .LBB4_153
	s_branch .LBB4_154
.LBB4_202:                              ;   in Loop: Header=BB4_81 Depth=1
	v_bfe_u32 v6, v11, 20, 1
	v_add3_u32 v6, v11, v6, s20
	s_mov_b64 s[10:11], exec
	v_lshrrev_b32_e32 v12, 20, v6
	s_or_saveexec_b64 s[12:13], s[12:13]
                                        ; implicit-def: $sgpr24
	s_xor_b64 exec, exec, s[12:13]
	s_cbranch_execz .LBB4_159
.LBB4_203:                              ;   in Loop: Header=BB4_81 Depth=1
	v_add_f32_e64 v6, |v11|, s21
	v_and_b32_e32 v12, 0xff, v6
	v_cmp_ne_u32_e32 vcc, 0, v12
	s_andn2_b64 s[10:11], s[10:11], exec
	s_and_b64 s[26:27], vcc, exec
	s_mov_b32 s24, 0
	s_or_b64 s[10:11], s[10:11], s[26:27]
	s_or_b64 exec, exec, s[12:13]
	v_mov_b32_e32 v6, s24
	s_and_saveexec_b64 s[12:13], s[10:11]
	s_cbranch_execnz .LBB4_160
	s_branch .LBB4_161
.LBB4_204:                              ;   in Loop: Header=BB4_81 Depth=1
	v_bfe_u32 v2, v3, 20, 1
	v_add3_u32 v2, v3, v2, s20
	s_mov_b64 s[10:11], exec
	v_lshrrev_b32_e32 v7, 20, v2
	s_or_saveexec_b64 s[12:13], s[12:13]
                                        ; implicit-def: $sgpr24
	s_xor_b64 exec, exec, s[12:13]
	s_cbranch_execz .LBB4_165
.LBB4_205:                              ;   in Loop: Header=BB4_81 Depth=1
	v_add_f32_e64 v2, |v3|, s21
	v_and_b32_e32 v7, 0xff, v2
	v_cmp_ne_u32_e32 vcc, 0, v7
	s_andn2_b64 s[10:11], s[10:11], exec
	s_and_b64 s[26:27], vcc, exec
	s_mov_b32 s24, 0
	s_or_b64 s[10:11], s[10:11], s[26:27]
	s_or_b64 exec, exec, s[12:13]
	v_mov_b32_e32 v2, s24
	s_and_saveexec_b64 s[12:13], s[10:11]
	s_cbranch_execnz .LBB4_166
	s_branch .LBB4_167
.LBB4_206:                              ;   in Loop: Header=BB4_81 Depth=1
	v_bfe_u32 v4, v7, 20, 1
	v_add3_u32 v4, v7, v4, s20
	s_mov_b64 s[10:11], exec
	v_lshrrev_b32_e32 v8, 20, v4
	s_or_saveexec_b64 s[12:13], s[12:13]
                                        ; implicit-def: $sgpr24
	s_xor_b64 exec, exec, s[12:13]
	s_cbranch_execz .LBB4_171
.LBB4_207:                              ;   in Loop: Header=BB4_81 Depth=1
	v_add_f32_e64 v4, |v7|, s21
	v_and_b32_e32 v8, 0xff, v4
	v_cmp_ne_u32_e32 vcc, 0, v8
	s_andn2_b64 s[10:11], s[10:11], exec
	s_and_b64 s[26:27], vcc, exec
	s_mov_b32 s24, 0
	s_or_b64 s[10:11], s[10:11], s[26:27]
	s_or_b64 exec, exec, s[12:13]
	v_mov_b32_e32 v4, s24
	s_and_saveexec_b64 s[12:13], s[10:11]
	s_cbranch_execnz .LBB4_172
	s_branch .LBB4_173
.LBB4_208:                              ;   in Loop: Header=BB4_81 Depth=1
	v_bfe_u32 v3, v5, 20, 1
	v_add3_u32 v3, v5, v3, s20
	s_mov_b64 s[10:11], exec
	v_lshrrev_b32_e32 v7, 20, v3
	s_or_saveexec_b64 s[12:13], s[12:13]
                                        ; implicit-def: $sgpr24
	s_xor_b64 exec, exec, s[12:13]
	s_cbranch_execz .LBB4_177
.LBB4_209:                              ;   in Loop: Header=BB4_81 Depth=1
	v_add_f32_e64 v3, |v5|, s21
	v_and_b32_e32 v7, 0xff, v3
	v_cmp_ne_u32_e32 vcc, 0, v7
	s_andn2_b64 s[10:11], s[10:11], exec
	s_and_b64 s[26:27], vcc, exec
	s_mov_b32 s24, 0
	s_or_b64 s[10:11], s[10:11], s[26:27]
	s_or_b64 exec, exec, s[12:13]
	v_mov_b32_e32 v3, s24
	s_and_saveexec_b64 s[12:13], s[10:11]
	s_cbranch_execz .LBB4_76
.LBB4_210:                              ;   in Loop: Header=BB4_81 Depth=1
	v_lshrrev_b32_e32 v3, 24, v5
	v_and_or_b32 v3, v3, s22, v7
	s_branch .LBB4_76
.LBB4_211:
	s_endpgm
	.section	.rodata,"a",@progbits
	.p2align	6, 0x0
	.amdhsa_kernel _ZN4vllm39rms_norm_dynamic_per_token_quant_kernelIfN3c1015Float8_e4m3fnuzELb0EEEvPT0_PfPKT_S8_PKffiiPS6_
		.amdhsa_group_segment_fixed_size 272
		.amdhsa_private_segment_fixed_size 0
		.amdhsa_kernarg_size 320
		.amdhsa_user_sgpr_count 6
		.amdhsa_user_sgpr_private_segment_buffer 1
		.amdhsa_user_sgpr_dispatch_ptr 0
		.amdhsa_user_sgpr_queue_ptr 0
		.amdhsa_user_sgpr_kernarg_segment_ptr 1
		.amdhsa_user_sgpr_dispatch_id 0
		.amdhsa_user_sgpr_flat_scratch_init 0
		.amdhsa_user_sgpr_kernarg_preload_length 0
		.amdhsa_user_sgpr_kernarg_preload_offset 0
		.amdhsa_user_sgpr_private_segment_size 0
		.amdhsa_uses_dynamic_stack 0
		.amdhsa_system_sgpr_private_segment_wavefront_offset 0
		.amdhsa_system_sgpr_workgroup_id_x 1
		.amdhsa_system_sgpr_workgroup_id_y 0
		.amdhsa_system_sgpr_workgroup_id_z 0
		.amdhsa_system_sgpr_workgroup_info 0
		.amdhsa_system_vgpr_workitem_id 0
		.amdhsa_next_free_vgpr 29
		.amdhsa_next_free_sgpr 53
		.amdhsa_accum_offset 32
		.amdhsa_reserve_vcc 1
		.amdhsa_reserve_flat_scratch 0
		.amdhsa_float_round_mode_32 0
		.amdhsa_float_round_mode_16_64 0
		.amdhsa_float_denorm_mode_32 3
		.amdhsa_float_denorm_mode_16_64 3
		.amdhsa_dx10_clamp 1
		.amdhsa_ieee_mode 1
		.amdhsa_fp16_overflow 0
		.amdhsa_tg_split 0
		.amdhsa_exception_fp_ieee_invalid_op 0
		.amdhsa_exception_fp_denorm_src 0
		.amdhsa_exception_fp_ieee_div_zero 0
		.amdhsa_exception_fp_ieee_overflow 0
		.amdhsa_exception_fp_ieee_underflow 0
		.amdhsa_exception_fp_ieee_inexact 0
		.amdhsa_exception_int_div_zero 0
	.end_amdhsa_kernel
	.section	.text._ZN4vllm39rms_norm_dynamic_per_token_quant_kernelIfN3c1015Float8_e4m3fnuzELb0EEEvPT0_PfPKT_S8_PKffiiPS6_,"axG",@progbits,_ZN4vllm39rms_norm_dynamic_per_token_quant_kernelIfN3c1015Float8_e4m3fnuzELb0EEEvPT0_PfPKT_S8_PKffiiPS6_,comdat
.Lfunc_end4:
	.size	_ZN4vllm39rms_norm_dynamic_per_token_quant_kernelIfN3c1015Float8_e4m3fnuzELb0EEEvPT0_PfPKT_S8_PKffiiPS6_, .Lfunc_end4-_ZN4vllm39rms_norm_dynamic_per_token_quant_kernelIfN3c1015Float8_e4m3fnuzELb0EEEvPT0_PfPKT_S8_PKffiiPS6_
                                        ; -- End function
	.section	.AMDGPU.csdata,"",@progbits
; Kernel info:
; codeLenInByte = 10656
; NumSgprs: 57
; NumVgprs: 29
; NumAgprs: 0
; TotalNumVgprs: 29
; ScratchSize: 0
; MemoryBound: 0
; FloatMode: 240
; IeeeMode: 1
; LDSByteSize: 272 bytes/workgroup (compile time only)
; SGPRBlocks: 7
; VGPRBlocks: 3
; NumSGPRsForWavesPerEU: 57
; NumVGPRsForWavesPerEU: 29
; AccumOffset: 32
; Occupancy: 8
; WaveLimiterHint : 0
; COMPUTE_PGM_RSRC2:SCRATCH_EN: 0
; COMPUTE_PGM_RSRC2:USER_SGPR: 6
; COMPUTE_PGM_RSRC2:TRAP_HANDLER: 0
; COMPUTE_PGM_RSRC2:TGID_X_EN: 1
; COMPUTE_PGM_RSRC2:TGID_Y_EN: 0
; COMPUTE_PGM_RSRC2:TGID_Z_EN: 0
; COMPUTE_PGM_RSRC2:TIDIG_COMP_CNT: 0
; COMPUTE_PGM_RSRC3_GFX90A:ACCUM_OFFSET: 7
; COMPUTE_PGM_RSRC3_GFX90A:TG_SPLIT: 0
	.section	.text._ZN4vllm39rms_norm_dynamic_per_token_quant_kernelIfaLb0EEEvPT0_PfPKT_S6_PKffiiPS4_,"axG",@progbits,_ZN4vllm39rms_norm_dynamic_per_token_quant_kernelIfaLb0EEEvPT0_PfPKT_S6_PKffiiPS4_,comdat
	.protected	_ZN4vllm39rms_norm_dynamic_per_token_quant_kernelIfaLb0EEEvPT0_PfPKT_S6_PKffiiPS4_ ; -- Begin function _ZN4vllm39rms_norm_dynamic_per_token_quant_kernelIfaLb0EEEvPT0_PfPKT_S6_PKffiiPS4_
	.globl	_ZN4vllm39rms_norm_dynamic_per_token_quant_kernelIfaLb0EEEvPT0_PfPKT_S6_PKffiiPS4_
	.p2align	8
	.type	_ZN4vllm39rms_norm_dynamic_per_token_quant_kernelIfaLb0EEEvPT0_PfPKT_S6_PKffiiPS4_,@function
_ZN4vllm39rms_norm_dynamic_per_token_quant_kernelIfaLb0EEEvPT0_PfPKT_S6_PKffiiPS4_: ; @_ZN4vllm39rms_norm_dynamic_per_token_quant_kernelIfaLb0EEEvPT0_PfPKT_S6_PKffiiPS4_
; %bb.0:
	s_load_dwordx4 s[36:39], s[4:5], 0x28
	s_load_dwordx2 s[22:23], s[4:5], 0x20
	s_load_dwordx8 s[24:31], s[4:5], 0x0
	s_waitcnt lgkmcnt(0)
	s_or_b32 s0, s38, s37
	s_and_b32 s0, s0, 3
	s_cmp_lg_u32 s0, 0
	s_cbranch_scc0 .LBB5_31
; %bb.1:
	v_cmp_gt_u32_e64 s[0:1], s37, v0
	v_cmp_le_u32_e64 s[2:3], s37, v0
                                        ; implicit-def: $sgpr7
                                        ; implicit-def: $sgpr10_sgpr11
	s_and_saveexec_b64 s[8:9], s[2:3]
	s_xor_b64 s[8:9], exec, s[8:9]
; %bb.2:
	s_add_u32 s10, s4, 64
	s_addc_u32 s11, s5, 0
	s_mov_b32 s7, 0
; %bb.3:
	s_or_saveexec_b64 s[8:9], s[8:9]
	v_mov_b32_e32 v4, s7
	v_pk_mov_b32 v[2:3], s[10:11], s[10:11] op_sel:[0,1]
	v_mov_b32_e32 v1, s6
	s_xor_b64 exec, exec, s[8:9]
	s_cbranch_execz .LBB5_7
; %bb.4:
	s_ashr_i32 s7, s38, 31
	s_mul_hi_u32 s10, s38, s6
	s_mul_i32 s7, s7, s6
	s_add_i32 s11, s10, s7
	s_mul_i32 s10, s38, s6
	s_load_dword s12, s[4:5], 0x4c
	s_lshl_b64 s[10:11], s[10:11], 2
	s_add_u32 s7, s28, s10
	s_addc_u32 s15, s29, s11
	s_add_u32 s10, s4, 64
	s_addc_u32 s11, s5, 0
	s_waitcnt lgkmcnt(0)
	s_and_b32 s14, s12, 0xffff
	s_mov_b64 s[12:13], 0
	v_mov_b32_e32 v3, 0
	v_mov_b32_e32 v1, s15
	;; [unrolled: 1-line block ×4, first 2 shown]
.LBB5_5:                                ; =>This Inner Loop Header: Depth=1
	v_lshlrev_b64 v[6:7], 2, v[2:3]
	v_add_co_u32_e32 v6, vcc, s7, v6
	v_addc_co_u32_e32 v7, vcc, v1, v7, vcc
	global_load_dword v5, v[6:7], off
	v_add_u32_e32 v2, s14, v2
	v_cmp_le_u32_e32 vcc, s37, v2
	s_or_b64 s[12:13], vcc, s[12:13]
	s_waitcnt vmcnt(0)
	v_fmac_f32_e32 v4, v5, v5
	s_andn2_b64 exec, exec, s[12:13]
	s_cbranch_execnz .LBB5_5
; %bb.6:
	s_or_b64 exec, exec, s[12:13]
	v_pk_mov_b32 v[2:3], s[10:11], s[10:11] op_sel:[0,1]
	v_mov_b32_e32 v1, s6
.LBB5_7:
	s_or_b64 exec, exec, s[8:9]
	global_load_dword v5, v[2:3], off
	s_waitcnt vmcnt(0)
	v_cmp_lt_u32_e32 vcc, v1, v5
	v_cndmask_b32_e64 v1, 18, 12, vcc
	v_add_co_u32_e32 v2, vcc, v2, v1
	v_addc_co_u32_e32 v3, vcc, 0, v3, vcc
	global_load_ushort v2, v[2:3], off
	v_mbcnt_lo_u32_b32 v1, -1, 0
	v_mbcnt_hi_u32_b32 v1, -1, v1
	v_and_b32_e32 v3, 63, v1
	v_cmp_ne_u32_e32 vcc, 63, v3
	v_addc_co_u32_e32 v6, vcc, 0, v1, vcc
	v_lshlrev_b32_e32 v14, 2, v6
	ds_bpermute_b32 v6, v14, v4
	v_cmp_gt_u32_e32 vcc, 62, v3
	v_cndmask_b32_e64 v12, 0, 1, vcc
	v_and_b32_e32 v5, 0x3c0, v0
	v_lshlrev_b32_e32 v12, 1, v12
	v_add_u32_e32 v7, 1, v1
	v_add_lshl_u32 v13, v12, v1, 2
	s_waitcnt lgkmcnt(0)
	v_add_f32_e32 v6, v4, v6
	v_add_u32_e32 v8, 2, v1
	v_add_u32_e32 v10, 4, v1
	;; [unrolled: 1-line block ×5, first 2 shown]
	v_cmp_eq_u32_e64 s[8:9], 0, v1
	s_waitcnt vmcnt(0)
	v_sub_u32_e64 v12, v2, v5 clamp
	v_cmp_lt_u32_e32 vcc, v7, v12
	v_cndmask_b32_e32 v4, v4, v6, vcc
	ds_bpermute_b32 v6, v13, v4
	v_cmp_gt_u32_e32 vcc, 60, v3
	v_cndmask_b32_e64 v15, 0, 1, vcc
	v_lshlrev_b32_e32 v15, 2, v15
	v_cmp_lt_u32_e32 vcc, v8, v12
	s_waitcnt lgkmcnt(0)
	v_add_f32_e32 v6, v4, v6
	v_add_lshl_u32 v15, v15, v1, 2
	v_cndmask_b32_e32 v4, v4, v6, vcc
	ds_bpermute_b32 v6, v15, v4
	v_cmp_gt_u32_e32 vcc, 56, v3
	v_cndmask_b32_e64 v16, 0, 1, vcc
	v_lshlrev_b32_e32 v16, 3, v16
	v_cmp_lt_u32_e32 vcc, v10, v12
	s_waitcnt lgkmcnt(0)
	v_add_f32_e32 v6, v4, v6
	v_add_lshl_u32 v16, v16, v1, 2
	;; [unrolled: 9-line block ×3, first 2 shown]
	v_cndmask_b32_e32 v4, v4, v6, vcc
	ds_bpermute_b32 v6, v18, v4
	v_cmp_gt_u32_e32 vcc, 32, v3
	v_cndmask_b32_e64 v3, 0, 1, vcc
	v_lshlrev_b32_e32 v3, 5, v3
	v_add_lshl_u32 v17, v3, v1, 2
	s_waitcnt lgkmcnt(0)
	v_add_f32_e32 v3, v4, v6
	v_cmp_lt_u32_e32 vcc, v9, v12
	v_cndmask_b32_e32 v3, v4, v3, vcc
	ds_bpermute_b32 v4, v17, v3
	v_cmp_lt_u32_e32 vcc, v19, v12
	s_waitcnt lgkmcnt(0)
	v_add_f32_e32 v4, v3, v4
	v_cndmask_b32_e32 v3, v3, v4, vcc
	s_and_saveexec_b64 s[10:11], s[8:9]
	s_cbranch_execz .LBB5_9
; %bb.8:
	v_lshrrev_b32_e32 v4, 4, v0
	v_and_b32_e32 v4, 60, v4
	ds_write_b32 v4, v3 offset:128
.LBB5_9:
	s_or_b64 exec, exec, s[10:11]
	v_cmp_gt_u32_e64 s[10:11], 16, v0
	v_lshlrev_b32_e32 v12, 2, v1
	v_and_b32_e32 v6, 15, v1
	s_waitcnt lgkmcnt(0)
	s_barrier
	s_and_saveexec_b64 s[14:15], s[10:11]
	s_cbranch_execz .LBB5_11
; %bb.10:
	ds_read_b32 v3, v12 offset:128
	v_cmp_ne_u32_e32 vcc, 15, v6
	v_addc_co_u32_e32 v4, vcc, 0, v1, vcc
	v_lshlrev_b32_e32 v4, 2, v4
	s_waitcnt lgkmcnt(0)
	ds_bpermute_b32 v4, v4, v3
	v_add_u32_e32 v2, 63, v2
	v_add_u32_e32 v20, 1, v6
	v_lshrrev_b32_e32 v2, 6, v2
	v_cmp_gt_u32_e64 s[12:13], 14, v6
	v_cmp_lt_u32_e32 vcc, v20, v2
	v_cndmask_b32_e64 v20, 0, 1, s[12:13]
	s_waitcnt lgkmcnt(0)
	v_add_f32_e32 v4, v3, v4
	v_lshlrev_b32_e32 v20, 1, v20
	v_cndmask_b32_e32 v4, v3, v4, vcc
	v_add_lshl_u32 v20, v20, v1, 2
	ds_bpermute_b32 v20, v20, v4
	v_add_u32_e32 v21, 2, v6
	v_cmp_lt_u32_e64 s[12:13], v21, v2
	v_add_u32_e32 v21, 4, v6
	s_waitcnt lgkmcnt(0)
	v_add_f32_e32 v20, v4, v20
	v_cndmask_b32_e64 v4, v4, v20, s[12:13]
	v_cmp_gt_u32_e64 s[12:13], 12, v6
	v_cndmask_b32_e64 v20, 0, 1, s[12:13]
	v_lshlrev_b32_e32 v20, 2, v20
	v_add_lshl_u32 v20, v20, v1, 2
	ds_bpermute_b32 v20, v20, v4
	v_cmp_lt_u32_e64 s[12:13], v21, v2
	v_add_u32_e32 v21, 8, v6
	s_waitcnt lgkmcnt(0)
	v_add_f32_e32 v20, v4, v20
	v_cndmask_b32_e64 v4, v4, v20, s[12:13]
	v_cmp_gt_u32_e64 s[12:13], 8, v6
	v_cndmask_b32_e64 v20, 0, 1, s[12:13]
	v_lshlrev_b32_e32 v20, 3, v20
	v_add_lshl_u32 v20, v20, v1, 2
	ds_bpermute_b32 v20, v20, v4
	v_cmp_lt_u32_e64 s[12:13], v21, v2
	s_waitcnt lgkmcnt(0)
	v_add_f32_e32 v20, v4, v20
	v_cndmask_b32_e64 v2, v4, v20, s[12:13]
	v_cndmask_b32_e32 v3, v3, v2, vcc
.LBB5_11:
	s_or_b64 exec, exec, s[14:15]
	s_mov_b32 s7, 0
	v_cmp_eq_u32_e64 s[12:13], 0, v0
	s_and_saveexec_b64 s[14:15], s[12:13]
	s_cbranch_execz .LBB5_13
; %bb.12:
	v_cvt_f32_i32_e32 v2, s37
	v_div_scale_f32 v4, s[16:17], v2, v2, v3
	v_rcp_f32_e32 v20, v4
	v_div_scale_f32 v21, vcc, v3, v2, v3
	s_mov_b32 s16, 0x800000
	v_fma_f32 v22, -v4, v20, 1.0
	v_fmac_f32_e32 v20, v22, v20
	v_mul_f32_e32 v22, v21, v20
	v_fma_f32 v23, -v4, v22, v21
	v_fmac_f32_e32 v22, v23, v20
	v_fma_f32 v4, -v4, v22, v21
	v_div_fmas_f32 v4, v4, v20, v22
	v_div_fixup_f32 v2, v4, v2, v3
	v_add_f32_e32 v2, s36, v2
	v_mul_f32_e32 v3, 0x4b800000, v2
	v_cmp_gt_f32_e32 vcc, s16, v2
	v_cndmask_b32_e32 v2, v2, v3, vcc
	v_rsq_f32_e32 v2, v2
	v_mul_f32_e32 v3, 0x45800000, v2
	v_cndmask_b32_e32 v2, v2, v3, vcc
	v_mov_b32_e32 v3, 0
	ds_write_b32 v3, v2 offset:264
.LBB5_13:
	s_or_b64 exec, exec, s[14:15]
	v_mov_b32_e32 v2, 0
	s_waitcnt lgkmcnt(0)
	s_barrier
	ds_read_b32 v4, v2 offset:264
	s_waitcnt lgkmcnt(0)
	s_barrier
	s_waitcnt lgkmcnt(0)
                                        ; implicit-def: $sgpr16
                                        ; implicit-def: $sgpr14_sgpr15
	s_and_saveexec_b64 s[18:19], s[2:3]
	s_xor_b64 s[2:3], exec, s[18:19]
; %bb.14:
	s_add_u32 s14, s4, 64
	s_addc_u32 s15, s5, 0
	s_mov_b32 s16, 0
; %bb.15:
	s_or_saveexec_b64 s[2:3], s[2:3]
	v_mov_b32_e32 v20, s16
	v_pk_mov_b32 v[2:3], s[14:15], s[14:15] op_sel:[0,1]
	s_mul_hi_u32 s33, s38, s6
	s_mul_i32 s34, s38, s6
	s_xor_b64 exec, exec, s[2:3]
	s_cbranch_execz .LBB5_19
; %bb.16:
	s_ashr_i32 s14, s38, 31
	s_mul_i32 s14, s14, s6
	s_add_i32 s35, s33, s14
	s_load_dword s16, s[4:5], 0x4c
	s_lshl_b64 s[14:15], s[34:35], 2
	s_add_u32 s18, s28, s14
	s_addc_u32 s20, s29, s15
	s_add_u32 s14, s4, 64
	s_addc_u32 s15, s5, 0
	s_waitcnt lgkmcnt(0)
	s_and_b32 s19, s16, 0xffff
	s_mov_b64 s[16:17], 0
	v_mov_b32_e32 v3, 0
	v_mov_b32_e32 v21, s20
	;; [unrolled: 1-line block ×5, first 2 shown]
.LBB5_17:                               ; =>This Inner Loop Header: Depth=1
	v_lshlrev_b64 v[24:25], 2, v[2:3]
	v_add_co_u32_e32 v26, vcc, s18, v24
	v_addc_co_u32_e32 v27, vcc, v21, v25, vcc
	v_add_co_u32_e32 v24, vcc, s30, v24
	v_addc_co_u32_e32 v25, vcc, v22, v25, vcc
	global_load_dword v23, v[26:27], off
	global_load_dword v28, v[24:25], off
	v_add_u32_e32 v2, s19, v2
	v_max_f32_e32 v20, v20, v20
	v_cmp_le_u32_e32 vcc, s37, v2
	s_or_b64 s[16:17], vcc, s[16:17]
	s_waitcnt vmcnt(1)
	v_mul_f32_e32 v23, v4, v23
	s_waitcnt vmcnt(0)
	v_mul_f32_e32 v23, v23, v28
	v_max_f32_e64 v20, v20, |v23|
	s_andn2_b64 exec, exec, s[16:17]
	s_cbranch_execnz .LBB5_17
; %bb.18:
	s_or_b64 exec, exec, s[16:17]
	v_pk_mov_b32 v[2:3], s[14:15], s[14:15] op_sel:[0,1]
.LBB5_19:
	s_or_b64 exec, exec, s[2:3]
	global_load_dword v21, v[2:3], off
	s_waitcnt vmcnt(0)
	v_cmp_lt_u32_e32 vcc, s6, v21
	v_cndmask_b32_e64 v21, 18, 12, vcc
	v_add_co_u32_e32 v2, vcc, v2, v21
	v_addc_co_u32_e32 v3, vcc, 0, v3, vcc
	global_load_ushort v2, v[2:3], off
	ds_bpermute_b32 v3, v14, v20
	s_waitcnt lgkmcnt(0)
	v_cmp_lt_f32_e32 vcc, v20, v3
	v_cndmask_b32_e32 v3, v20, v3, vcc
	s_waitcnt vmcnt(0)
	v_sub_u32_e64 v5, v2, v5 clamp
	v_cmp_lt_u32_e32 vcc, v7, v5
	v_cndmask_b32_e32 v3, v20, v3, vcc
	ds_bpermute_b32 v7, v13, v3
	v_cmp_lt_u32_e64 s[18:19], v19, v5
	s_waitcnt lgkmcnt(0)
	v_cmp_lt_f32_e64 s[2:3], v3, v7
	v_cndmask_b32_e64 v7, v3, v7, s[2:3]
	v_cmp_lt_u32_e64 s[2:3], v8, v5
	v_cndmask_b32_e64 v3, v3, v7, s[2:3]
	ds_bpermute_b32 v7, v15, v3
	s_or_b64 s[2:3], vcc, s[2:3]
	s_waitcnt lgkmcnt(0)
	v_cmp_lt_f32_e64 s[14:15], v3, v7
	v_cndmask_b32_e64 v7, v3, v7, s[14:15]
	v_cmp_lt_u32_e64 s[14:15], v10, v5
	v_cndmask_b32_e64 v3, v3, v7, s[14:15]
	ds_bpermute_b32 v7, v16, v3
	s_or_b64 s[2:3], s[14:15], s[2:3]
	s_waitcnt lgkmcnt(0)
	v_cmp_lt_f32_e64 s[16:17], v3, v7
	v_cndmask_b32_e64 v7, v3, v7, s[16:17]
	v_cmp_lt_u32_e64 s[16:17], v11, v5
	v_cndmask_b32_e64 v3, v3, v7, s[16:17]
	ds_bpermute_b32 v7, v18, v3
	s_or_b64 s[2:3], s[16:17], s[2:3]
	;; [unrolled: 7-line block ×3, first 2 shown]
	s_waitcnt lgkmcnt(0)
	v_cmp_lt_f32_e32 vcc, v3, v5
	s_and_b64 vcc, s[18:19], vcc
	v_cndmask_b32_e32 v3, v3, v5, vcc
	s_or_b64 vcc, s[18:19], s[2:3]
	v_cndmask_b32_e32 v3, v20, v3, vcc
	s_and_saveexec_b64 s[2:3], s[8:9]
	s_cbranch_execz .LBB5_21
; %bb.20:
	v_lshrrev_b32_e32 v5, 4, v0
	v_and_b32_e32 v5, 60, v5
	ds_write_b32 v5, v3 offset:192
.LBB5_21:
	s_or_b64 exec, exec, s[2:3]
	s_waitcnt lgkmcnt(0)
	s_barrier
	s_and_saveexec_b64 s[14:15], s[10:11]
	s_cbranch_execz .LBB5_23
; %bb.22:
	ds_read_b32 v3, v12 offset:192
	v_cmp_ne_u32_e32 vcc, 15, v6
	v_addc_co_u32_e32 v5, vcc, 0, v1, vcc
	v_lshlrev_b32_e32 v5, 2, v5
	s_waitcnt lgkmcnt(0)
	ds_bpermute_b32 v5, v5, v3
	v_add_u32_e32 v2, 63, v2
	v_add_u32_e32 v7, 1, v6
	v_lshrrev_b32_e32 v2, 6, v2
	v_cmp_gt_u32_e64 s[2:3], 14, v6
	s_waitcnt lgkmcnt(0)
	v_cmp_lt_f32_e32 vcc, v3, v5
	v_cndmask_b32_e32 v5, v3, v5, vcc
	v_cmp_lt_u32_e32 vcc, v7, v2
	v_cndmask_b32_e64 v7, 0, 1, s[2:3]
	v_lshlrev_b32_e32 v7, 1, v7
	v_cndmask_b32_e32 v5, v3, v5, vcc
	v_add_lshl_u32 v7, v7, v1, 2
	ds_bpermute_b32 v7, v7, v5
	v_add_u32_e32 v8, 2, v6
	s_waitcnt lgkmcnt(0)
	v_cmp_lt_f32_e64 s[2:3], v5, v7
	v_cndmask_b32_e64 v7, v5, v7, s[2:3]
	v_cmp_lt_u32_e64 s[2:3], v8, v2
	v_cndmask_b32_e64 v5, v5, v7, s[2:3]
	v_cmp_gt_u32_e64 s[2:3], 12, v6
	v_cndmask_b32_e64 v7, 0, 1, s[2:3]
	v_lshlrev_b32_e32 v7, 2, v7
	v_add_lshl_u32 v7, v7, v1, 2
	ds_bpermute_b32 v7, v7, v5
	v_add_u32_e32 v8, 4, v6
	s_waitcnt lgkmcnt(0)
	v_cmp_lt_f32_e64 s[2:3], v5, v7
	v_cndmask_b32_e64 v7, v5, v7, s[2:3]
	v_cmp_lt_u32_e64 s[2:3], v8, v2
	v_cndmask_b32_e64 v5, v5, v7, s[2:3]
	v_cmp_gt_u32_e64 s[2:3], 8, v6
	v_cndmask_b32_e64 v7, 0, 1, s[2:3]
	v_lshlrev_b32_e32 v7, 3, v7
	v_add_lshl_u32 v1, v7, v1, 2
	ds_bpermute_b32 v1, v1, v5
	v_add_u32_e32 v6, 8, v6
	v_cmp_lt_u32_e64 s[2:3], v6, v2
	s_waitcnt lgkmcnt(0)
	v_cmp_lt_f32_e64 s[8:9], v5, v1
	s_and_b64 s[2:3], s[2:3], s[8:9]
	v_cndmask_b32_e64 v1, v5, v1, s[2:3]
	v_cndmask_b32_e32 v3, v3, v1, vcc
.LBB5_23:
	s_or_b64 exec, exec, s[14:15]
	s_and_saveexec_b64 s[2:3], s[12:13]
	s_cbranch_execz .LBB5_27
; %bb.24:
	s_cmp_eq_u64 s[22:23], 0
	s_cbranch_scc1 .LBB5_26
; %bb.25:
	s_load_dword s8, s[22:23], 0x0
	v_max_f32_e32 v1, v3, v3
	s_waitcnt lgkmcnt(0)
	v_max_f32_e64 v2, s8, s8
	v_min_f32_e32 v3, v1, v2
.LBB5_26:
	s_mov_b32 s10, 0x42fe0000
	v_div_scale_f32 v1, s[8:9], s10, s10, v3
	v_rcp_f32_e32 v2, v1
	v_div_scale_f32 v5, vcc, v3, s10, v3
	s_lshl_b64 s[8:9], s[6:7], 2
	v_fma_f32 v6, -v1, v2, 1.0
	v_fmac_f32_e32 v2, v6, v2
	v_mul_f32_e32 v6, v5, v2
	v_fma_f32 v7, -v1, v6, v5
	v_fmac_f32_e32 v6, v7, v2
	v_fma_f32 v1, -v1, v6, v5
	v_div_fmas_f32 v1, v1, v2, v6
	v_div_fixup_f32 v1, v1, s10, v3
	s_add_u32 s8, s26, s8
	v_max_f32_e32 v1, 0x34000000, v1
	v_mov_b32_e32 v2, 0
	s_addc_u32 s9, s27, s9
	ds_write_b32 v2, v1 offset:268
	global_store_dword v2, v1, s[8:9]
.LBB5_27:
	s_or_b64 exec, exec, s[2:3]
	s_waitcnt lgkmcnt(0)
	s_barrier
	s_and_saveexec_b64 s[2:3], s[0:1]
	s_cbranch_execz .LBB5_30
; %bb.28:
	v_mov_b32_e32 v3, 0
	ds_read_b32 v1, v3 offset:268
	s_ashr_i32 s7, s37, 31
	s_mul_hi_u32 s8, s37, s6
	s_mul_i32 s7, s7, s6
	s_load_dword s10, s[4:5], 0x4c
	s_waitcnt lgkmcnt(0)
	v_div_scale_f32 v2, s[0:1], v1, v1, 1.0
	v_rcp_f32_e32 v5, v2
	s_ashr_i32 s0, s38, 31
	v_div_scale_f32 v6, vcc, 1.0, v1, 1.0
	v_fma_f32 v7, -v2, v5, 1.0
	v_fmac_f32_e32 v5, v7, v5
	s_mul_i32 s0, s0, s6
	v_mul_f32_e32 v7, v6, v5
	s_add_i32 s35, s33, s0
	v_fma_f32 v8, -v2, v7, v6
	s_add_i32 s8, s8, s7
	s_lshl_b64 s[0:1], s[34:35], 2
	v_fmac_f32_e32 v7, v8, v5
	s_add_u32 s7, s28, s0
	v_fma_f32 v2, -v2, v7, v6
	s_mul_i32 s9, s37, s6
	s_addc_u32 s11, s29, s1
	v_div_fmas_f32 v2, v2, v5, v7
	s_add_u32 s0, s24, s9
	v_div_fixup_f32 v1, v2, v1, 1.0
	s_addc_u32 s1, s25, s8
	s_and_b32 s10, s10, 0xffff
	s_mov_b64 s[8:9], 0
	v_mov_b32_e32 v5, s11
	v_mov_b32_e32 v6, s31
	s_mov_b32 s11, 0x42fe0000
	v_mov_b32_e32 v7, 0x42fe0000
	s_mov_b32 s12, 0xc3000000
	v_mov_b32_e32 v8, 0xc3000000
	v_mov_b32_e32 v2, v0
.LBB5_29:                               ; =>This Inner Loop Header: Depth=1
	v_lshlrev_b64 v[10:11], 2, v[2:3]
	v_add_co_u32_e32 v12, vcc, s7, v10
	v_addc_co_u32_e32 v13, vcc, v5, v11, vcc
	v_add_co_u32_e32 v10, vcc, s30, v10
	v_addc_co_u32_e32 v11, vcc, v6, v11, vcc
	global_load_dword v9, v[12:13], off
	global_load_dword v14, v[10:11], off
	s_waitcnt vmcnt(1)
	v_mul_f32_e32 v9, v4, v9
	s_waitcnt vmcnt(0)
	v_mul_f32_e32 v9, v9, v14
	v_mul_f32_e32 v9, v1, v9
	v_rndne_f32_e32 v9, v9
	v_cmp_nlt_f32_e32 vcc, s11, v9
	v_cndmask_b32_e32 v10, v7, v9, vcc
	v_cmp_ngt_f32_e32 vcc, s12, v9
	v_cndmask_b32_e32 v9, v8, v10, vcc
	v_cvt_i32_f32_e32 v9, v9
	global_store_byte v2, v9, s[0:1]
	v_add_u32_e32 v2, s10, v2
	v_cmp_le_u32_e32 vcc, s37, v2
	s_or_b64 s[8:9], vcc, s[8:9]
	s_andn2_b64 exec, exec, s[8:9]
	s_cbranch_execnz .LBB5_29
.LBB5_30:
	s_or_b64 exec, exec, s[2:3]
	s_branch .LBB5_75
.LBB5_31:
	s_cbranch_execz .LBB5_75
; %bb.32:
	s_ashr_i32 s0, s38, 31
	s_mul_hi_u32 s1, s38, s6
	s_mul_i32 s0, s0, s6
	s_add_i32 s1, s1, s0
	s_mul_i32 s0, s38, s6
	s_lshl_b64 s[0:1], s[0:1], 2
	s_load_dword s18, s[4:5], 0x40
	s_add_u32 s33, s28, s0
	s_addc_u32 s48, s29, s1
	s_ashr_i32 s49, s37, 2
	s_add_u32 s19, s4, 64
	s_mov_b32 s7, 0
	v_cmp_gt_u32_e64 s[0:1], s49, v0
	s_addc_u32 s20, s5, 0
	v_mov_b32_e32 v8, 0
	s_and_saveexec_b64 s[2:3], s[0:1]
	s_cbranch_execz .LBB5_42
; %bb.33:
	s_waitcnt lgkmcnt(0)
	s_cmp_lt_u32 s6, s18
	s_cselect_b32 s4, 12, 18
	s_add_u32 s4, s19, s4
	s_addc_u32 s5, s20, 0
	v_mov_b32_e32 v3, 0
	global_load_ushort v1, v3, s[4:5]
	s_mov_b64 s[4:5], 0
	v_mov_b32_e32 v9, s48
	v_mov_b32_e32 v2, v0
	;; [unrolled: 1-line block ×3, first 2 shown]
                                        ; implicit-def: $sgpr8_sgpr9
	s_waitcnt vmcnt(0)
	v_add_u32_e32 v4, v1, v1
	v_mul_lo_u32 v10, v1, 3
	v_lshlrev_b32_e32 v11, 1, v1
	v_add_u32_e32 v12, v4, v1
	s_branch .LBB5_37
.LBB5_34:                               ;   in Loop: Header=BB5_37 Depth=1
	s_or_b64 exec, exec, s[14:15]
	s_orn2_b64 s[14:15], s[16:17], exec
.LBB5_35:                               ;   in Loop: Header=BB5_37 Depth=1
	s_or_b64 exec, exec, s[12:13]
	s_andn2_b64 s[8:9], s[8:9], exec
	s_and_b64 s[12:13], s[14:15], exec
	s_or_b64 s[8:9], s[8:9], s[12:13]
.LBB5_36:                               ;   in Loop: Header=BB5_37 Depth=1
	s_or_b64 exec, exec, s[10:11]
	s_and_b64 s[10:11], exec, s[8:9]
	s_or_b64 s[4:5], s[10:11], s[4:5]
	s_andn2_b64 exec, exec, s[4:5]
	s_cbranch_execz .LBB5_41
.LBB5_37:                               ; =>This Inner Loop Header: Depth=1
	v_lshlrev_b64 v[4:5], 4, v[2:3]
	v_add_co_u32_e32 v4, vcc, s33, v4
	v_addc_co_u32_e32 v5, vcc, v9, v5, vcc
	global_load_dwordx4 v[14:17], v[4:5], off
	v_add_u32_e32 v4, v2, v1
	v_cmp_gt_u32_e32 vcc, s49, v4
	s_or_b64 s[8:9], s[8:9], exec
	s_waitcnt vmcnt(0)
	v_fmac_f32_e32 v8, v14, v14
	v_fmac_f32_e32 v8, v15, v15
	;; [unrolled: 1-line block ×4, first 2 shown]
	s_and_saveexec_b64 s[10:11], vcc
	s_cbranch_execz .LBB5_36
; %bb.38:                               ;   in Loop: Header=BB5_37 Depth=1
	v_mov_b32_e32 v5, v3
	v_lshlrev_b64 v[6:7], 4, v[4:5]
	v_add_co_u32_e32 v6, vcc, s33, v6
	v_addc_co_u32_e32 v7, vcc, v9, v7, vcc
	global_load_dwordx4 v[14:17], v[6:7], off
	v_add_u32_e32 v6, v11, v2
	v_cmp_gt_u32_e32 vcc, s49, v6
	s_mov_b64 s[14:15], -1
	s_waitcnt vmcnt(0)
	v_fmac_f32_e32 v8, v14, v14
	v_fmac_f32_e32 v8, v15, v15
	;; [unrolled: 1-line block ×4, first 2 shown]
	s_and_saveexec_b64 s[12:13], vcc
	s_cbranch_execz .LBB5_35
; %bb.39:                               ;   in Loop: Header=BB5_37 Depth=1
	v_mov_b32_e32 v7, v3
	v_lshlrev_b64 v[6:7], 4, v[6:7]
	v_add_co_u32_e32 v6, vcc, s33, v6
	v_addc_co_u32_e32 v7, vcc, v9, v7, vcc
	global_load_dwordx4 v[14:17], v[6:7], off
	v_add_u32_e32 v2, v10, v2
	v_cmp_gt_u32_e32 vcc, s49, v2
	s_mov_b64 s[16:17], -1
	s_waitcnt vmcnt(0)
	v_fmac_f32_e32 v8, v14, v14
	v_fmac_f32_e32 v8, v15, v15
	;; [unrolled: 1-line block ×4, first 2 shown]
	s_and_saveexec_b64 s[14:15], vcc
	s_xor_b64 s[14:15], exec, s[14:15]
	s_cbranch_execz .LBB5_34
; %bb.40:                               ;   in Loop: Header=BB5_37 Depth=1
	v_lshlrev_b64 v[6:7], 4, v[2:3]
	v_add_co_u32_e32 v6, vcc, s33, v6
	v_addc_co_u32_e32 v7, vcc, v9, v7, vcc
	global_load_dwordx4 v[14:17], v[6:7], off
	v_add_u32_e32 v2, v12, v4
	v_cmp_le_u32_e32 vcc, s49, v2
	s_orn2_b64 s[16:17], vcc, exec
	s_waitcnt vmcnt(0)
	v_fmac_f32_e32 v8, v14, v14
	v_fmac_f32_e32 v8, v15, v15
	;; [unrolled: 1-line block ×4, first 2 shown]
	s_branch .LBB5_34
.LBB5_41:
	s_or_b64 exec, exec, s[4:5]
.LBB5_42:
	s_or_b64 exec, exec, s[2:3]
	s_waitcnt lgkmcnt(0)
	s_cmp_lt_u32 s6, s18
	s_cselect_b32 s2, 12, 18
	s_add_u32 s2, s19, s2
	s_addc_u32 s3, s20, 0
	v_mov_b32_e32 v1, 0
	global_load_ushort v2, v1, s[2:3]
	v_mbcnt_lo_u32_b32 v1, -1, 0
	v_mbcnt_hi_u32_b32 v1, -1, v1
	v_and_b32_e32 v5, 63, v1
	v_cmp_ne_u32_e32 vcc, 63, v5
	v_addc_co_u32_e32 v3, vcc, 0, v1, vcc
	v_lshlrev_b32_e32 v3, 2, v3
	ds_bpermute_b32 v11, v3, v8
	v_and_b32_e32 v4, 0x3c0, v0
	v_cmp_gt_u32_e32 vcc, 62, v5
	v_add_u32_e32 v6, 1, v1
	v_cndmask_b32_e64 v10, 0, 1, vcc
	v_lshlrev_b32_e32 v10, 1, v10
	s_waitcnt lgkmcnt(0)
	v_add_f32_e32 v11, v8, v11
	v_add_lshl_u32 v10, v10, v1, 2
	v_cmp_gt_u32_e32 vcc, 60, v5
	v_add_u32_e32 v7, 2, v1
	v_add_u32_e32 v9, 4, v1
	;; [unrolled: 1-line block ×4, first 2 shown]
	v_cmp_eq_u32_e64 s[14:15], 0, v1
	s_waitcnt vmcnt(0)
	v_sub_u32_e64 v4, v2, v4 clamp
	v_cmp_lt_u32_e64 s[2:3], v6, v4
	v_cndmask_b32_e64 v6, v8, v11, s[2:3]
	ds_bpermute_b32 v8, v10, v6
	v_cndmask_b32_e64 v11, 0, 1, vcc
	v_lshlrev_b32_e32 v11, 2, v11
	v_cmp_lt_u32_e64 s[4:5], v7, v4
	v_add_lshl_u32 v11, v11, v1, 2
	s_waitcnt lgkmcnt(0)
	v_add_f32_e32 v8, v6, v8
	v_cndmask_b32_e64 v6, v6, v8, s[4:5]
	ds_bpermute_b32 v7, v11, v6
	v_cmp_gt_u32_e32 vcc, 56, v5
	v_cndmask_b32_e64 v8, 0, 1, vcc
	v_lshlrev_b32_e32 v8, 3, v8
	v_cmp_lt_u32_e64 s[8:9], v9, v4
	s_waitcnt lgkmcnt(0)
	v_add_f32_e32 v7, v6, v7
	v_add_lshl_u32 v12, v8, v1, 2
	v_cndmask_b32_e64 v6, v6, v7, s[8:9]
	ds_bpermute_b32 v7, v12, v6
	v_cmp_gt_u32_e32 vcc, 48, v5
	v_cndmask_b32_e64 v8, 0, 1, vcc
	v_lshlrev_b32_e32 v8, 4, v8
	v_cmp_lt_u32_e64 s[10:11], v14, v4
	s_waitcnt lgkmcnt(0)
	v_add_f32_e32 v7, v6, v7
	v_add_lshl_u32 v13, v8, v1, 2
	v_cndmask_b32_e64 v6, v6, v7, s[10:11]
	ds_bpermute_b32 v7, v13, v6
	v_cmp_gt_u32_e32 vcc, 32, v5
	v_cndmask_b32_e64 v5, 0, 1, vcc
	v_lshlrev_b32_e32 v5, 5, v5
	v_add_lshl_u32 v14, v5, v1, 2
	s_waitcnt lgkmcnt(0)
	v_add_f32_e32 v5, v6, v7
	v_cmp_lt_u32_e64 s[12:13], v15, v4
	v_cndmask_b32_e64 v5, v6, v5, s[12:13]
	ds_bpermute_b32 v6, v14, v5
	v_add_u32_e32 v7, 32, v1
	v_readfirstlane_b32 s50, v2
	v_cmp_lt_u32_e64 s[20:21], v7, v4
	s_waitcnt lgkmcnt(0)
	v_add_f32_e32 v2, v5, v6
	v_cndmask_b32_e64 v2, v5, v2, s[20:21]
	s_and_saveexec_b64 s[16:17], s[14:15]
	s_cbranch_execz .LBB5_44
; %bb.43:
	v_lshrrev_b32_e32 v4, 4, v0
	v_and_b32_e32 v4, 60, v4
	ds_write_b32 v4, v2
.LBB5_44:
	s_or_b64 exec, exec, s[16:17]
	v_cmp_gt_u32_e64 s[16:17], 16, v0
	s_waitcnt lgkmcnt(0)
	s_barrier
	s_and_saveexec_b64 s[28:29], s[16:17]
	s_cbranch_execz .LBB5_46
; %bb.45:
	v_lshlrev_b32_e32 v2, 2, v1
	ds_read_b32 v2, v2
	v_and_b32_e32 v4, 15, v1
	v_cmp_ne_u32_e32 vcc, 15, v4
	v_addc_co_u32_e32 v5, vcc, 0, v1, vcc
	v_lshlrev_b32_e32 v5, 2, v5
	s_waitcnt lgkmcnt(0)
	ds_bpermute_b32 v5, v5, v2
	s_add_i32 s18, s50, 63
	s_lshr_b32 s34, s18, 6
	v_add_u32_e32 v6, 1, v4
	v_cmp_gt_u32_e64 s[18:19], 14, v4
	v_cmp_gt_u32_e32 vcc, s34, v6
	v_cndmask_b32_e64 v6, 0, 1, s[18:19]
	s_waitcnt lgkmcnt(0)
	v_add_f32_e32 v5, v2, v5
	v_lshlrev_b32_e32 v6, 1, v6
	v_cndmask_b32_e32 v5, v2, v5, vcc
	v_add_lshl_u32 v6, v6, v1, 2
	ds_bpermute_b32 v6, v6, v5
	v_add_u32_e32 v7, 2, v4
	v_cmp_gt_u32_e64 s[18:19], s34, v7
	v_add_u32_e32 v7, 4, v4
	s_waitcnt lgkmcnt(0)
	v_add_f32_e32 v6, v5, v6
	v_cndmask_b32_e64 v5, v5, v6, s[18:19]
	v_cmp_gt_u32_e64 s[18:19], 12, v4
	v_cndmask_b32_e64 v6, 0, 1, s[18:19]
	v_lshlrev_b32_e32 v6, 2, v6
	v_add_lshl_u32 v6, v6, v1, 2
	ds_bpermute_b32 v6, v6, v5
	v_cmp_gt_u32_e64 s[18:19], s34, v7
	s_waitcnt lgkmcnt(0)
	v_add_f32_e32 v6, v5, v6
	v_cndmask_b32_e64 v5, v5, v6, s[18:19]
	v_cmp_gt_u32_e64 s[18:19], 8, v4
	v_cndmask_b32_e64 v6, 0, 1, s[18:19]
	v_lshlrev_b32_e32 v6, 3, v6
	v_add_lshl_u32 v6, v6, v1, 2
	ds_bpermute_b32 v6, v6, v5
	v_add_u32_e32 v4, 8, v4
	v_cmp_gt_u32_e64 s[18:19], s34, v4
	s_waitcnt lgkmcnt(0)
	v_add_f32_e32 v6, v5, v6
	v_cndmask_b32_e64 v4, v5, v6, s[18:19]
	v_cndmask_b32_e32 v2, v2, v4, vcc
.LBB5_46:
	s_or_b64 exec, exec, s[28:29]
	v_cmp_eq_u32_e64 s[18:19], 0, v0
	s_and_saveexec_b64 s[28:29], s[18:19]
	s_cbranch_execz .LBB5_48
; %bb.47:
	v_cvt_f32_i32_e32 v4, s37
	v_div_scale_f32 v5, s[34:35], v4, v4, v2
	v_rcp_f32_e32 v6, v5
	v_div_scale_f32 v7, vcc, v2, v4, v2
	s_mov_b32 s34, 0x800000
	v_fma_f32 v8, -v5, v6, 1.0
	v_fmac_f32_e32 v6, v8, v6
	v_mul_f32_e32 v8, v7, v6
	v_fma_f32 v9, -v5, v8, v7
	v_fmac_f32_e32 v8, v9, v6
	v_fma_f32 v5, -v5, v8, v7
	v_div_fmas_f32 v5, v5, v6, v8
	v_div_fixup_f32 v2, v5, v4, v2
	v_add_f32_e32 v2, s36, v2
	v_mul_f32_e32 v4, 0x4b800000, v2
	v_cmp_gt_f32_e32 vcc, s34, v2
	v_cndmask_b32_e32 v2, v2, v4, vcc
	v_rsq_f32_e32 v2, v2
	v_mul_f32_e32 v4, 0x45800000, v2
	v_cndmask_b32_e32 v2, v2, v4, vcc
	v_mov_b32_e32 v4, 0
	ds_write_b32 v4, v2 offset:256
.LBB5_48:
	s_or_b64 exec, exec, s[28:29]
	v_mov_b32_e32 v15, 0
	s_waitcnt lgkmcnt(0)
	s_barrier
	ds_read_b32 v2, v15 offset:256
	s_and_saveexec_b64 s[28:29], s[0:1]
	s_cbranch_execz .LBB5_58
; %bb.49:
	v_mov_b32_e32 v5, 0
	s_add_i32 s52, s50, s50
	s_mul_i32 s36, s50, 3
	s_lshl_b32 s51, s50, 1
	s_mov_b64 s[34:35], 0
	v_mov_b32_e32 v16, s48
	v_mov_b32_e32 v17, s31
	s_add_i32 s52, s52, s50
	v_mov_b32_e32 v4, v0
	v_mov_b32_e32 v15, v5
                                        ; implicit-def: $sgpr38_sgpr39
	s_branch .LBB5_53
.LBB5_50:                               ;   in Loop: Header=BB5_53 Depth=1
	s_or_b64 exec, exec, s[44:45]
	s_orn2_b64 s[44:45], s[46:47], exec
.LBB5_51:                               ;   in Loop: Header=BB5_53 Depth=1
	s_or_b64 exec, exec, s[42:43]
	s_andn2_b64 s[38:39], s[38:39], exec
	s_and_b64 s[42:43], s[44:45], exec
	s_or_b64 s[38:39], s[38:39], s[42:43]
.LBB5_52:                               ;   in Loop: Header=BB5_53 Depth=1
	s_or_b64 exec, exec, s[40:41]
	s_and_b64 s[40:41], exec, s[38:39]
	s_or_b64 s[34:35], s[40:41], s[34:35]
	s_andn2_b64 exec, exec, s[34:35]
	s_cbranch_execz .LBB5_57
.LBB5_53:                               ; =>This Inner Loop Header: Depth=1
	v_lshlrev_b64 v[6:7], 4, v[4:5]
	v_add_co_u32_e32 v8, vcc, s33, v6
	v_addc_co_u32_e32 v9, vcc, v16, v7, vcc
	v_add_co_u32_e32 v6, vcc, s30, v6
	global_load_dwordx4 v[18:21], v[8:9], off
	v_addc_co_u32_e32 v7, vcc, v17, v7, vcc
	global_load_dwordx4 v[22:25], v[6:7], off
	v_add_u32_e32 v6, s50, v4
	v_cmp_gt_u32_e32 vcc, s49, v6
	s_or_b64 s[38:39], s[38:39], exec
	s_waitcnt vmcnt(1) lgkmcnt(0)
	v_mul_f32_e32 v7, v2, v18
	v_mul_f32_e32 v8, v2, v19
	;; [unrolled: 1-line block ×4, first 2 shown]
	s_waitcnt vmcnt(0)
	v_mul_f32_e32 v7, v7, v22
	v_mul_f32_e32 v8, v8, v23
	;; [unrolled: 1-line block ×4, first 2 shown]
	v_max3_f32 v7, v15, |v7|, |v8|
	v_max3_f32 v15, v7, |v9|, |v18|
	s_and_saveexec_b64 s[40:41], vcc
	s_cbranch_execz .LBB5_52
; %bb.54:                               ;   in Loop: Header=BB5_53 Depth=1
	v_mov_b32_e32 v7, v5
	v_lshlrev_b64 v[8:9], 4, v[6:7]
	v_add_co_u32_e32 v18, vcc, s33, v8
	v_addc_co_u32_e32 v19, vcc, v16, v9, vcc
	v_add_co_u32_e32 v8, vcc, s30, v8
	global_load_dwordx4 v[18:21], v[18:19], off
	v_addc_co_u32_e32 v9, vcc, v17, v9, vcc
	global_load_dwordx4 v[22:25], v[8:9], off
	v_add_u32_e32 v8, s51, v4
	v_cmp_gt_u32_e32 vcc, s49, v8
	s_mov_b64 s[44:45], -1
	s_waitcnt vmcnt(1)
	v_mul_f32_e32 v7, v2, v18
	v_mul_f32_e32 v9, v2, v19
	v_mul_f32_e32 v18, v2, v20
	v_mul_f32_e32 v19, v2, v21
	s_waitcnt vmcnt(0)
	v_mul_f32_e32 v7, v7, v22
	v_mul_f32_e32 v9, v9, v23
	;; [unrolled: 1-line block ×4, first 2 shown]
	v_max3_f32 v7, v15, |v7|, |v9|
	v_max3_f32 v15, v7, |v18|, |v19|
	s_and_saveexec_b64 s[42:43], vcc
	s_cbranch_execz .LBB5_51
; %bb.55:                               ;   in Loop: Header=BB5_53 Depth=1
	v_mov_b32_e32 v9, v5
	v_lshlrev_b64 v[8:9], 4, v[8:9]
	v_add_co_u32_e32 v18, vcc, s33, v8
	v_addc_co_u32_e32 v19, vcc, v16, v9, vcc
	v_add_co_u32_e32 v8, vcc, s30, v8
	global_load_dwordx4 v[18:21], v[18:19], off
	v_addc_co_u32_e32 v9, vcc, v17, v9, vcc
	global_load_dwordx4 v[22:25], v[8:9], off
	v_add_u32_e32 v4, s36, v4
	v_cmp_gt_u32_e32 vcc, s49, v4
	s_mov_b64 s[46:47], -1
	s_waitcnt vmcnt(1)
	v_mul_f32_e32 v7, v2, v18
	v_mul_f32_e32 v8, v2, v19
	;; [unrolled: 1-line block ×4, first 2 shown]
	s_waitcnt vmcnt(0)
	v_mul_f32_e32 v7, v7, v22
	v_mul_f32_e32 v8, v8, v23
	;; [unrolled: 1-line block ×4, first 2 shown]
	v_max3_f32 v7, v15, |v7|, |v8|
	v_max3_f32 v15, v7, |v9|, |v18|
	s_and_saveexec_b64 s[44:45], vcc
	s_xor_b64 s[44:45], exec, s[44:45]
	s_cbranch_execz .LBB5_50
; %bb.56:                               ;   in Loop: Header=BB5_53 Depth=1
	v_lshlrev_b64 v[8:9], 4, v[4:5]
	v_add_co_u32_e32 v18, vcc, s33, v8
	v_addc_co_u32_e32 v19, vcc, v16, v9, vcc
	v_add_co_u32_e32 v8, vcc, s30, v8
	global_load_dwordx4 v[18:21], v[18:19], off
	v_addc_co_u32_e32 v9, vcc, v17, v9, vcc
	global_load_dwordx4 v[22:25], v[8:9], off
	v_add_u32_e32 v4, s52, v6
	v_cmp_le_u32_e32 vcc, s49, v4
	s_orn2_b64 s[46:47], vcc, exec
	s_waitcnt vmcnt(1)
	v_mul_f32_e32 v6, v2, v18
	v_mul_f32_e32 v7, v2, v19
	;; [unrolled: 1-line block ×4, first 2 shown]
	s_waitcnt vmcnt(0)
	v_mul_f32_e32 v6, v6, v22
	v_mul_f32_e32 v7, v7, v23
	;; [unrolled: 1-line block ×4, first 2 shown]
	v_max3_f32 v6, v15, |v6|, |v7|
	v_max3_f32 v15, v6, |v8|, |v9|
	s_branch .LBB5_50
.LBB5_57:
	s_or_b64 exec, exec, s[34:35]
.LBB5_58:
	s_or_b64 exec, exec, s[28:29]
	ds_bpermute_b32 v3, v3, v15
	s_waitcnt lgkmcnt(0)
	v_cmp_lt_f32_e32 vcc, v15, v3
	v_cndmask_b32_e32 v3, v15, v3, vcc
	v_cndmask_b32_e64 v3, v15, v3, s[2:3]
	ds_bpermute_b32 v4, v10, v3
	s_or_b64 s[2:3], s[2:3], s[4:5]
	s_or_b64 s[2:3], s[8:9], s[2:3]
	;; [unrolled: 1-line block ×4, first 2 shown]
	s_waitcnt lgkmcnt(0)
	v_cmp_lt_f32_e32 vcc, v3, v4
	v_cndmask_b32_e32 v4, v3, v4, vcc
	v_cndmask_b32_e64 v3, v3, v4, s[4:5]
	ds_bpermute_b32 v4, v11, v3
	s_waitcnt lgkmcnt(0)
	v_cmp_lt_f32_e32 vcc, v3, v4
	v_cndmask_b32_e32 v4, v3, v4, vcc
	v_cndmask_b32_e64 v3, v3, v4, s[8:9]
	ds_bpermute_b32 v4, v12, v3
	;; [unrolled: 5-line block ×4, first 2 shown]
	s_waitcnt lgkmcnt(0)
	v_cmp_lt_f32_e32 vcc, v3, v4
	s_and_b64 vcc, s[20:21], vcc
	v_cndmask_b32_e32 v3, v3, v4, vcc
	s_or_b64 vcc, s[20:21], s[2:3]
	v_cndmask_b32_e32 v3, v15, v3, vcc
	s_and_saveexec_b64 s[2:3], s[14:15]
	s_cbranch_execz .LBB5_60
; %bb.59:
	v_lshrrev_b32_e32 v4, 4, v0
	v_and_b32_e32 v4, 60, v4
	ds_write_b32 v4, v3 offset:64
.LBB5_60:
	s_or_b64 exec, exec, s[2:3]
	s_waitcnt lgkmcnt(0)
	s_barrier
	s_and_saveexec_b64 s[8:9], s[16:17]
	s_cbranch_execz .LBB5_62
; %bb.61:
	v_lshlrev_b32_e32 v3, 2, v1
	ds_read_b32 v3, v3 offset:64
	v_and_b32_e32 v4, 15, v1
	v_cmp_ne_u32_e32 vcc, 15, v4
	v_addc_co_u32_e32 v5, vcc, 0, v1, vcc
	v_lshlrev_b32_e32 v5, 2, v5
	s_waitcnt lgkmcnt(0)
	ds_bpermute_b32 v5, v5, v3
	s_add_i32 s2, s50, 63
	s_lshr_b32 s4, s2, 6
	v_add_u32_e32 v6, 1, v4
	v_cmp_gt_u32_e64 s[2:3], 14, v4
	s_waitcnt lgkmcnt(0)
	v_cmp_lt_f32_e32 vcc, v3, v5
	v_cndmask_b32_e32 v5, v3, v5, vcc
	v_cmp_gt_u32_e32 vcc, s4, v6
	v_cndmask_b32_e64 v6, 0, 1, s[2:3]
	v_lshlrev_b32_e32 v6, 1, v6
	v_cndmask_b32_e32 v5, v3, v5, vcc
	v_add_lshl_u32 v6, v6, v1, 2
	ds_bpermute_b32 v6, v6, v5
	v_add_u32_e32 v7, 2, v4
	s_waitcnt lgkmcnt(0)
	v_cmp_lt_f32_e64 s[2:3], v5, v6
	v_cndmask_b32_e64 v6, v5, v6, s[2:3]
	v_cmp_gt_u32_e64 s[2:3], s4, v7
	v_cndmask_b32_e64 v5, v5, v6, s[2:3]
	v_cmp_gt_u32_e64 s[2:3], 12, v4
	v_cndmask_b32_e64 v6, 0, 1, s[2:3]
	v_lshlrev_b32_e32 v6, 2, v6
	v_add_lshl_u32 v6, v6, v1, 2
	ds_bpermute_b32 v6, v6, v5
	v_add_u32_e32 v7, 4, v4
	s_waitcnt lgkmcnt(0)
	v_cmp_lt_f32_e64 s[2:3], v5, v6
	v_cndmask_b32_e64 v6, v5, v6, s[2:3]
	v_cmp_gt_u32_e64 s[2:3], s4, v7
	v_cndmask_b32_e64 v5, v5, v6, s[2:3]
	v_cmp_gt_u32_e64 s[2:3], 8, v4
	v_cndmask_b32_e64 v6, 0, 1, s[2:3]
	v_lshlrev_b32_e32 v6, 3, v6
	v_add_lshl_u32 v1, v6, v1, 2
	ds_bpermute_b32 v1, v1, v5
	v_add_u32_e32 v4, 8, v4
	v_cmp_gt_u32_e64 s[2:3], s4, v4
	s_waitcnt lgkmcnt(0)
	v_cmp_lt_f32_e64 s[4:5], v5, v1
	s_and_b64 s[2:3], s[2:3], s[4:5]
	v_cndmask_b32_e64 v1, v5, v1, s[2:3]
	v_cndmask_b32_e32 v3, v3, v1, vcc
.LBB5_62:
	s_or_b64 exec, exec, s[8:9]
	s_and_saveexec_b64 s[2:3], s[18:19]
	s_cbranch_execz .LBB5_66
; %bb.63:
	s_cmp_eq_u64 s[22:23], 0
	s_cbranch_scc1 .LBB5_65
; %bb.64:
	s_load_dword s4, s[22:23], 0x0
	v_max_f32_e32 v1, v3, v3
	s_waitcnt lgkmcnt(0)
	v_max_f32_e64 v3, s4, s4
	v_min_f32_e32 v3, v1, v3
.LBB5_65:
	s_mov_b32 s8, 0x42fe0000
	v_div_scale_f32 v1, s[4:5], s8, s8, v3
	v_rcp_f32_e32 v4, v1
	v_div_scale_f32 v5, vcc, v3, s8, v3
	s_lshl_b64 s[4:5], s[6:7], 2
	v_fma_f32 v6, -v1, v4, 1.0
	v_fmac_f32_e32 v4, v6, v4
	v_mul_f32_e32 v6, v5, v4
	v_fma_f32 v7, -v1, v6, v5
	v_fmac_f32_e32 v6, v7, v4
	v_fma_f32 v1, -v1, v6, v5
	v_div_fmas_f32 v1, v1, v4, v6
	v_div_fixup_f32 v1, v1, s8, v3
	s_add_u32 s4, s26, s4
	v_max_f32_e32 v1, 0x34000000, v1
	v_mov_b32_e32 v3, 0
	s_addc_u32 s5, s27, s5
	ds_write_b32 v3, v1 offset:260
	global_store_dword v3, v1, s[4:5]
.LBB5_66:
	s_or_b64 exec, exec, s[2:3]
	s_waitcnt lgkmcnt(0)
	s_barrier
	s_and_saveexec_b64 s[2:3], s[0:1]
	s_cbranch_execz .LBB5_75
; %bb.67:
	v_mov_b32_e32 v1, 0
	ds_read_b32 v3, v1 offset:260
	s_ashr_i32 s2, s37, 31
	s_mul_hi_u32 s3, s37, s6
	s_mul_i32 s2, s2, s6
	s_add_i32 s3, s3, s2
	s_waitcnt lgkmcnt(0)
	v_div_scale_f32 v4, s[0:1], v3, v3, 1.0
	v_rcp_f32_e32 v5, v4
	v_div_scale_f32 v6, vcc, 1.0, v3, 1.0
	s_mul_i32 s0, s37, s6
	v_fma_f32 v7, -v4, v5, 1.0
	v_fmac_f32_e32 v5, v7, v5
	v_mul_f32_e32 v7, v6, v5
	v_fma_f32 v8, -v4, v7, v6
	v_fmac_f32_e32 v7, v8, v5
	v_fma_f32 v4, -v4, v7, v6
	v_div_fmas_f32 v4, v4, v5, v7
	s_add_u32 s12, s24, s0
	v_div_fixup_f32 v4, v4, v3, 1.0
	s_addc_u32 s13, s25, s3
	s_add_i32 s18, s50, s50
	v_mov_b32_e32 v3, v2
	v_mov_b32_e32 v5, v4
	s_mul_i32 s14, s50, 3
	s_lshl_b32 s15, s50, 1
	s_mov_b64 s[2:3], 0
	v_mov_b32_e32 v10, s48
	v_mov_b32_e32 v11, s31
	s_mov_b32 s16, 0x42fe0000
	v_mov_b32_e32 v12, 0x42fe0000
	s_mov_b32 s17, 0xc3000000
	v_mov_b32_e32 v13, 0xc3000000
	v_mov_b32_e32 v14, s13
	s_add_i32 s18, s18, s50
	v_mov_b32_e32 v15, 8
                                        ; implicit-def: $sgpr4_sgpr5
	s_branch .LBB5_71
.LBB5_68:                               ;   in Loop: Header=BB5_71 Depth=1
	s_or_b64 exec, exec, s[10:11]
	s_orn2_b64 s[0:1], s[0:1], exec
.LBB5_69:                               ;   in Loop: Header=BB5_71 Depth=1
	s_or_b64 exec, exec, s[8:9]
	s_andn2_b64 s[4:5], s[4:5], exec
	s_and_b64 s[0:1], s[0:1], exec
	s_or_b64 s[4:5], s[4:5], s[0:1]
.LBB5_70:                               ;   in Loop: Header=BB5_71 Depth=1
	s_or_b64 exec, exec, s[6:7]
	s_and_b64 s[0:1], exec, s[4:5]
	s_or_b64 s[2:3], s[0:1], s[2:3]
	s_andn2_b64 exec, exec, s[2:3]
	s_cbranch_execz .LBB5_75
.LBB5_71:                               ; =>This Inner Loop Header: Depth=1
	v_lshlrev_b64 v[6:7], 4, v[0:1]
	v_add_co_u32_e32 v8, vcc, s33, v6
	v_addc_co_u32_e32 v9, vcc, v10, v7, vcc
	v_add_co_u32_e32 v6, vcc, s30, v6
	global_load_dwordx4 v[16:19], v[8:9], off
	v_addc_co_u32_e32 v7, vcc, v11, v7, vcc
	global_load_dwordx4 v[20:23], v[6:7], off
	v_lshlrev_b64 v[8:9], 2, v[0:1]
	v_add_co_u32_e32 v8, vcc, s12, v8
	v_add_u32_e32 v6, s50, v0
	v_addc_co_u32_e32 v9, vcc, v14, v9, vcc
	v_cmp_gt_u32_e32 vcc, s49, v6
	s_or_b64 s[4:5], s[4:5], exec
	s_waitcnt vmcnt(1)
	v_mul_f32_e32 v7, v2, v16
	v_mul_f32_e32 v24, v2, v17
	v_pk_mul_f32 v[16:17], v[2:3], v[18:19]
	s_waitcnt vmcnt(0)
	v_mul_f32_e32 v7, v7, v20
	v_mul_f32_e32 v18, v24, v21
	v_mul_f32_e32 v7, v4, v7
	v_pk_mul_f32 v[16:17], v[16:17], v[22:23]
	v_mul_f32_e32 v18, v4, v18
	v_rndne_f32_e32 v7, v7
	v_pk_mul_f32 v[16:17], v[4:5], v[16:17]
	v_rndne_f32_e32 v18, v18
	v_cmp_nlt_f32_e64 s[0:1], s16, v7
	v_rndne_f32_e32 v17, v17
	v_cndmask_b32_e64 v19, v12, v7, s[0:1]
	v_cmp_nlt_f32_e64 s[0:1], s16, v18
	v_rndne_f32_e32 v16, v16
	v_cndmask_b32_e64 v20, v12, v18, s[0:1]
	v_cmp_nlt_f32_e64 s[0:1], s16, v17
	v_cndmask_b32_e64 v21, v12, v17, s[0:1]
	v_cmp_nlt_f32_e64 s[0:1], s16, v16
	v_cndmask_b32_e64 v22, v12, v16, s[0:1]
	v_cmp_ngt_f32_e64 s[0:1], s17, v7
	v_cndmask_b32_e64 v7, v13, v19, s[0:1]
	v_cmp_ngt_f32_e64 s[0:1], s17, v18
	;; [unrolled: 2-line block ×4, first 2 shown]
	v_cvt_i32_f32_e32 v16, v16
	v_cndmask_b32_e64 v17, v13, v21, s[0:1]
	v_cvt_i32_f32_e32 v18, v18
	v_cvt_i32_f32_e32 v7, v7
	;; [unrolled: 1-line block ×3, first 2 shown]
	v_and_b32_e32 v16, 0xff, v16
	v_lshlrev_b32_e32 v16, 16, v16
	v_lshlrev_b32_sdwa v18, v15, v18 dst_sel:DWORD dst_unused:UNUSED_PAD src0_sel:DWORD src1_sel:BYTE_0
	v_and_b32_e32 v7, 0xff, v7
	v_lshl_or_b32 v16, v17, 24, v16
	v_or3_b32 v7, v16, v18, v7
	global_store_dword v[8:9], v7, off
	s_and_saveexec_b64 s[6:7], vcc
	s_cbranch_execz .LBB5_70
; %bb.72:                               ;   in Loop: Header=BB5_71 Depth=1
	v_mov_b32_e32 v7, v1
	v_lshlrev_b64 v[8:9], 4, v[6:7]
	v_add_co_u32_e32 v16, vcc, s33, v8
	v_addc_co_u32_e32 v17, vcc, v10, v9, vcc
	v_add_co_u32_e32 v8, vcc, s30, v8
	global_load_dwordx4 v[16:19], v[16:17], off
	v_addc_co_u32_e32 v9, vcc, v11, v9, vcc
	global_load_dwordx4 v[20:23], v[8:9], off
	v_lshlrev_b64 v[24:25], 2, v[6:7]
	v_add_co_u32_e64 v24, s[0:1], s12, v24
	v_addc_co_u32_e64 v25, s[0:1], v14, v25, s[0:1]
	v_add_u32_e32 v8, s15, v0
	v_cmp_gt_u32_e32 vcc, s49, v8
	s_waitcnt vmcnt(1)
	v_mul_f32_e32 v7, v2, v16
	v_mul_f32_e32 v9, v2, v17
	v_pk_mul_f32 v[16:17], v[2:3], v[18:19]
	s_waitcnt vmcnt(0)
	v_mul_f32_e32 v7, v7, v20
	v_mul_f32_e32 v9, v9, v21
	v_mul_f32_e32 v7, v4, v7
	v_pk_mul_f32 v[16:17], v[16:17], v[22:23]
	v_mul_f32_e32 v9, v4, v9
	v_rndne_f32_e32 v7, v7
	v_pk_mul_f32 v[16:17], v[4:5], v[16:17]
	v_rndne_f32_e32 v9, v9
	v_cmp_nlt_f32_e64 s[0:1], s16, v7
	v_rndne_f32_e32 v17, v17
	v_cndmask_b32_e64 v18, v12, v7, s[0:1]
	v_cmp_nlt_f32_e64 s[0:1], s16, v9
	v_rndne_f32_e32 v16, v16
	v_cndmask_b32_e64 v19, v12, v9, s[0:1]
	v_cmp_nlt_f32_e64 s[0:1], s16, v17
	v_cndmask_b32_e64 v20, v12, v17, s[0:1]
	v_cmp_nlt_f32_e64 s[0:1], s16, v16
	v_cndmask_b32_e64 v21, v12, v16, s[0:1]
	v_cmp_ngt_f32_e64 s[0:1], s17, v7
	v_cndmask_b32_e64 v7, v13, v18, s[0:1]
	v_cmp_ngt_f32_e64 s[0:1], s17, v9
	;; [unrolled: 2-line block ×4, first 2 shown]
	v_cvt_i32_f32_e32 v16, v16
	v_cndmask_b32_e64 v17, v13, v20, s[0:1]
	v_cvt_i32_f32_e32 v9, v9
	v_cvt_i32_f32_e32 v7, v7
	;; [unrolled: 1-line block ×3, first 2 shown]
	v_and_b32_e32 v16, 0xff, v16
	v_lshlrev_b32_e32 v16, 16, v16
	v_lshlrev_b32_sdwa v9, v15, v9 dst_sel:DWORD dst_unused:UNUSED_PAD src0_sel:DWORD src1_sel:BYTE_0
	v_and_b32_e32 v7, 0xff, v7
	v_lshl_or_b32 v16, v17, 24, v16
	v_or3_b32 v7, v16, v9, v7
	s_mov_b64 s[0:1], -1
	global_store_dword v[24:25], v7, off
	s_and_saveexec_b64 s[8:9], vcc
	s_cbranch_execz .LBB5_69
; %bb.73:                               ;   in Loop: Header=BB5_71 Depth=1
	v_mov_b32_e32 v9, v1
	v_lshlrev_b64 v[20:21], 4, v[8:9]
	v_mov_b32_e32 v7, s48
	v_add_co_u32_e32 v16, vcc, s33, v20
	v_addc_co_u32_e32 v17, vcc, v7, v21, vcc
	v_mov_b32_e32 v7, s31
	v_add_co_u32_e32 v20, vcc, s30, v20
	global_load_dwordx4 v[16:19], v[16:17], off
	v_addc_co_u32_e32 v21, vcc, v7, v21, vcc
	global_load_dwordx4 v[20:23], v[20:21], off
	v_lshlrev_b64 v[8:9], 2, v[8:9]
	v_mov_b32_e32 v7, s13
	v_add_co_u32_e64 v8, s[0:1], s12, v8
	v_addc_co_u32_e64 v9, s[0:1], v7, v9, s[0:1]
	v_add_u32_e32 v0, s14, v0
	v_cmp_gt_u32_e32 vcc, s49, v0
	s_waitcnt vmcnt(1)
	v_mul_f32_e32 v7, v2, v16
	v_mul_f32_e32 v24, v2, v17
	v_pk_mul_f32 v[16:17], v[2:3], v[18:19]
	s_waitcnt vmcnt(0)
	v_mul_f32_e32 v7, v7, v20
	v_mul_f32_e32 v18, v24, v21
	;; [unrolled: 1-line block ×3, first 2 shown]
	v_pk_mul_f32 v[16:17], v[16:17], v[22:23]
	v_mul_f32_e32 v18, v4, v18
	v_rndne_f32_e32 v7, v7
	v_pk_mul_f32 v[16:17], v[4:5], v[16:17]
	v_rndne_f32_e32 v18, v18
	v_cmp_nlt_f32_e64 s[0:1], s16, v7
	v_rndne_f32_e32 v17, v17
	v_cndmask_b32_e64 v19, v12, v7, s[0:1]
	v_cmp_nlt_f32_e64 s[0:1], s16, v18
	v_rndne_f32_e32 v16, v16
	v_cndmask_b32_e64 v20, v12, v18, s[0:1]
	v_cmp_nlt_f32_e64 s[0:1], s16, v17
	v_cndmask_b32_e64 v21, v12, v17, s[0:1]
	v_cmp_nlt_f32_e64 s[0:1], s16, v16
	v_cndmask_b32_e64 v22, v12, v16, s[0:1]
	v_cmp_ngt_f32_e64 s[0:1], s17, v7
	v_cndmask_b32_e64 v7, v13, v19, s[0:1]
	v_cmp_ngt_f32_e64 s[0:1], s17, v18
	;; [unrolled: 2-line block ×4, first 2 shown]
	v_cvt_i32_f32_e32 v16, v16
	v_cndmask_b32_e64 v17, v13, v21, s[0:1]
	v_cvt_i32_f32_e32 v18, v18
	v_cvt_i32_f32_e32 v7, v7
	;; [unrolled: 1-line block ×3, first 2 shown]
	v_and_b32_e32 v16, 0xff, v16
	v_lshlrev_b32_e32 v16, 16, v16
	v_lshlrev_b32_sdwa v18, v15, v18 dst_sel:DWORD dst_unused:UNUSED_PAD src0_sel:DWORD src1_sel:BYTE_0
	v_and_b32_e32 v7, 0xff, v7
	v_lshl_or_b32 v16, v17, 24, v16
	v_or3_b32 v7, v16, v18, v7
	s_mov_b64 s[0:1], -1
	global_store_dword v[8:9], v7, off
	s_and_saveexec_b64 s[10:11], vcc
	s_cbranch_execz .LBB5_68
; %bb.74:                               ;   in Loop: Header=BB5_71 Depth=1
	v_lshlrev_b64 v[8:9], 4, v[0:1]
	v_mov_b32_e32 v7, s48
	v_add_co_u32_e32 v16, vcc, s33, v8
	v_addc_co_u32_e32 v17, vcc, v7, v9, vcc
	v_mov_b32_e32 v7, s31
	v_add_co_u32_e32 v8, vcc, s30, v8
	global_load_dwordx4 v[16:19], v[16:17], off
	v_addc_co_u32_e32 v9, vcc, v7, v9, vcc
	global_load_dwordx4 v[20:23], v[8:9], off
	v_lshlrev_b64 v[8:9], 2, v[0:1]
	v_mov_b32_e32 v7, s13
	v_add_u32_e32 v0, s18, v6
	v_add_co_u32_e32 v6, vcc, s12, v8
	v_addc_co_u32_e32 v7, vcc, v7, v9, vcc
	v_cmp_le_u32_e32 vcc, s49, v0
	s_waitcnt vmcnt(1)
	v_mul_f32_e32 v16, v2, v16
	v_mul_f32_e32 v17, v2, v17
	v_pk_mul_f32 v[8:9], v[2:3], v[18:19]
	s_waitcnt vmcnt(0)
	v_mul_f32_e32 v16, v16, v20
	v_mul_f32_e32 v17, v17, v21
	;; [unrolled: 1-line block ×3, first 2 shown]
	v_pk_mul_f32 v[8:9], v[8:9], v[22:23]
	v_mul_f32_e32 v17, v4, v17
	v_rndne_f32_e32 v16, v16
	v_pk_mul_f32 v[8:9], v[4:5], v[8:9]
	v_rndne_f32_e32 v17, v17
	v_cmp_nlt_f32_e64 s[0:1], s16, v16
	v_rndne_f32_e32 v9, v9
	v_cndmask_b32_e64 v18, v12, v16, s[0:1]
	v_cmp_nlt_f32_e64 s[0:1], s16, v17
	v_rndne_f32_e32 v8, v8
	v_cndmask_b32_e64 v19, v12, v17, s[0:1]
	v_cmp_nlt_f32_e64 s[0:1], s16, v9
	v_cndmask_b32_e64 v20, v12, v9, s[0:1]
	v_cmp_nlt_f32_e64 s[0:1], s16, v8
	v_cndmask_b32_e64 v21, v12, v8, s[0:1]
	v_cmp_ngt_f32_e64 s[0:1], s17, v16
	v_cndmask_b32_e64 v16, v13, v18, s[0:1]
	v_cmp_ngt_f32_e64 s[0:1], s17, v17
	;; [unrolled: 2-line block ×4, first 2 shown]
	v_cvt_i32_f32_e32 v8, v8
	v_cndmask_b32_e64 v9, v13, v20, s[0:1]
	v_cvt_i32_f32_e32 v17, v17
	v_cvt_i32_f32_e32 v16, v16
	;; [unrolled: 1-line block ×3, first 2 shown]
	v_and_b32_e32 v8, 0xff, v8
	v_lshlrev_b32_e32 v8, 16, v8
	v_lshlrev_b32_sdwa v17, v15, v17 dst_sel:DWORD dst_unused:UNUSED_PAD src0_sel:DWORD src1_sel:BYTE_0
	v_and_b32_e32 v16, 0xff, v16
	v_lshl_or_b32 v8, v9, 24, v8
	v_or3_b32 v8, v8, v17, v16
	s_orn2_b64 s[0:1], vcc, exec
	global_store_dword v[6:7], v8, off
	s_branch .LBB5_68
.LBB5_75:
	s_endpgm
	.section	.rodata,"a",@progbits
	.p2align	6, 0x0
	.amdhsa_kernel _ZN4vllm39rms_norm_dynamic_per_token_quant_kernelIfaLb0EEEvPT0_PfPKT_S6_PKffiiPS4_
		.amdhsa_group_segment_fixed_size 272
		.amdhsa_private_segment_fixed_size 0
		.amdhsa_kernarg_size 320
		.amdhsa_user_sgpr_count 6
		.amdhsa_user_sgpr_private_segment_buffer 1
		.amdhsa_user_sgpr_dispatch_ptr 0
		.amdhsa_user_sgpr_queue_ptr 0
		.amdhsa_user_sgpr_kernarg_segment_ptr 1
		.amdhsa_user_sgpr_dispatch_id 0
		.amdhsa_user_sgpr_flat_scratch_init 0
		.amdhsa_user_sgpr_kernarg_preload_length 0
		.amdhsa_user_sgpr_kernarg_preload_offset 0
		.amdhsa_user_sgpr_private_segment_size 0
		.amdhsa_uses_dynamic_stack 0
		.amdhsa_system_sgpr_private_segment_wavefront_offset 0
		.amdhsa_system_sgpr_workgroup_id_x 1
		.amdhsa_system_sgpr_workgroup_id_y 0
		.amdhsa_system_sgpr_workgroup_id_z 0
		.amdhsa_system_sgpr_workgroup_info 0
		.amdhsa_system_vgpr_workitem_id 0
		.amdhsa_next_free_vgpr 29
		.amdhsa_next_free_sgpr 53
		.amdhsa_accum_offset 32
		.amdhsa_reserve_vcc 1
		.amdhsa_reserve_flat_scratch 0
		.amdhsa_float_round_mode_32 0
		.amdhsa_float_round_mode_16_64 0
		.amdhsa_float_denorm_mode_32 3
		.amdhsa_float_denorm_mode_16_64 3
		.amdhsa_dx10_clamp 1
		.amdhsa_ieee_mode 1
		.amdhsa_fp16_overflow 0
		.amdhsa_tg_split 0
		.amdhsa_exception_fp_ieee_invalid_op 0
		.amdhsa_exception_fp_denorm_src 0
		.amdhsa_exception_fp_ieee_div_zero 0
		.amdhsa_exception_fp_ieee_overflow 0
		.amdhsa_exception_fp_ieee_underflow 0
		.amdhsa_exception_fp_ieee_inexact 0
		.amdhsa_exception_int_div_zero 0
	.end_amdhsa_kernel
	.section	.text._ZN4vllm39rms_norm_dynamic_per_token_quant_kernelIfaLb0EEEvPT0_PfPKT_S6_PKffiiPS4_,"axG",@progbits,_ZN4vllm39rms_norm_dynamic_per_token_quant_kernelIfaLb0EEEvPT0_PfPKT_S6_PKffiiPS4_,comdat
.Lfunc_end5:
	.size	_ZN4vllm39rms_norm_dynamic_per_token_quant_kernelIfaLb0EEEvPT0_PfPKT_S6_PKffiiPS4_, .Lfunc_end5-_ZN4vllm39rms_norm_dynamic_per_token_quant_kernelIfaLb0EEEvPT0_PfPKT_S6_PKffiiPS4_
                                        ; -- End function
	.section	.AMDGPU.csdata,"",@progbits
; Kernel info:
; codeLenInByte = 6904
; NumSgprs: 57
; NumVgprs: 29
; NumAgprs: 0
; TotalNumVgprs: 29
; ScratchSize: 0
; MemoryBound: 0
; FloatMode: 240
; IeeeMode: 1
; LDSByteSize: 272 bytes/workgroup (compile time only)
; SGPRBlocks: 7
; VGPRBlocks: 3
; NumSGPRsForWavesPerEU: 57
; NumVGPRsForWavesPerEU: 29
; AccumOffset: 32
; Occupancy: 8
; WaveLimiterHint : 0
; COMPUTE_PGM_RSRC2:SCRATCH_EN: 0
; COMPUTE_PGM_RSRC2:USER_SGPR: 6
; COMPUTE_PGM_RSRC2:TRAP_HANDLER: 0
; COMPUTE_PGM_RSRC2:TGID_X_EN: 1
; COMPUTE_PGM_RSRC2:TGID_Y_EN: 0
; COMPUTE_PGM_RSRC2:TGID_Z_EN: 0
; COMPUTE_PGM_RSRC2:TIDIG_COMP_CNT: 0
; COMPUTE_PGM_RSRC3_GFX90A:ACCUM_OFFSET: 7
; COMPUTE_PGM_RSRC3_GFX90A:TG_SPLIT: 0
	.section	.text._ZN4vllm39rms_norm_dynamic_per_token_quant_kernelIN3c104HalfENS1_13Float8_e4m3fnELb1EEEvPT0_PfPKT_S9_PKffiiPS7_,"axG",@progbits,_ZN4vllm39rms_norm_dynamic_per_token_quant_kernelIN3c104HalfENS1_13Float8_e4m3fnELb1EEEvPT0_PfPKT_S9_PKffiiPS7_,comdat
	.protected	_ZN4vllm39rms_norm_dynamic_per_token_quant_kernelIN3c104HalfENS1_13Float8_e4m3fnELb1EEEvPT0_PfPKT_S9_PKffiiPS7_ ; -- Begin function _ZN4vllm39rms_norm_dynamic_per_token_quant_kernelIN3c104HalfENS1_13Float8_e4m3fnELb1EEEvPT0_PfPKT_S9_PKffiiPS7_
	.globl	_ZN4vllm39rms_norm_dynamic_per_token_quant_kernelIN3c104HalfENS1_13Float8_e4m3fnELb1EEEvPT0_PfPKT_S9_PKffiiPS7_
	.p2align	8
	.type	_ZN4vllm39rms_norm_dynamic_per_token_quant_kernelIN3c104HalfENS1_13Float8_e4m3fnELb1EEEvPT0_PfPKT_S9_PKffiiPS7_,@function
_ZN4vllm39rms_norm_dynamic_per_token_quant_kernelIN3c104HalfENS1_13Float8_e4m3fnELb1EEEvPT0_PfPKT_S9_PKffiiPS7_: ; @_ZN4vllm39rms_norm_dynamic_per_token_quant_kernelIN3c104HalfENS1_13Float8_e4m3fnELb1EEEvPT0_PfPKT_S9_PKffiiPS7_
; %bb.0:
	s_load_dwordx4 s[36:39], s[4:5], 0x28
	s_load_dwordx2 s[22:23], s[4:5], 0x20
	s_load_dwordx8 s[24:31], s[4:5], 0x0
	s_load_dwordx2 s[40:41], s[4:5], 0x38
	s_waitcnt lgkmcnt(0)
	s_or_b32 s0, s38, s37
	s_and_b32 s0, s0, 3
	s_cmp_lg_u32 s0, 0
	s_cbranch_scc0 .LBB6_37
; %bb.1:
	v_cmp_gt_u32_e64 s[0:1], s37, v0
	v_cmp_le_u32_e64 s[2:3], s37, v0
                                        ; implicit-def: $sgpr7
                                        ; implicit-def: $sgpr10_sgpr11
	s_and_saveexec_b64 s[8:9], s[2:3]
	s_xor_b64 s[8:9], exec, s[8:9]
; %bb.2:
	s_add_u32 s10, s4, 64
	s_addc_u32 s11, s5, 0
	s_mov_b32 s7, 0
; %bb.3:
	s_or_saveexec_b64 s[8:9], s[8:9]
	v_mov_b32_e32 v5, s7
	v_pk_mov_b32 v[2:3], s[10:11], s[10:11] op_sel:[0,1]
	v_mov_b32_e32 v1, s6
	s_xor_b64 exec, exec, s[8:9]
	s_cbranch_execz .LBB6_7
; %bb.4:
	s_ashr_i32 s7, s37, 31
	s_mul_hi_u32 s10, s37, s6
	s_mul_i32 s7, s7, s6
	s_add_i32 s11, s10, s7
	s_ashr_i32 s7, s38, 31
	s_mul_hi_u32 s12, s38, s6
	s_mul_i32 s7, s7, s6
	s_add_i32 s13, s12, s7
	s_mul_i32 s12, s38, s6
	s_lshl_b64 s[12:13], s[12:13], 1
	s_mul_i32 s10, s37, s6
	s_add_u32 s7, s28, s12
	s_load_dword s12, s[4:5], 0x4c
	s_addc_u32 s16, s29, s13
	s_lshl_b64 s[10:11], s[10:11], 1
	s_add_u32 s14, s40, s10
	s_addc_u32 s17, s41, s11
	s_add_u32 s10, s4, 64
	s_addc_u32 s11, s5, 0
	s_waitcnt lgkmcnt(0)
	s_and_b32 s15, s12, 0xffff
	s_mov_b64 s[12:13], 0
	v_mov_b32_e32 v3, 0
	v_mov_b32_e32 v1, s16
	;; [unrolled: 1-line block ×5, first 2 shown]
.LBB6_5:                                ; =>This Inner Loop Header: Depth=1
	v_lshlrev_b64 v[6:7], 1, v[2:3]
	v_add_co_u32_e32 v8, vcc, s7, v6
	v_addc_co_u32_e32 v9, vcc, v1, v7, vcc
	v_add_co_u32_e32 v6, vcc, s14, v6
	v_addc_co_u32_e32 v7, vcc, v4, v7, vcc
	global_load_ushort v10, v[8:9], off
	global_load_ushort v11, v[6:7], off
	v_add_u32_e32 v2, s15, v2
	v_cmp_le_u32_e32 vcc, s37, v2
	s_or_b64 s[12:13], vcc, s[12:13]
	s_waitcnt vmcnt(1)
	v_cvt_f32_f16_e32 v6, v10
	s_waitcnt vmcnt(0)
	v_cvt_f32_f16_e32 v7, v11
	v_add_f32_e32 v6, v6, v7
	v_fmac_f32_e32 v5, v6, v6
	s_andn2_b64 exec, exec, s[12:13]
	s_cbranch_execnz .LBB6_5
; %bb.6:
	s_or_b64 exec, exec, s[12:13]
	v_pk_mov_b32 v[2:3], s[10:11], s[10:11] op_sel:[0,1]
	v_mov_b32_e32 v1, s6
.LBB6_7:
	s_or_b64 exec, exec, s[8:9]
	global_load_dword v4, v[2:3], off
	s_waitcnt vmcnt(0)
	v_cmp_lt_u32_e32 vcc, v1, v4
	v_cndmask_b32_e64 v1, 18, 12, vcc
	v_add_co_u32_e32 v2, vcc, v2, v1
	v_addc_co_u32_e32 v3, vcc, 0, v3, vcc
	global_load_ushort v2, v[2:3], off
	v_mbcnt_lo_u32_b32 v1, -1, 0
	v_mbcnt_hi_u32_b32 v1, -1, v1
	v_and_b32_e32 v3, 63, v1
	v_cmp_ne_u32_e32 vcc, 63, v3
	v_addc_co_u32_e32 v6, vcc, 0, v1, vcc
	v_lshlrev_b32_e32 v14, 2, v6
	ds_bpermute_b32 v6, v14, v5
	v_cmp_gt_u32_e32 vcc, 62, v3
	v_cndmask_b32_e64 v12, 0, 1, vcc
	v_and_b32_e32 v4, 0x3c0, v0
	v_lshlrev_b32_e32 v12, 1, v12
	v_add_u32_e32 v7, 1, v1
	v_add_lshl_u32 v13, v12, v1, 2
	s_waitcnt lgkmcnt(0)
	v_add_f32_e32 v6, v5, v6
	v_add_u32_e32 v8, 2, v1
	v_add_u32_e32 v10, 4, v1
	;; [unrolled: 1-line block ×5, first 2 shown]
	v_cmp_eq_u32_e64 s[8:9], 0, v1
	s_waitcnt vmcnt(0)
	v_sub_u32_e64 v12, v2, v4 clamp
	v_cmp_lt_u32_e32 vcc, v7, v12
	v_cndmask_b32_e32 v5, v5, v6, vcc
	ds_bpermute_b32 v6, v13, v5
	v_cmp_gt_u32_e32 vcc, 60, v3
	v_cndmask_b32_e64 v15, 0, 1, vcc
	v_lshlrev_b32_e32 v15, 2, v15
	v_cmp_lt_u32_e32 vcc, v8, v12
	s_waitcnt lgkmcnt(0)
	v_add_f32_e32 v6, v5, v6
	v_add_lshl_u32 v15, v15, v1, 2
	v_cndmask_b32_e32 v5, v5, v6, vcc
	ds_bpermute_b32 v6, v15, v5
	v_cmp_gt_u32_e32 vcc, 56, v3
	v_cndmask_b32_e64 v16, 0, 1, vcc
	v_lshlrev_b32_e32 v16, 3, v16
	v_cmp_lt_u32_e32 vcc, v10, v12
	s_waitcnt lgkmcnt(0)
	v_add_f32_e32 v6, v5, v6
	v_add_lshl_u32 v16, v16, v1, 2
	;; [unrolled: 9-line block ×3, first 2 shown]
	v_cndmask_b32_e32 v5, v5, v6, vcc
	ds_bpermute_b32 v6, v18, v5
	v_cmp_gt_u32_e32 vcc, 32, v3
	v_cndmask_b32_e64 v3, 0, 1, vcc
	v_lshlrev_b32_e32 v3, 5, v3
	v_add_lshl_u32 v17, v3, v1, 2
	s_waitcnt lgkmcnt(0)
	v_add_f32_e32 v3, v5, v6
	v_cmp_lt_u32_e32 vcc, v9, v12
	v_cndmask_b32_e32 v3, v5, v3, vcc
	ds_bpermute_b32 v5, v17, v3
	v_cmp_lt_u32_e32 vcc, v19, v12
	s_waitcnt lgkmcnt(0)
	v_add_f32_e32 v5, v3, v5
	v_cndmask_b32_e32 v3, v3, v5, vcc
	s_and_saveexec_b64 s[10:11], s[8:9]
	s_cbranch_execz .LBB6_9
; %bb.8:
	v_lshrrev_b32_e32 v5, 4, v0
	v_and_b32_e32 v5, 60, v5
	ds_write_b32 v5, v3 offset:128
.LBB6_9:
	s_or_b64 exec, exec, s[10:11]
	v_cmp_gt_u32_e64 s[10:11], 16, v0
	v_lshlrev_b32_e32 v12, 2, v1
	v_and_b32_e32 v5, 15, v1
	s_waitcnt lgkmcnt(0)
	s_barrier
	s_and_saveexec_b64 s[14:15], s[10:11]
	s_cbranch_execz .LBB6_11
; %bb.10:
	ds_read_b32 v3, v12 offset:128
	v_cmp_ne_u32_e32 vcc, 15, v5
	v_addc_co_u32_e32 v6, vcc, 0, v1, vcc
	v_lshlrev_b32_e32 v6, 2, v6
	s_waitcnt lgkmcnt(0)
	ds_bpermute_b32 v6, v6, v3
	v_add_u32_e32 v2, 63, v2
	v_add_u32_e32 v20, 1, v5
	v_lshrrev_b32_e32 v2, 6, v2
	v_cmp_gt_u32_e64 s[12:13], 14, v5
	v_cmp_lt_u32_e32 vcc, v20, v2
	v_cndmask_b32_e64 v20, 0, 1, s[12:13]
	s_waitcnt lgkmcnt(0)
	v_add_f32_e32 v6, v3, v6
	v_lshlrev_b32_e32 v20, 1, v20
	v_cndmask_b32_e32 v6, v3, v6, vcc
	v_add_lshl_u32 v20, v20, v1, 2
	ds_bpermute_b32 v20, v20, v6
	v_add_u32_e32 v21, 2, v5
	v_cmp_lt_u32_e64 s[12:13], v21, v2
	v_add_u32_e32 v21, 4, v5
	s_waitcnt lgkmcnt(0)
	v_add_f32_e32 v20, v6, v20
	v_cndmask_b32_e64 v6, v6, v20, s[12:13]
	v_cmp_gt_u32_e64 s[12:13], 12, v5
	v_cndmask_b32_e64 v20, 0, 1, s[12:13]
	v_lshlrev_b32_e32 v20, 2, v20
	v_add_lshl_u32 v20, v20, v1, 2
	ds_bpermute_b32 v20, v20, v6
	v_cmp_lt_u32_e64 s[12:13], v21, v2
	v_add_u32_e32 v21, 8, v5
	s_waitcnt lgkmcnt(0)
	v_add_f32_e32 v20, v6, v20
	v_cndmask_b32_e64 v6, v6, v20, s[12:13]
	v_cmp_gt_u32_e64 s[12:13], 8, v5
	v_cndmask_b32_e64 v20, 0, 1, s[12:13]
	v_lshlrev_b32_e32 v20, 3, v20
	v_add_lshl_u32 v20, v20, v1, 2
	ds_bpermute_b32 v20, v20, v6
	v_cmp_lt_u32_e64 s[12:13], v21, v2
	s_waitcnt lgkmcnt(0)
	v_add_f32_e32 v20, v6, v20
	v_cndmask_b32_e64 v2, v6, v20, s[12:13]
	v_cndmask_b32_e32 v3, v3, v2, vcc
.LBB6_11:
	s_or_b64 exec, exec, s[14:15]
	s_mov_b32 s7, 0
	v_cmp_eq_u32_e64 s[12:13], 0, v0
	s_and_saveexec_b64 s[14:15], s[12:13]
	s_cbranch_execz .LBB6_13
; %bb.12:
	v_cvt_f32_i32_e32 v2, s37
	v_div_scale_f32 v6, s[16:17], v2, v2, v3
	v_rcp_f32_e32 v20, v6
	v_div_scale_f32 v21, vcc, v3, v2, v3
	s_mov_b32 s16, 0x800000
	v_fma_f32 v22, -v6, v20, 1.0
	v_fmac_f32_e32 v20, v22, v20
	v_mul_f32_e32 v22, v21, v20
	v_fma_f32 v23, -v6, v22, v21
	v_fmac_f32_e32 v22, v23, v20
	v_fma_f32 v6, -v6, v22, v21
	v_div_fmas_f32 v6, v6, v20, v22
	v_div_fixup_f32 v2, v6, v2, v3
	v_add_f32_e32 v2, s36, v2
	v_mul_f32_e32 v3, 0x4b800000, v2
	v_cmp_gt_f32_e32 vcc, s16, v2
	v_cndmask_b32_e32 v2, v2, v3, vcc
	v_rsq_f32_e32 v2, v2
	v_mul_f32_e32 v3, 0x45800000, v2
	v_cndmask_b32_e32 v2, v2, v3, vcc
	v_mov_b32_e32 v3, 0
	ds_write_b32 v3, v2 offset:264
.LBB6_13:
	s_or_b64 exec, exec, s[14:15]
	v_mov_b32_e32 v2, 0
	s_waitcnt lgkmcnt(0)
	s_barrier
	ds_read_b32 v6, v2 offset:264
	s_waitcnt lgkmcnt(0)
	s_barrier
	s_waitcnt lgkmcnt(0)
                                        ; implicit-def: $sgpr16
                                        ; implicit-def: $sgpr14_sgpr15
	s_and_saveexec_b64 s[18:19], s[2:3]
	s_xor_b64 s[2:3], exec, s[18:19]
; %bb.14:
	s_add_u32 s14, s4, 64
	s_addc_u32 s15, s5, 0
	s_mov_b32 s16, 0
; %bb.15:
	s_or_saveexec_b64 s[2:3], s[2:3]
	v_mov_b32_e32 v20, s16
	v_pk_mov_b32 v[2:3], s[14:15], s[14:15] op_sel:[0,1]
	s_mul_hi_u32 s39, s37, s6
	s_mul_i32 s34, s37, s6
	s_mul_hi_u32 s33, s38, s6
	s_mul_i32 s42, s38, s6
	s_xor_b64 exec, exec, s[2:3]
	s_cbranch_execz .LBB6_19
; %bb.16:
	s_ashr_i32 s14, s37, 31
	s_mul_i32 s14, s14, s6
	s_add_i32 s35, s39, s14
	s_ashr_i32 s14, s38, 31
	s_mul_i32 s14, s14, s6
	s_add_i32 s43, s33, s14
	s_lshl_b64 s[14:15], s[42:43], 1
	s_add_u32 s18, s28, s14
	s_load_dword s16, s[4:5], 0x4c
	s_addc_u32 s21, s29, s15
	s_lshl_b64 s[14:15], s[34:35], 1
	s_add_u32 s19, s40, s14
	s_addc_u32 s35, s41, s15
	s_add_u32 s14, s4, 64
	s_addc_u32 s15, s5, 0
	s_waitcnt lgkmcnt(0)
	s_and_b32 s20, s16, 0xffff
	s_mov_b64 s[16:17], 0
	v_mov_b32_e32 v3, 0
	v_mov_b32_e32 v21, s21
	;; [unrolled: 1-line block ×6, first 2 shown]
.LBB6_17:                               ; =>This Inner Loop Header: Depth=1
	v_lshlrev_b64 v[24:25], 1, v[2:3]
	v_add_co_u32_e32 v26, vcc, s18, v24
	v_addc_co_u32_e32 v27, vcc, v21, v25, vcc
	v_add_co_u32_e32 v28, vcc, s19, v24
	v_addc_co_u32_e32 v29, vcc, v22, v25, vcc
	global_load_ushort v30, v[26:27], off
	global_load_ushort v31, v[28:29], off
	v_add_co_u32_e32 v24, vcc, s30, v24
	v_addc_co_u32_e32 v25, vcc, v23, v25, vcc
	global_load_ushort v24, v[24:25], off
	v_add_u32_e32 v2, s20, v2
	v_max_f32_e32 v20, v20, v20
	v_cmp_le_u32_e32 vcc, s37, v2
	s_or_b64 s[16:17], vcc, s[16:17]
	s_waitcnt vmcnt(2)
	v_cvt_f32_f16_e32 v25, v30
	s_waitcnt vmcnt(1)
	v_cvt_f32_f16_e32 v26, v31
	v_add_f32_e32 v25, v25, v26
	v_fma_mixlo_f16 v25, v6, v25, 0
	s_waitcnt vmcnt(0)
	v_mul_f16_e32 v24, v24, v25
	v_cvt_f32_f16_e64 v24, |v24|
	v_max_f32_e32 v20, v20, v24
	s_andn2_b64 exec, exec, s[16:17]
	s_cbranch_execnz .LBB6_17
; %bb.18:
	s_or_b64 exec, exec, s[16:17]
	v_pk_mov_b32 v[2:3], s[14:15], s[14:15] op_sel:[0,1]
.LBB6_19:
	s_or_b64 exec, exec, s[2:3]
	global_load_dword v21, v[2:3], off
	s_waitcnt vmcnt(0)
	v_cmp_lt_u32_e32 vcc, s6, v21
	v_cndmask_b32_e64 v21, 18, 12, vcc
	v_add_co_u32_e32 v2, vcc, v2, v21
	v_addc_co_u32_e32 v3, vcc, 0, v3, vcc
	global_load_ushort v2, v[2:3], off
	ds_bpermute_b32 v3, v14, v20
	s_waitcnt lgkmcnt(0)
	v_cmp_lt_f32_e32 vcc, v20, v3
	v_cndmask_b32_e32 v3, v20, v3, vcc
	s_waitcnt vmcnt(0)
	v_sub_u32_e64 v4, v2, v4 clamp
	v_cmp_lt_u32_e32 vcc, v7, v4
	v_cndmask_b32_e32 v3, v20, v3, vcc
	ds_bpermute_b32 v7, v13, v3
	v_cmp_lt_u32_e64 s[18:19], v19, v4
	s_waitcnt lgkmcnt(0)
	v_cmp_lt_f32_e64 s[2:3], v3, v7
	v_cndmask_b32_e64 v7, v3, v7, s[2:3]
	v_cmp_lt_u32_e64 s[2:3], v8, v4
	v_cndmask_b32_e64 v3, v3, v7, s[2:3]
	ds_bpermute_b32 v7, v15, v3
	s_or_b64 s[2:3], vcc, s[2:3]
	s_waitcnt lgkmcnt(0)
	v_cmp_lt_f32_e64 s[14:15], v3, v7
	v_cndmask_b32_e64 v7, v3, v7, s[14:15]
	v_cmp_lt_u32_e64 s[14:15], v10, v4
	v_cndmask_b32_e64 v3, v3, v7, s[14:15]
	ds_bpermute_b32 v7, v16, v3
	s_or_b64 s[2:3], s[14:15], s[2:3]
	s_waitcnt lgkmcnt(0)
	v_cmp_lt_f32_e64 s[16:17], v3, v7
	v_cndmask_b32_e64 v7, v3, v7, s[16:17]
	v_cmp_lt_u32_e64 s[16:17], v11, v4
	v_cndmask_b32_e64 v3, v3, v7, s[16:17]
	ds_bpermute_b32 v7, v18, v3
	s_or_b64 s[2:3], s[16:17], s[2:3]
	;; [unrolled: 7-line block ×3, first 2 shown]
	s_waitcnt lgkmcnt(0)
	v_cmp_lt_f32_e32 vcc, v3, v4
	s_and_b64 vcc, s[18:19], vcc
	v_cndmask_b32_e32 v3, v3, v4, vcc
	s_or_b64 vcc, s[18:19], s[2:3]
	v_cndmask_b32_e32 v3, v20, v3, vcc
	s_and_saveexec_b64 s[2:3], s[8:9]
	s_cbranch_execz .LBB6_21
; %bb.20:
	v_lshrrev_b32_e32 v4, 4, v0
	v_and_b32_e32 v4, 60, v4
	ds_write_b32 v4, v3 offset:192
.LBB6_21:
	s_or_b64 exec, exec, s[2:3]
	s_waitcnt lgkmcnt(0)
	s_barrier
	s_and_saveexec_b64 s[14:15], s[10:11]
	s_cbranch_execz .LBB6_23
; %bb.22:
	ds_read_b32 v3, v12 offset:192
	v_cmp_ne_u32_e32 vcc, 15, v5
	v_addc_co_u32_e32 v4, vcc, 0, v1, vcc
	v_lshlrev_b32_e32 v4, 2, v4
	s_waitcnt lgkmcnt(0)
	ds_bpermute_b32 v4, v4, v3
	v_add_u32_e32 v2, 63, v2
	v_add_u32_e32 v7, 1, v5
	v_lshrrev_b32_e32 v2, 6, v2
	v_cmp_gt_u32_e64 s[2:3], 14, v5
	s_waitcnt lgkmcnt(0)
	v_cmp_lt_f32_e32 vcc, v3, v4
	v_cndmask_b32_e32 v4, v3, v4, vcc
	v_cmp_lt_u32_e32 vcc, v7, v2
	v_cndmask_b32_e64 v7, 0, 1, s[2:3]
	v_lshlrev_b32_e32 v7, 1, v7
	v_cndmask_b32_e32 v4, v3, v4, vcc
	v_add_lshl_u32 v7, v7, v1, 2
	ds_bpermute_b32 v7, v7, v4
	v_add_u32_e32 v8, 2, v5
	s_waitcnt lgkmcnt(0)
	v_cmp_lt_f32_e64 s[2:3], v4, v7
	v_cndmask_b32_e64 v7, v4, v7, s[2:3]
	v_cmp_lt_u32_e64 s[2:3], v8, v2
	v_cndmask_b32_e64 v4, v4, v7, s[2:3]
	v_cmp_gt_u32_e64 s[2:3], 12, v5
	v_cndmask_b32_e64 v7, 0, 1, s[2:3]
	v_lshlrev_b32_e32 v7, 2, v7
	v_add_lshl_u32 v7, v7, v1, 2
	ds_bpermute_b32 v7, v7, v4
	v_add_u32_e32 v8, 4, v5
	s_waitcnt lgkmcnt(0)
	v_cmp_lt_f32_e64 s[2:3], v4, v7
	v_cndmask_b32_e64 v7, v4, v7, s[2:3]
	v_cmp_lt_u32_e64 s[2:3], v8, v2
	v_cndmask_b32_e64 v4, v4, v7, s[2:3]
	v_cmp_gt_u32_e64 s[2:3], 8, v5
	v_cndmask_b32_e64 v7, 0, 1, s[2:3]
	v_lshlrev_b32_e32 v7, 3, v7
	v_add_lshl_u32 v1, v7, v1, 2
	ds_bpermute_b32 v1, v1, v4
	v_add_u32_e32 v5, 8, v5
	v_cmp_lt_u32_e64 s[2:3], v5, v2
	s_waitcnt lgkmcnt(0)
	v_cmp_lt_f32_e64 s[8:9], v4, v1
	s_and_b64 s[2:3], s[2:3], s[8:9]
	v_cndmask_b32_e64 v1, v4, v1, s[2:3]
	v_cndmask_b32_e32 v3, v3, v1, vcc
.LBB6_23:
	s_or_b64 exec, exec, s[14:15]
	s_and_saveexec_b64 s[2:3], s[12:13]
	s_cbranch_execz .LBB6_27
; %bb.24:
	s_cmp_eq_u64 s[22:23], 0
	s_cbranch_scc1 .LBB6_26
; %bb.25:
	s_load_dword s8, s[22:23], 0x0
	v_max_f32_e32 v1, v3, v3
	s_waitcnt lgkmcnt(0)
	v_max_f32_e64 v2, s8, s8
	v_min_f32_e32 v3, v1, v2
.LBB6_26:
	s_mov_b32 s10, 0x43e00000
	v_div_scale_f32 v1, s[8:9], s10, s10, v3
	v_rcp_f32_e32 v2, v1
	v_div_scale_f32 v4, vcc, v3, s10, v3
	s_lshl_b64 s[8:9], s[6:7], 2
	v_fma_f32 v5, -v1, v2, 1.0
	v_fmac_f32_e32 v2, v5, v2
	v_mul_f32_e32 v5, v4, v2
	v_fma_f32 v7, -v1, v5, v4
	v_fmac_f32_e32 v5, v7, v2
	v_fma_f32 v1, -v1, v5, v4
	v_div_fmas_f32 v1, v1, v2, v5
	v_div_fixup_f32 v1, v1, s10, v3
	s_add_u32 s8, s26, s8
	v_max_f32_e32 v1, 0x36924925, v1
	v_mov_b32_e32 v2, 0
	s_addc_u32 s9, s27, s9
	ds_write_b32 v2, v1 offset:268
	global_store_dword v2, v1, s[8:9]
.LBB6_27:
	s_or_b64 exec, exec, s[2:3]
	s_waitcnt lgkmcnt(0)
	s_barrier
	s_and_saveexec_b64 s[2:3], s[0:1]
	s_cbranch_execz .LBB6_36
; %bb.28:
	s_ashr_i32 s0, s37, 31
	s_mul_i32 s0, s0, s6
	s_add_i32 s8, s39, s0
	s_ashr_i32 s0, s38, 31
	v_mov_b32_e32 v3, 0
	s_mul_i32 s0, s0, s6
	s_load_dword s9, s[4:5], 0x4c
	ds_read_b32 v1, v3 offset:268
	s_add_i32 s43, s33, s0
	s_lshl_b64 s[0:1], s[42:43], 1
	s_add_u32 s7, s28, s0
	s_addc_u32 s10, s29, s1
	s_waitcnt lgkmcnt(0)
	s_and_b32 s12, s9, 0xffff
	s_mov_b64 s[0:1], 0
	v_mov_b32_e32 v7, s10
	v_mov_b32_e32 v8, s8
	;; [unrolled: 1-line block ×4, first 2 shown]
	s_mov_b32 s13, 0x43f00000
	s_mov_b32 s14, 0x3c7fffff
	;; [unrolled: 1-line block ×4, first 2 shown]
	s_movk_i32 s17, 0x80
	v_mov_b32_e32 v11, s25
	v_mov_b32_e32 v2, v0
	s_branch .LBB6_31
.LBB6_29:                               ;   in Loop: Header=BB6_31 Depth=1
	s_or_b64 exec, exec, s[10:11]
.LBB6_30:                               ;   in Loop: Header=BB6_31 Depth=1
	s_or_b64 exec, exec, s[8:9]
	v_add_co_u32_e32 v4, vcc, s24, v4
	v_addc_co_u32_e32 v5, vcc, v11, v5, vcc
	v_add_u32_e32 v2, s12, v2
	v_lshrrev_b32_e32 v12, 24, v12
	v_cmp_le_u32_e32 vcc, s37, v2
	v_and_or_b32 v12, v12, s17, v13
	s_or_b64 s[0:1], vcc, s[0:1]
	global_store_byte v[4:5], v12, off
	s_andn2_b64 exec, exec, s[0:1]
	s_cbranch_execz .LBB6_36
.LBB6_31:                               ; =>This Inner Loop Header: Depth=1
	v_lshlrev_b64 v[12:13], 1, v[2:3]
	v_add_co_u32_e32 v4, vcc, s7, v12
	v_addc_co_u32_e32 v5, vcc, v7, v13, vcc
	global_load_ushort v16, v[4:5], off
	v_add_co_u32_e32 v4, vcc, s34, v2
	v_addc_co_u32_e32 v5, vcc, 0, v8, vcc
	v_lshlrev_b64 v[14:15], 1, v[4:5]
	v_add_co_u32_e32 v14, vcc, s40, v14
	v_addc_co_u32_e32 v15, vcc, v9, v15, vcc
	global_load_ushort v17, v[14:15], off
	v_add_co_u32_e32 v12, vcc, s30, v12
	v_addc_co_u32_e32 v13, vcc, v10, v13, vcc
	global_load_ushort v12, v[12:13], off
	s_waitcnt vmcnt(2)
	v_cvt_f32_f16_e32 v13, v16
	s_waitcnt vmcnt(1)
	v_cvt_f32_f16_e32 v16, v17
	v_add_f32_e32 v13, v13, v16
	v_fma_mixlo_f16 v16, v6, v13, 0
	s_waitcnt vmcnt(0)
	v_mul_f16_e32 v12, v12, v16
	v_cvt_f32_f16_e32 v12, v12
	v_cvt_f16_f32_e32 v13, v13
	v_div_scale_f32 v16, s[8:9], v1, v1, v12
	v_rcp_f32_e32 v17, v16
	global_store_short v[14:15], v13, off
	v_div_scale_f32 v13, vcc, v12, v1, v12
	v_fma_f32 v14, -v16, v17, 1.0
	v_fmac_f32_e32 v17, v14, v17
	v_mul_f32_e32 v14, v13, v17
	v_fma_f32 v15, -v16, v14, v13
	v_fmac_f32_e32 v14, v15, v17
	v_fma_f32 v13, -v16, v14, v13
	v_div_fmas_f32 v13, v13, v17, v14
	v_div_fixup_f32 v12, v13, v1, v12
	v_min_f32_e32 v12, 0x43e00000, v12
	v_max_f32_e32 v12, 0xc3e00000, v12
	v_and_b32_e32 v14, 0x7fffffff, v12
	v_cmp_gt_u32_e32 vcc, s13, v14
	v_mov_b32_e32 v13, 0x7f
	s_and_saveexec_b64 s[8:9], vcc
	s_cbranch_execz .LBB6_30
; %bb.32:                               ;   in Loop: Header=BB6_31 Depth=1
	v_cmp_lt_u32_e32 vcc, s14, v14
                                        ; implicit-def: $vgpr13
	s_and_saveexec_b64 s[10:11], vcc
	s_xor_b64 s[10:11], exec, s[10:11]
; %bb.33:                               ;   in Loop: Header=BB6_31 Depth=1
	v_bfe_u32 v13, v12, 20, 1
	v_add3_u32 v13, v12, v13, s15
	v_lshrrev_b32_e32 v13, 20, v13
; %bb.34:                               ;   in Loop: Header=BB6_31 Depth=1
	s_andn2_saveexec_b64 s[10:11], s[10:11]
	s_cbranch_execz .LBB6_29
; %bb.35:                               ;   in Loop: Header=BB6_31 Depth=1
	v_add_f32_e64 v13, |v12|, s16
	s_branch .LBB6_29
.LBB6_36:
	s_or_b64 exec, exec, s[2:3]
	s_branch .LBB6_177
.LBB6_37:
	s_cbranch_execz .LBB6_177
; %bb.38:
	s_ashr_i32 s0, s38, 31
	s_mul_hi_u32 s1, s38, s6
	s_mul_i32 s0, s0, s6
	s_ashr_i32 s2, s37, 31
	s_add_i32 s1, s1, s0
	s_mul_i32 s0, s38, s6
	s_mul_hi_u32 s3, s37, s6
	s_mul_i32 s2, s2, s6
	s_add_i32 s35, s3, s2
	s_lshl_b64 s[0:1], s[0:1], 1
	s_mul_i32 s34, s37, s6
	s_add_u32 s33, s28, s0
	s_addc_u32 s48, s29, s1
	s_lshl_b64 s[0:1], s[34:35], 1
	s_load_dword s18, s[4:5], 0x40
	s_add_u32 s49, s40, s0
	s_addc_u32 s50, s41, s1
	s_ashr_i32 s51, s37, 2
	s_add_u32 s19, s4, 64
	s_mov_b32 s7, 0
	v_cmp_gt_u32_e64 s[0:1], s51, v0
	s_addc_u32 s20, s5, 0
	v_mov_b32_e32 v10, 0
	s_and_saveexec_b64 s[2:3], s[0:1]
	s_cbranch_execz .LBB6_48
; %bb.39:
	s_waitcnt lgkmcnt(0)
	s_cmp_lt_u32 s6, s18
	s_cselect_b32 s4, 12, 18
	s_add_u32 s4, s19, s4
	s_addc_u32 s5, s20, 0
	v_mov_b32_e32 v3, 0
	global_load_ushort v1, v3, s[4:5]
	s_mov_b64 s[4:5], 0
	v_mov_b32_e32 v8, s48
	v_mov_b32_e32 v9, s50
	;; [unrolled: 1-line block ×4, first 2 shown]
                                        ; implicit-def: $sgpr8_sgpr9
	s_waitcnt vmcnt(0)
	v_mul_lo_u32 v11, v1, 3
	v_lshlrev_b32_e32 v12, 1, v1
	s_branch .LBB6_43
.LBB6_40:                               ;   in Loop: Header=BB6_43 Depth=1
	s_or_b64 exec, exec, s[14:15]
	s_orn2_b64 s[14:15], s[16:17], exec
.LBB6_41:                               ;   in Loop: Header=BB6_43 Depth=1
	s_or_b64 exec, exec, s[12:13]
	s_andn2_b64 s[8:9], s[8:9], exec
	s_and_b64 s[12:13], s[14:15], exec
	s_or_b64 s[8:9], s[8:9], s[12:13]
.LBB6_42:                               ;   in Loop: Header=BB6_43 Depth=1
	s_or_b64 exec, exec, s[10:11]
	s_and_b64 s[10:11], exec, s[8:9]
	s_or_b64 s[4:5], s[10:11], s[4:5]
	s_andn2_b64 exec, exec, s[4:5]
	s_cbranch_execz .LBB6_47
.LBB6_43:                               ; =>This Inner Loop Header: Depth=1
	v_lshlrev_b64 v[4:5], 3, v[2:3]
	v_add_co_u32_e32 v6, vcc, s33, v4
	v_addc_co_u32_e32 v7, vcc, v8, v5, vcc
	v_add_co_u32_e32 v4, vcc, s49, v4
	v_addc_co_u32_e32 v5, vcc, v9, v5, vcc
	global_load_dwordx2 v[6:7], v[6:7], off
	s_or_b64 s[8:9], s[8:9], exec
	global_load_dwordx2 v[4:5], v[4:5], off
	s_waitcnt vmcnt(1)
	v_cvt_f32_f16_e32 v14, v6
	v_cvt_f32_f16_sdwa v15, v6 dst_sel:DWORD dst_unused:UNUSED_PAD src0_sel:WORD_1
	s_waitcnt vmcnt(0)
	v_cvt_f32_f16_e32 v16, v4
	v_cvt_f32_f16_sdwa v17, v4 dst_sel:DWORD dst_unused:UNUSED_PAD src0_sel:WORD_1
	v_cvt_f32_f16_e32 v6, v7
	v_cvt_f32_f16_sdwa v7, v7 dst_sel:DWORD dst_unused:UNUSED_PAD src0_sel:WORD_1
	;; [unrolled: 2-line block ×3, first 2 shown]
	v_pk_add_f32 v[14:15], v[14:15], v[16:17]
	v_pk_mul_f32 v[14:15], v[14:15], v[14:15]
	v_add_f32_e32 v5, v10, v14
	v_pk_add_f32 v[6:7], v[6:7], v[18:19]
	v_pk_mul_f32 v[6:7], v[6:7], v[6:7]
	v_add_f32_e32 v5, v5, v15
	v_add_u32_e32 v4, v2, v1
	v_add_f32_e32 v5, v5, v6
	v_cmp_gt_u32_e32 vcc, s51, v4
	v_add_f32_e32 v10, v5, v7
	s_and_saveexec_b64 s[10:11], vcc
	s_cbranch_execz .LBB6_42
; %bb.44:                               ;   in Loop: Header=BB6_43 Depth=1
	v_mov_b32_e32 v5, v3
	v_lshlrev_b64 v[6:7], 3, v[4:5]
	v_add_co_u32_e32 v14, vcc, s33, v6
	v_addc_co_u32_e32 v15, vcc, v8, v7, vcc
	v_add_co_u32_e32 v6, vcc, s49, v6
	v_addc_co_u32_e32 v7, vcc, v9, v7, vcc
	global_load_dwordx2 v[14:15], v[14:15], off
	s_mov_b64 s[14:15], -1
	global_load_dwordx2 v[6:7], v[6:7], off
	s_waitcnt vmcnt(1)
	v_cvt_f32_f16_e32 v16, v14
	v_cvt_f32_f16_sdwa v17, v14 dst_sel:DWORD dst_unused:UNUSED_PAD src0_sel:WORD_1
	s_waitcnt vmcnt(0)
	v_cvt_f32_f16_e32 v18, v6
	v_cvt_f32_f16_sdwa v19, v6 dst_sel:DWORD dst_unused:UNUSED_PAD src0_sel:WORD_1
	v_cvt_f32_f16_e32 v14, v15
	v_cvt_f32_f16_sdwa v15, v15 dst_sel:DWORD dst_unused:UNUSED_PAD src0_sel:WORD_1
	;; [unrolled: 2-line block ×3, first 2 shown]
	v_pk_add_f32 v[16:17], v[16:17], v[18:19]
	v_pk_mul_f32 v[16:17], v[16:17], v[16:17]
	v_add_f32_e32 v5, v10, v16
	v_pk_add_f32 v[14:15], v[14:15], v[20:21]
	v_pk_mul_f32 v[14:15], v[14:15], v[14:15]
	v_add_f32_e32 v5, v5, v17
	v_add_u32_e32 v6, v12, v2
	v_add_f32_e32 v5, v5, v14
	v_cmp_gt_u32_e32 vcc, s51, v6
	v_add_f32_e32 v10, v5, v15
	s_and_saveexec_b64 s[12:13], vcc
	s_cbranch_execz .LBB6_41
; %bb.45:                               ;   in Loop: Header=BB6_43 Depth=1
	v_mov_b32_e32 v7, v3
	v_lshlrev_b64 v[6:7], 3, v[6:7]
	v_mov_b32_e32 v5, s48
	v_add_co_u32_e32 v14, vcc, s33, v6
	v_addc_co_u32_e32 v15, vcc, v5, v7, vcc
	v_mov_b32_e32 v5, s50
	v_add_co_u32_e32 v6, vcc, s49, v6
	v_addc_co_u32_e32 v7, vcc, v5, v7, vcc
	global_load_dwordx2 v[14:15], v[14:15], off
	v_add_u32_e32 v2, v11, v2
	global_load_dwordx2 v[6:7], v[6:7], off
	v_cmp_gt_u32_e32 vcc, s51, v2
	s_mov_b64 s[16:17], -1
	s_waitcnt vmcnt(1)
	v_cvt_f32_f16_e32 v16, v14
	v_cvt_f32_f16_sdwa v17, v14 dst_sel:DWORD dst_unused:UNUSED_PAD src0_sel:WORD_1
	s_waitcnt vmcnt(0)
	v_cvt_f32_f16_e32 v18, v6
	v_cvt_f32_f16_sdwa v19, v6 dst_sel:DWORD dst_unused:UNUSED_PAD src0_sel:WORD_1
	v_cvt_f32_f16_e32 v14, v15
	v_cvt_f32_f16_sdwa v15, v15 dst_sel:DWORD dst_unused:UNUSED_PAD src0_sel:WORD_1
	;; [unrolled: 2-line block ×3, first 2 shown]
	v_pk_add_f32 v[16:17], v[16:17], v[18:19]
	v_pk_add_f32 v[6:7], v[14:15], v[6:7]
	v_pk_mul_f32 v[14:15], v[16:17], v[16:17]
	v_add_f32_e32 v5, v10, v14
	v_pk_mul_f32 v[6:7], v[6:7], v[6:7]
	v_add_f32_e32 v5, v5, v15
	v_add_f32_e32 v5, v5, v6
	;; [unrolled: 1-line block ×3, first 2 shown]
	s_and_saveexec_b64 s[14:15], vcc
	s_xor_b64 s[14:15], exec, s[14:15]
	s_cbranch_execz .LBB6_40
; %bb.46:                               ;   in Loop: Header=BB6_43 Depth=1
	v_lshlrev_b64 v[6:7], 3, v[2:3]
	v_mov_b32_e32 v2, s48
	v_add_co_u32_e32 v14, vcc, s33, v6
	v_addc_co_u32_e32 v15, vcc, v2, v7, vcc
	v_mov_b32_e32 v2, s50
	v_add_co_u32_e32 v6, vcc, s49, v6
	v_addc_co_u32_e32 v7, vcc, v2, v7, vcc
	global_load_dwordx2 v[14:15], v[14:15], off
	v_add_u32_e32 v2, v1, v1
	global_load_dwordx2 v[6:7], v[6:7], off
	v_add_u32_e32 v2, v2, v1
	v_add_u32_e32 v2, v2, v4
	v_cmp_le_u32_e32 vcc, s51, v2
	s_orn2_b64 s[16:17], vcc, exec
	s_waitcnt vmcnt(1)
	v_cvt_f32_f16_e32 v16, v14
	v_cvt_f32_f16_sdwa v17, v14 dst_sel:DWORD dst_unused:UNUSED_PAD src0_sel:WORD_1
	s_waitcnt vmcnt(0)
	v_cvt_f32_f16_e32 v18, v6
	v_cvt_f32_f16_sdwa v19, v6 dst_sel:DWORD dst_unused:UNUSED_PAD src0_sel:WORD_1
	v_cvt_f32_f16_e32 v14, v15
	v_cvt_f32_f16_sdwa v15, v15 dst_sel:DWORD dst_unused:UNUSED_PAD src0_sel:WORD_1
	;; [unrolled: 2-line block ×3, first 2 shown]
	v_pk_add_f32 v[4:5], v[16:17], v[18:19]
	v_pk_mul_f32 v[4:5], v[4:5], v[4:5]
	v_add_f32_e32 v4, v10, v4
	v_pk_add_f32 v[6:7], v[14:15], v[6:7]
	v_pk_mul_f32 v[6:7], v[6:7], v[6:7]
	v_add_f32_e32 v4, v4, v5
	v_add_f32_e32 v4, v4, v6
	;; [unrolled: 1-line block ×3, first 2 shown]
	s_branch .LBB6_40
.LBB6_47:
	s_or_b64 exec, exec, s[4:5]
.LBB6_48:
	s_or_b64 exec, exec, s[2:3]
	s_waitcnt lgkmcnt(0)
	s_cmp_lt_u32 s6, s18
	s_cselect_b32 s2, 12, 18
	s_add_u32 s2, s19, s2
	s_addc_u32 s3, s20, 0
	v_mov_b32_e32 v1, 0
	global_load_ushort v2, v1, s[2:3]
	v_mbcnt_lo_u32_b32 v1, -1, 0
	v_mbcnt_hi_u32_b32 v1, -1, v1
	v_and_b32_e32 v4, 63, v1
	v_cmp_ne_u32_e32 vcc, 63, v4
	v_addc_co_u32_e32 v8, vcc, 0, v1, vcc
	v_lshlrev_b32_e32 v8, 2, v8
	ds_bpermute_b32 v11, v8, v10
	v_and_b32_e32 v3, 0x3c0, v0
	v_cmp_gt_u32_e32 vcc, 62, v4
	v_add_u32_e32 v5, 1, v1
	v_cndmask_b32_e64 v9, 0, 1, vcc
	v_lshlrev_b32_e32 v9, 1, v9
	s_waitcnt lgkmcnt(0)
	v_add_f32_e32 v11, v10, v11
	v_add_lshl_u32 v9, v9, v1, 2
	v_cmp_gt_u32_e32 vcc, 60, v4
	v_add_u32_e32 v6, 2, v1
	v_add_u32_e32 v7, 4, v1
	;; [unrolled: 1-line block ×4, first 2 shown]
	v_cmp_eq_u32_e64 s[14:15], 0, v1
	s_waitcnt vmcnt(0)
	v_sub_u32_e64 v3, v2, v3 clamp
	v_cmp_lt_u32_e64 s[2:3], v5, v3
	v_cndmask_b32_e64 v5, v10, v11, s[2:3]
	ds_bpermute_b32 v11, v9, v5
	v_cndmask_b32_e64 v10, 0, 1, vcc
	v_lshlrev_b32_e32 v10, 2, v10
	v_cmp_lt_u32_e64 s[4:5], v6, v3
	v_add_lshl_u32 v10, v10, v1, 2
	s_waitcnt lgkmcnt(0)
	v_add_f32_e32 v11, v5, v11
	v_cndmask_b32_e64 v5, v5, v11, s[4:5]
	ds_bpermute_b32 v6, v10, v5
	v_cmp_gt_u32_e32 vcc, 56, v4
	v_cndmask_b32_e64 v11, 0, 1, vcc
	v_lshlrev_b32_e32 v11, 3, v11
	v_cmp_lt_u32_e64 s[8:9], v7, v3
	s_waitcnt lgkmcnt(0)
	v_add_f32_e32 v6, v5, v6
	v_add_lshl_u32 v11, v11, v1, 2
	v_cndmask_b32_e64 v5, v5, v6, s[8:9]
	ds_bpermute_b32 v6, v11, v5
	v_cmp_gt_u32_e32 vcc, 48, v4
	v_cndmask_b32_e64 v7, 0, 1, vcc
	v_lshlrev_b32_e32 v7, 4, v7
	v_cmp_lt_u32_e64 s[10:11], v12, v3
	s_waitcnt lgkmcnt(0)
	v_add_f32_e32 v6, v5, v6
	v_add_lshl_u32 v13, v7, v1, 2
	v_cndmask_b32_e64 v5, v5, v6, s[10:11]
	ds_bpermute_b32 v6, v13, v5
	v_cmp_gt_u32_e32 vcc, 32, v4
	v_cndmask_b32_e64 v4, 0, 1, vcc
	v_lshlrev_b32_e32 v4, 5, v4
	v_add_lshl_u32 v14, v4, v1, 2
	s_waitcnt lgkmcnt(0)
	v_add_f32_e32 v4, v5, v6
	v_cmp_lt_u32_e64 s[12:13], v15, v3
	v_cndmask_b32_e64 v4, v5, v4, s[12:13]
	ds_bpermute_b32 v5, v14, v4
	v_add_u32_e32 v6, 32, v1
	v_readfirstlane_b32 s52, v2
	v_cmp_lt_u32_e64 s[20:21], v6, v3
	s_waitcnt lgkmcnt(0)
	v_add_f32_e32 v2, v4, v5
	v_cndmask_b32_e64 v2, v4, v2, s[20:21]
	s_and_saveexec_b64 s[16:17], s[14:15]
	s_cbranch_execz .LBB6_50
; %bb.49:
	v_lshrrev_b32_e32 v3, 4, v0
	v_and_b32_e32 v3, 60, v3
	ds_write_b32 v3, v2
.LBB6_50:
	s_or_b64 exec, exec, s[16:17]
	v_cmp_gt_u32_e64 s[16:17], 16, v0
	s_waitcnt lgkmcnt(0)
	s_barrier
	s_and_saveexec_b64 s[28:29], s[16:17]
	s_cbranch_execz .LBB6_52
; %bb.51:
	v_lshlrev_b32_e32 v2, 2, v1
	ds_read_b32 v2, v2
	v_and_b32_e32 v3, 15, v1
	v_cmp_ne_u32_e32 vcc, 15, v3
	v_addc_co_u32_e32 v4, vcc, 0, v1, vcc
	v_lshlrev_b32_e32 v4, 2, v4
	s_waitcnt lgkmcnt(0)
	ds_bpermute_b32 v4, v4, v2
	s_add_i32 s18, s52, 63
	s_lshr_b32 s38, s18, 6
	v_add_u32_e32 v5, 1, v3
	v_cmp_gt_u32_e64 s[18:19], 14, v3
	v_cmp_gt_u32_e32 vcc, s38, v5
	v_cndmask_b32_e64 v5, 0, 1, s[18:19]
	s_waitcnt lgkmcnt(0)
	v_add_f32_e32 v4, v2, v4
	v_lshlrev_b32_e32 v5, 1, v5
	v_cndmask_b32_e32 v4, v2, v4, vcc
	v_add_lshl_u32 v5, v5, v1, 2
	ds_bpermute_b32 v5, v5, v4
	v_add_u32_e32 v6, 2, v3
	v_cmp_gt_u32_e64 s[18:19], s38, v6
	v_add_u32_e32 v6, 4, v3
	s_waitcnt lgkmcnt(0)
	v_add_f32_e32 v5, v4, v5
	v_cndmask_b32_e64 v4, v4, v5, s[18:19]
	v_cmp_gt_u32_e64 s[18:19], 12, v3
	v_cndmask_b32_e64 v5, 0, 1, s[18:19]
	v_lshlrev_b32_e32 v5, 2, v5
	v_add_lshl_u32 v5, v5, v1, 2
	ds_bpermute_b32 v5, v5, v4
	v_cmp_gt_u32_e64 s[18:19], s38, v6
	s_waitcnt lgkmcnt(0)
	v_add_f32_e32 v5, v4, v5
	v_cndmask_b32_e64 v4, v4, v5, s[18:19]
	v_cmp_gt_u32_e64 s[18:19], 8, v3
	v_cndmask_b32_e64 v5, 0, 1, s[18:19]
	v_lshlrev_b32_e32 v5, 3, v5
	v_add_lshl_u32 v5, v5, v1, 2
	ds_bpermute_b32 v5, v5, v4
	v_add_u32_e32 v3, 8, v3
	v_cmp_gt_u32_e64 s[18:19], s38, v3
	s_waitcnt lgkmcnt(0)
	v_add_f32_e32 v5, v4, v5
	v_cndmask_b32_e64 v3, v4, v5, s[18:19]
	v_cndmask_b32_e32 v2, v2, v3, vcc
.LBB6_52:
	s_or_b64 exec, exec, s[28:29]
	v_cmp_eq_u32_e64 s[18:19], 0, v0
	s_and_saveexec_b64 s[28:29], s[18:19]
	s_cbranch_execz .LBB6_54
; %bb.53:
	v_cvt_f32_i32_e32 v3, s37
	s_mov_b32 s37, 0x800000
	v_div_scale_f32 v4, s[38:39], v3, v3, v2
	v_rcp_f32_e32 v5, v4
	v_div_scale_f32 v6, vcc, v2, v3, v2
	v_fma_f32 v7, -v4, v5, 1.0
	v_fmac_f32_e32 v5, v7, v5
	v_mul_f32_e32 v7, v6, v5
	v_fma_f32 v12, -v4, v7, v6
	v_fmac_f32_e32 v7, v12, v5
	v_fma_f32 v4, -v4, v7, v6
	v_div_fmas_f32 v4, v4, v5, v7
	v_div_fixup_f32 v2, v4, v3, v2
	v_add_f32_e32 v2, s36, v2
	v_mul_f32_e32 v3, 0x4b800000, v2
	v_cmp_gt_f32_e32 vcc, s37, v2
	v_cndmask_b32_e32 v2, v2, v3, vcc
	v_rsq_f32_e32 v2, v2
	v_mul_f32_e32 v3, 0x45800000, v2
	v_cndmask_b32_e32 v2, v2, v3, vcc
	v_mov_b32_e32 v3, 0
	ds_write_b32 v3, v2 offset:256
.LBB6_54:
	s_or_b64 exec, exec, s[28:29]
	v_mov_b32_e32 v15, 0
	s_waitcnt lgkmcnt(0)
	s_barrier
	ds_read_b32 v12, v15 offset:256
	s_and_saveexec_b64 s[28:29], s[0:1]
	s_cbranch_execz .LBB6_64
; %bb.55:
	s_add_i32 s55, s52, s52
	s_mul_i32 s53, s52, 3
	s_lshl_b32 s54, s52, 1
	s_mov_b64 s[36:37], 0
	v_mov_b32_e32 v3, 0
	v_mov_b32_e32 v16, s48
	;; [unrolled: 1-line block ×4, first 2 shown]
	s_add_i32 s55, s55, s52
	v_mov_b32_e32 v15, 0
	v_mov_b32_e32 v2, v0
                                        ; implicit-def: $sgpr38_sgpr39
	s_branch .LBB6_59
.LBB6_56:                               ;   in Loop: Header=BB6_59 Depth=1
	s_or_b64 exec, exec, s[44:45]
	s_orn2_b64 s[44:45], s[46:47], exec
.LBB6_57:                               ;   in Loop: Header=BB6_59 Depth=1
	s_or_b64 exec, exec, s[42:43]
	s_andn2_b64 s[38:39], s[38:39], exec
	s_and_b64 s[42:43], s[44:45], exec
	s_or_b64 s[38:39], s[38:39], s[42:43]
.LBB6_58:                               ;   in Loop: Header=BB6_59 Depth=1
	s_or_b64 exec, exec, s[40:41]
	s_and_b64 s[40:41], exec, s[38:39]
	s_or_b64 s[36:37], s[40:41], s[36:37]
	s_andn2_b64 exec, exec, s[36:37]
	s_cbranch_execz .LBB6_63
.LBB6_59:                               ; =>This Inner Loop Header: Depth=1
	v_lshlrev_b64 v[4:5], 3, v[2:3]
	v_add_co_u32_e32 v6, vcc, s33, v4
	v_addc_co_u32_e32 v7, vcc, v16, v5, vcc
	v_add_co_u32_e32 v20, vcc, s49, v4
	v_addc_co_u32_e32 v21, vcc, v18, v5, vcc
	global_load_dwordx2 v[6:7], v[6:7], off
	v_add_co_u32_e32 v4, vcc, s30, v4
	global_load_dwordx2 v[20:21], v[20:21], off
	v_addc_co_u32_e32 v5, vcc, v17, v5, vcc
	global_load_dwordx2 v[4:5], v[4:5], off
	s_or_b64 s[38:39], s[38:39], exec
	s_waitcnt vmcnt(2)
	v_cvt_f32_f16_e32 v19, v6
	v_cvt_f32_f16_sdwa v6, v6 dst_sel:DWORD dst_unused:UNUSED_PAD src0_sel:WORD_1
	v_cvt_f32_f16_e32 v22, v7
	s_waitcnt vmcnt(1)
	v_cvt_f32_f16_e32 v23, v20
	v_cvt_f32_f16_sdwa v20, v20 dst_sel:DWORD dst_unused:UNUSED_PAD src0_sel:WORD_1
	v_cvt_f32_f16_sdwa v7, v7 dst_sel:DWORD dst_unused:UNUSED_PAD src0_sel:WORD_1
	v_cvt_f32_f16_e32 v24, v21
	v_cvt_f32_f16_sdwa v21, v21 dst_sel:DWORD dst_unused:UNUSED_PAD src0_sel:WORD_1
	v_add_f32_e32 v19, v19, v23
	v_add_f32_e32 v6, v6, v20
	;; [unrolled: 1-line block ×4, first 2 shown]
	s_waitcnt lgkmcnt(0)
	v_fma_mixlo_f16 v19, v12, v19, 0
	v_fma_mixlo_f16 v6, v12, v6, 0
	v_fma_mixlo_f16 v20, v12, v20, 0
	v_fma_mixlo_f16 v7, v12, v7, 0
	s_waitcnt vmcnt(0)
	v_mul_f16_e32 v19, v4, v19
	v_mul_f16_sdwa v4, v4, v6 dst_sel:DWORD dst_unused:UNUSED_PAD src0_sel:WORD_1 src1_sel:DWORD
	v_mul_f16_e32 v6, v5, v20
	v_mul_f16_sdwa v5, v5, v7 dst_sel:DWORD dst_unused:UNUSED_PAD src0_sel:WORD_1 src1_sel:DWORD
	v_cvt_f32_f16_e64 v7, |v19|
	v_cvt_f32_f16_e64 v19, |v4|
	;; [unrolled: 1-line block ×4, first 2 shown]
	v_add_u32_e32 v4, s52, v2
	v_max3_f32 v7, v15, v7, v19
	v_cmp_gt_u32_e32 vcc, s51, v4
	v_max3_f32 v15, v7, v6, v5
	s_and_saveexec_b64 s[40:41], vcc
	s_cbranch_execz .LBB6_58
; %bb.60:                               ;   in Loop: Header=BB6_59 Depth=1
	v_mov_b32_e32 v5, v3
	v_lshlrev_b64 v[6:7], 3, v[4:5]
	v_add_co_u32_e32 v20, vcc, s33, v6
	v_addc_co_u32_e32 v21, vcc, v16, v7, vcc
	v_add_co_u32_e32 v22, vcc, s49, v6
	v_addc_co_u32_e32 v23, vcc, v18, v7, vcc
	global_load_dwordx2 v[20:21], v[20:21], off
	v_add_co_u32_e32 v6, vcc, s30, v6
	global_load_dwordx2 v[22:23], v[22:23], off
	v_addc_co_u32_e32 v7, vcc, v17, v7, vcc
	global_load_dwordx2 v[6:7], v[6:7], off
	s_mov_b64 s[44:45], -1
	s_waitcnt vmcnt(2)
	v_cvt_f32_f16_e32 v5, v20
	v_cvt_f32_f16_sdwa v19, v20 dst_sel:DWORD dst_unused:UNUSED_PAD src0_sel:WORD_1
	v_cvt_f32_f16_e32 v20, v21
	s_waitcnt vmcnt(1)
	v_cvt_f32_f16_e32 v24, v22
	v_cvt_f32_f16_sdwa v22, v22 dst_sel:DWORD dst_unused:UNUSED_PAD src0_sel:WORD_1
	v_cvt_f32_f16_sdwa v21, v21 dst_sel:DWORD dst_unused:UNUSED_PAD src0_sel:WORD_1
	v_cvt_f32_f16_e32 v25, v23
	v_cvt_f32_f16_sdwa v23, v23 dst_sel:DWORD dst_unused:UNUSED_PAD src0_sel:WORD_1
	v_add_f32_e32 v5, v5, v24
	v_add_f32_e32 v19, v19, v22
	;; [unrolled: 1-line block ×4, first 2 shown]
	v_fma_mixlo_f16 v5, v12, v5, 0
	v_fma_mixlo_f16 v19, v12, v19, 0
	;; [unrolled: 1-line block ×4, first 2 shown]
	s_waitcnt vmcnt(0)
	v_mul_f16_e32 v5, v6, v5
	v_mul_f16_sdwa v6, v6, v19 dst_sel:DWORD dst_unused:UNUSED_PAD src0_sel:WORD_1 src1_sel:DWORD
	v_mul_f16_e32 v19, v7, v20
	v_mul_f16_sdwa v7, v7, v21 dst_sel:DWORD dst_unused:UNUSED_PAD src0_sel:WORD_1 src1_sel:DWORD
	v_cvt_f32_f16_e64 v5, |v5|
	v_cvt_f32_f16_e64 v20, |v6|
	v_cvt_f32_f16_e64 v19, |v19|
	v_cvt_f32_f16_e64 v7, |v7|
	v_add_u32_e32 v6, s54, v2
	v_max3_f32 v5, v15, v5, v20
	v_cmp_gt_u32_e32 vcc, s51, v6
	v_max3_f32 v15, v5, v19, v7
	s_and_saveexec_b64 s[42:43], vcc
	s_cbranch_execz .LBB6_57
; %bb.61:                               ;   in Loop: Header=BB6_59 Depth=1
	v_mov_b32_e32 v7, v3
	v_lshlrev_b64 v[6:7], 3, v[6:7]
	v_add_co_u32_e32 v20, vcc, s33, v6
	v_addc_co_u32_e32 v21, vcc, v16, v7, vcc
	v_add_co_u32_e32 v22, vcc, s49, v6
	v_addc_co_u32_e32 v23, vcc, v18, v7, vcc
	global_load_dwordx2 v[20:21], v[20:21], off
	v_add_co_u32_e32 v6, vcc, s30, v6
	global_load_dwordx2 v[22:23], v[22:23], off
	v_addc_co_u32_e32 v7, vcc, v17, v7, vcc
	global_load_dwordx2 v[6:7], v[6:7], off
	v_add_u32_e32 v2, s53, v2
	v_cmp_gt_u32_e32 vcc, s51, v2
	s_mov_b64 s[46:47], -1
	s_waitcnt vmcnt(2)
	v_cvt_f32_f16_e32 v5, v20
	v_cvt_f32_f16_sdwa v19, v20 dst_sel:DWORD dst_unused:UNUSED_PAD src0_sel:WORD_1
	v_cvt_f32_f16_e32 v20, v21
	s_waitcnt vmcnt(1)
	v_cvt_f32_f16_e32 v24, v22
	v_cvt_f32_f16_sdwa v22, v22 dst_sel:DWORD dst_unused:UNUSED_PAD src0_sel:WORD_1
	v_cvt_f32_f16_sdwa v21, v21 dst_sel:DWORD dst_unused:UNUSED_PAD src0_sel:WORD_1
	v_cvt_f32_f16_e32 v25, v23
	v_cvt_f32_f16_sdwa v23, v23 dst_sel:DWORD dst_unused:UNUSED_PAD src0_sel:WORD_1
	v_add_f32_e32 v5, v5, v24
	v_add_f32_e32 v19, v19, v22
	;; [unrolled: 1-line block ×4, first 2 shown]
	v_fma_mixlo_f16 v5, v12, v5, 0
	v_fma_mixlo_f16 v19, v12, v19, 0
	v_fma_mixlo_f16 v20, v12, v20, 0
	v_fma_mixlo_f16 v21, v12, v21, 0
	s_waitcnt vmcnt(0)
	v_mul_f16_e32 v5, v6, v5
	v_mul_f16_sdwa v6, v6, v19 dst_sel:DWORD dst_unused:UNUSED_PAD src0_sel:WORD_1 src1_sel:DWORD
	v_mul_f16_e32 v19, v7, v20
	v_mul_f16_sdwa v7, v7, v21 dst_sel:DWORD dst_unused:UNUSED_PAD src0_sel:WORD_1 src1_sel:DWORD
	v_cvt_f32_f16_e64 v5, |v5|
	v_cvt_f32_f16_e64 v6, |v6|
	;; [unrolled: 1-line block ×4, first 2 shown]
	v_max3_f32 v5, v15, v5, v6
	v_max3_f32 v15, v5, v19, v7
	s_and_saveexec_b64 s[44:45], vcc
	s_xor_b64 s[44:45], exec, s[44:45]
	s_cbranch_execz .LBB6_56
; %bb.62:                               ;   in Loop: Header=BB6_59 Depth=1
	v_lshlrev_b64 v[6:7], 3, v[2:3]
	v_mov_b32_e32 v2, s48
	v_add_co_u32_e32 v20, vcc, s33, v6
	v_addc_co_u32_e32 v21, vcc, v2, v7, vcc
	v_mov_b32_e32 v2, s50
	v_add_co_u32_e32 v22, vcc, s49, v6
	v_addc_co_u32_e32 v23, vcc, v2, v7, vcc
	global_load_dwordx2 v[20:21], v[20:21], off
	v_mov_b32_e32 v2, s31
	global_load_dwordx2 v[22:23], v[22:23], off
	v_add_co_u32_e32 v6, vcc, s30, v6
	v_addc_co_u32_e32 v7, vcc, v2, v7, vcc
	global_load_dwordx2 v[6:7], v[6:7], off
	s_waitcnt vmcnt(2)
	v_cvt_f32_f16_e32 v2, v20
	v_cvt_f32_f16_sdwa v5, v20 dst_sel:DWORD dst_unused:UNUSED_PAD src0_sel:WORD_1
	v_cvt_f32_f16_e32 v19, v21
	v_cvt_f32_f16_sdwa v20, v21 dst_sel:DWORD dst_unused:UNUSED_PAD src0_sel:WORD_1
	s_waitcnt vmcnt(1)
	v_cvt_f32_f16_e32 v21, v22
	v_cvt_f32_f16_sdwa v22, v22 dst_sel:DWORD dst_unused:UNUSED_PAD src0_sel:WORD_1
	v_cvt_f32_f16_e32 v24, v23
	v_cvt_f32_f16_sdwa v23, v23 dst_sel:DWORD dst_unused:UNUSED_PAD src0_sel:WORD_1
	v_add_f32_e32 v2, v2, v21
	v_add_f32_e32 v5, v5, v22
	;; [unrolled: 1-line block ×4, first 2 shown]
	v_fma_mixlo_f16 v2, v12, v2, 0
	v_fma_mixlo_f16 v5, v12, v5, 0
	;; [unrolled: 1-line block ×4, first 2 shown]
	s_waitcnt vmcnt(0)
	v_mul_f16_e32 v2, v6, v2
	v_mul_f16_sdwa v5, v6, v5 dst_sel:DWORD dst_unused:UNUSED_PAD src0_sel:WORD_1 src1_sel:DWORD
	v_mul_f16_e32 v6, v7, v19
	v_mul_f16_sdwa v7, v7, v20 dst_sel:DWORD dst_unused:UNUSED_PAD src0_sel:WORD_1 src1_sel:DWORD
	v_cvt_f32_f16_e64 v19, |v2|
	v_cvt_f32_f16_e64 v5, |v5|
	v_cvt_f32_f16_e64 v6, |v6|
	v_cvt_f32_f16_e64 v7, |v7|
	v_add_u32_e32 v2, s55, v4
	v_cmp_le_u32_e32 vcc, s51, v2
	v_max3_f32 v4, v15, v19, v5
	v_max3_f32 v15, v4, v6, v7
	s_orn2_b64 s[46:47], vcc, exec
	s_branch .LBB6_56
.LBB6_63:
	s_or_b64 exec, exec, s[36:37]
.LBB6_64:
	s_or_b64 exec, exec, s[28:29]
	ds_bpermute_b32 v2, v8, v15
	s_waitcnt lgkmcnt(0)
	v_cmp_lt_f32_e32 vcc, v15, v2
	v_cndmask_b32_e32 v2, v15, v2, vcc
	v_cndmask_b32_e64 v2, v15, v2, s[2:3]
	ds_bpermute_b32 v3, v9, v2
	s_or_b64 s[2:3], s[2:3], s[4:5]
	s_or_b64 s[2:3], s[8:9], s[2:3]
	;; [unrolled: 1-line block ×4, first 2 shown]
	s_waitcnt lgkmcnt(0)
	v_cmp_lt_f32_e32 vcc, v2, v3
	v_cndmask_b32_e32 v3, v2, v3, vcc
	v_cndmask_b32_e64 v2, v2, v3, s[4:5]
	ds_bpermute_b32 v3, v10, v2
	s_waitcnt lgkmcnt(0)
	v_cmp_lt_f32_e32 vcc, v2, v3
	v_cndmask_b32_e32 v3, v2, v3, vcc
	v_cndmask_b32_e64 v2, v2, v3, s[8:9]
	ds_bpermute_b32 v3, v11, v2
	;; [unrolled: 5-line block ×4, first 2 shown]
	s_waitcnt lgkmcnt(0)
	v_cmp_lt_f32_e32 vcc, v2, v3
	s_and_b64 vcc, s[20:21], vcc
	v_cndmask_b32_e32 v2, v2, v3, vcc
	s_or_b64 vcc, s[20:21], s[2:3]
	v_cndmask_b32_e32 v2, v15, v2, vcc
	s_and_saveexec_b64 s[2:3], s[14:15]
	s_cbranch_execz .LBB6_66
; %bb.65:
	v_lshrrev_b32_e32 v3, 4, v0
	v_and_b32_e32 v3, 60, v3
	ds_write_b32 v3, v2 offset:64
.LBB6_66:
	s_or_b64 exec, exec, s[2:3]
	s_waitcnt lgkmcnt(0)
	s_barrier
	s_and_saveexec_b64 s[8:9], s[16:17]
	s_cbranch_execz .LBB6_68
; %bb.67:
	v_lshlrev_b32_e32 v2, 2, v1
	ds_read_b32 v2, v2 offset:64
	v_and_b32_e32 v3, 15, v1
	v_cmp_ne_u32_e32 vcc, 15, v3
	v_addc_co_u32_e32 v4, vcc, 0, v1, vcc
	v_lshlrev_b32_e32 v4, 2, v4
	s_waitcnt lgkmcnt(0)
	ds_bpermute_b32 v4, v4, v2
	s_add_i32 s2, s52, 63
	s_lshr_b32 s4, s2, 6
	v_add_u32_e32 v5, 1, v3
	v_cmp_gt_u32_e64 s[2:3], 14, v3
	s_waitcnt lgkmcnt(0)
	v_cmp_lt_f32_e32 vcc, v2, v4
	v_cndmask_b32_e32 v4, v2, v4, vcc
	v_cmp_gt_u32_e32 vcc, s4, v5
	v_cndmask_b32_e64 v5, 0, 1, s[2:3]
	v_lshlrev_b32_e32 v5, 1, v5
	v_cndmask_b32_e32 v4, v2, v4, vcc
	v_add_lshl_u32 v5, v5, v1, 2
	ds_bpermute_b32 v5, v5, v4
	v_add_u32_e32 v6, 2, v3
	s_waitcnt lgkmcnt(0)
	v_cmp_lt_f32_e64 s[2:3], v4, v5
	v_cndmask_b32_e64 v5, v4, v5, s[2:3]
	v_cmp_gt_u32_e64 s[2:3], s4, v6
	v_cndmask_b32_e64 v4, v4, v5, s[2:3]
	v_cmp_gt_u32_e64 s[2:3], 12, v3
	v_cndmask_b32_e64 v5, 0, 1, s[2:3]
	v_lshlrev_b32_e32 v5, 2, v5
	v_add_lshl_u32 v5, v5, v1, 2
	ds_bpermute_b32 v5, v5, v4
	v_add_u32_e32 v6, 4, v3
	s_waitcnt lgkmcnt(0)
	v_cmp_lt_f32_e64 s[2:3], v4, v5
	v_cndmask_b32_e64 v5, v4, v5, s[2:3]
	v_cmp_gt_u32_e64 s[2:3], s4, v6
	v_cndmask_b32_e64 v4, v4, v5, s[2:3]
	v_cmp_gt_u32_e64 s[2:3], 8, v3
	v_cndmask_b32_e64 v5, 0, 1, s[2:3]
	v_lshlrev_b32_e32 v5, 3, v5
	v_add_lshl_u32 v1, v5, v1, 2
	ds_bpermute_b32 v1, v1, v4
	v_add_u32_e32 v3, 8, v3
	v_cmp_gt_u32_e64 s[2:3], s4, v3
	s_waitcnt lgkmcnt(0)
	v_cmp_lt_f32_e64 s[4:5], v4, v1
	s_and_b64 s[2:3], s[2:3], s[4:5]
	v_cndmask_b32_e64 v1, v4, v1, s[2:3]
	v_cndmask_b32_e32 v2, v2, v1, vcc
.LBB6_68:
	s_or_b64 exec, exec, s[8:9]
	s_and_saveexec_b64 s[2:3], s[18:19]
	s_cbranch_execz .LBB6_72
; %bb.69:
	s_cmp_eq_u64 s[22:23], 0
	s_cbranch_scc1 .LBB6_71
; %bb.70:
	s_load_dword s4, s[22:23], 0x0
	v_max_f32_e32 v1, v2, v2
	s_waitcnt lgkmcnt(0)
	v_max_f32_e64 v2, s4, s4
	v_min_f32_e32 v2, v1, v2
.LBB6_71:
	s_mov_b32 s8, 0x43e00000
	v_div_scale_f32 v1, s[4:5], s8, s8, v2
	v_rcp_f32_e32 v3, v1
	v_div_scale_f32 v4, vcc, v2, s8, v2
	s_lshl_b64 s[4:5], s[6:7], 2
	v_fma_f32 v5, -v1, v3, 1.0
	v_fmac_f32_e32 v3, v5, v3
	v_mul_f32_e32 v5, v4, v3
	v_fma_f32 v6, -v1, v5, v4
	v_fmac_f32_e32 v5, v6, v3
	v_fma_f32 v1, -v1, v5, v4
	v_div_fmas_f32 v1, v1, v3, v5
	v_div_fixup_f32 v1, v1, s8, v2
	s_add_u32 s4, s26, s4
	v_max_f32_e32 v1, 0x36924925, v1
	v_mov_b32_e32 v2, 0
	s_addc_u32 s5, s27, s5
	ds_write_b32 v2, v1 offset:260
	global_store_dword v2, v1, s[4:5]
.LBB6_72:
	s_or_b64 exec, exec, s[2:3]
	s_waitcnt lgkmcnt(0)
	s_barrier
	s_and_saveexec_b64 s[2:3], s[0:1]
	s_cbranch_execz .LBB6_177
; %bb.73:
	v_mov_b32_e32 v1, 0
	ds_read_b32 v13, v1 offset:260
	s_add_u32 s12, s24, s34
	s_addc_u32 s13, s25, s35
	s_mul_i32 s14, s52, 3
	s_lshl_b32 s15, s52, 1
	s_mov_b64 s[0:1], 0
	v_mov_b32_e32 v14, s48
	v_mov_b32_e32 v15, s31
	;; [unrolled: 1-line block ×3, first 2 shown]
	s_mov_b32 s16, 0x43f00000
	s_mov_b32 s17, 0x3c7fffff
	;; [unrolled: 1-line block ×4, first 2 shown]
	s_movk_i32 s20, 0x80
	s_movk_i32 s21, 0xff
	s_branch .LBB6_79
.LBB6_74:                               ;   in Loop: Header=BB6_79 Depth=1
	s_or_b64 exec, exec, s[10:11]
.LBB6_75:                               ;   in Loop: Header=BB6_79 Depth=1
	s_or_b64 exec, exec, s[8:9]
	v_and_b32_sdwa v7, v11, s20 dst_sel:DWORD dst_unused:UNUSED_PAD src0_sel:BYTE_3 src1_sel:DWORD
	v_lshrrev_b32_e32 v17, 24, v10
	v_lshlrev_b64 v[10:11], 2, v[0:1]
	v_mov_b32_e32 v0, s13
	v_add_co_u32_e32 v10, vcc, s12, v10
	v_and_b32_sdwa v4, v4, s20 dst_sel:DWORD dst_unused:UNUSED_PAD src0_sel:BYTE_3 src1_sel:DWORD
	v_addc_co_u32_e32 v11, vcc, v0, v11, vcc
	v_lshlrev_b32_e32 v0, 24, v6
	v_and_or_b32 v6, v9, s21, v7
	v_and_b32_e32 v5, 0x80000000, v5
	v_lshlrev_b32_e32 v6, 16, v6
	v_and_or_b32 v3, v3, s21, v4
	v_and_b32_e32 v4, 0xff, v8
	v_or3_b32 v0, v5, v0, v6
	v_lshlrev_b32_e32 v3, 8, v3
	v_and_or_b32 v4, v17, s20, v4
	s_add_i32 s8, s52, s52
	v_or3_b32 v0, v0, v3, v4
	s_add_i32 s8, s8, s52
	global_store_dword v[10:11], v0, off
	v_add_u32_e32 v0, s8, v2
	v_cmp_le_u32_e32 vcc, s51, v0
	s_orn2_b64 s[8:9], vcc, exec
.LBB6_76:                               ;   in Loop: Header=BB6_79 Depth=1
	s_or_b64 exec, exec, s[6:7]
	s_orn2_b64 s[6:7], s[8:9], exec
.LBB6_77:                               ;   in Loop: Header=BB6_79 Depth=1
	s_or_b64 exec, exec, s[4:5]
	s_orn2_b64 s[4:5], s[6:7], exec
.LBB6_78:                               ;   in Loop: Header=BB6_79 Depth=1
	s_or_b64 exec, exec, s[2:3]
	s_and_b64 s[2:3], exec, s[4:5]
	s_or_b64 s[0:1], s[2:3], s[0:1]
	s_andn2_b64 exec, exec, s[0:1]
	s_cbranch_execz .LBB6_177
.LBB6_79:                               ; =>This Inner Loop Header: Depth=1
	v_lshlrev_b64 v[2:3], 3, v[0:1]
	v_add_co_u32_e32 v4, vcc, s33, v2
	v_addc_co_u32_e32 v5, vcc, v14, v3, vcc
	v_add_co_u32_e32 v10, vcc, s49, v2
	v_addc_co_u32_e32 v11, vcc, v16, v3, vcc
	global_load_dwordx2 v[4:5], v[4:5], off
	v_add_co_u32_e32 v2, vcc, s30, v2
	global_load_dwordx2 v[6:7], v[10:11], off
	v_addc_co_u32_e32 v3, vcc, v15, v3, vcc
	global_load_dwordx2 v[2:3], v[2:3], off
	v_mov_b32_e32 v8, 0x7f
	s_waitcnt vmcnt(2)
	v_cvt_f32_f16_e32 v20, v4
	v_cvt_f32_f16_sdwa v21, v4 dst_sel:DWORD dst_unused:UNUSED_PAD src0_sel:WORD_1
	v_cvt_f32_f16_e32 v18, v5
	s_waitcnt vmcnt(1)
	v_cvt_f32_f16_e32 v22, v6
	v_cvt_f32_f16_sdwa v23, v6 dst_sel:DWORD dst_unused:UNUSED_PAD src0_sel:WORD_1
	v_cvt_f32_f16_sdwa v19, v5 dst_sel:DWORD dst_unused:UNUSED_PAD src0_sel:WORD_1
	v_cvt_f32_f16_e32 v4, v7
	v_cvt_f32_f16_sdwa v5, v7 dst_sel:DWORD dst_unused:UNUSED_PAD src0_sel:WORD_1
	v_pk_add_f32 v[6:7], v[20:21], v[22:23]
	v_cvt_f16_f32_e32 v20, v6
	v_fma_mixlo_f16 v6, v12, v6, 0
	v_pk_add_f32 v[4:5], v[18:19], v[4:5]
	s_waitcnt vmcnt(0)
	v_mul_f16_e32 v6, v2, v6
	v_cvt_f16_f32_e32 v9, v5
	v_cvt_f16_f32_e32 v17, v4
	v_cvt_f32_f16_e32 v6, v6
	v_cvt_f16_f32_e32 v18, v7
	v_pack_b32_f16 v19, v17, v9
	s_waitcnt lgkmcnt(0)
	v_div_scale_f32 v9, s[2:3], v13, v13, v6
	v_rcp_f32_e32 v17, v9
	v_pack_b32_f16 v18, v20, v18
	global_store_dwordx2 v[10:11], v[18:19], off
	v_div_scale_f32 v10, vcc, v6, v13, v6
	v_fma_f32 v11, -v9, v17, 1.0
	v_fmac_f32_e32 v17, v11, v17
	v_mul_f32_e32 v11, v10, v17
	v_fma_f32 v18, -v9, v11, v10
	v_fmac_f32_e32 v11, v18, v17
	v_fma_f32 v9, -v9, v11, v10
	v_div_fmas_f32 v9, v9, v17, v11
	v_div_fixup_f32 v6, v9, v13, v6
	v_min_f32_e32 v6, 0x43e00000, v6
	v_max_f32_e32 v9, 0xc3e00000, v6
	v_and_b32_e32 v10, 0x7fffffff, v9
	v_cmp_gt_u32_e32 vcc, s16, v10
	v_mov_b32_e32 v6, 0x7f
	s_and_saveexec_b64 s[2:3], vcc
	s_cbranch_execz .LBB6_85
; %bb.80:                               ;   in Loop: Header=BB6_79 Depth=1
	v_cmp_lt_u32_e32 vcc, s17, v10
                                        ; implicit-def: $vgpr6
	s_and_saveexec_b64 s[4:5], vcc
	s_xor_b64 s[4:5], exec, s[4:5]
; %bb.81:                               ;   in Loop: Header=BB6_79 Depth=1
	v_bfe_u32 v6, v9, 20, 1
	v_add3_u32 v6, v9, v6, s18
	v_lshrrev_b32_e32 v6, 20, v6
; %bb.82:                               ;   in Loop: Header=BB6_79 Depth=1
	s_andn2_saveexec_b64 s[4:5], s[4:5]
; %bb.83:                               ;   in Loop: Header=BB6_79 Depth=1
	v_add_f32_e64 v6, |v9|, s19
; %bb.84:                               ;   in Loop: Header=BB6_79 Depth=1
	s_or_b64 exec, exec, s[4:5]
.LBB6_85:                               ;   in Loop: Header=BB6_79 Depth=1
	s_or_b64 exec, exec, s[2:3]
	v_fma_mixlo_f16 v7, v12, v7, 0
	v_mul_f16_sdwa v2, v2, v7 dst_sel:DWORD dst_unused:UNUSED_PAD src0_sel:WORD_1 src1_sel:DWORD
	v_cvt_f32_f16_e32 v2, v2
	v_div_scale_f32 v7, s[2:3], v13, v13, v2
	v_rcp_f32_e32 v10, v7
	v_div_scale_f32 v11, vcc, v2, v13, v2
	v_fma_f32 v17, -v7, v10, 1.0
	v_fmac_f32_e32 v10, v17, v10
	v_mul_f32_e32 v17, v11, v10
	v_fma_f32 v18, -v7, v17, v11
	v_fmac_f32_e32 v17, v18, v10
	v_fma_f32 v7, -v7, v17, v11
	v_div_fmas_f32 v7, v7, v10, v17
	v_div_fixup_f32 v2, v7, v13, v2
	v_min_f32_e32 v2, 0x43e00000, v2
	v_max_f32_e32 v2, 0xc3e00000, v2
	v_and_b32_e32 v7, 0x7fffffff, v2
	v_cmp_gt_u32_e32 vcc, s16, v7
	s_and_saveexec_b64 s[2:3], vcc
	s_cbranch_execz .LBB6_91
; %bb.86:                               ;   in Loop: Header=BB6_79 Depth=1
	v_cmp_lt_u32_e32 vcc, s17, v7
                                        ; implicit-def: $vgpr8
	s_and_saveexec_b64 s[4:5], vcc
	s_xor_b64 s[4:5], exec, s[4:5]
; %bb.87:                               ;   in Loop: Header=BB6_79 Depth=1
	v_bfe_u32 v7, v2, 20, 1
	v_add3_u32 v7, v2, v7, s18
	v_lshrrev_b32_e32 v8, 20, v7
; %bb.88:                               ;   in Loop: Header=BB6_79 Depth=1
	s_andn2_saveexec_b64 s[4:5], s[4:5]
; %bb.89:                               ;   in Loop: Header=BB6_79 Depth=1
	v_add_f32_e64 v8, |v2|, s19
; %bb.90:                               ;   in Loop: Header=BB6_79 Depth=1
	s_or_b64 exec, exec, s[4:5]
.LBB6_91:                               ;   in Loop: Header=BB6_79 Depth=1
	s_or_b64 exec, exec, s[2:3]
	v_fma_mixlo_f16 v4, v12, v4, 0
	v_mul_f16_e32 v4, v3, v4
	v_cvt_f32_f16_e32 v7, v4
	v_mov_b32_e32 v4, 0x7f
	v_div_scale_f32 v10, s[2:3], v13, v13, v7
	v_rcp_f32_e32 v11, v10
	v_div_scale_f32 v17, vcc, v7, v13, v7
	v_fma_f32 v18, -v10, v11, 1.0
	v_fmac_f32_e32 v11, v18, v11
	v_mul_f32_e32 v18, v17, v11
	v_fma_f32 v19, -v10, v18, v17
	v_fmac_f32_e32 v18, v19, v11
	v_fma_f32 v10, -v10, v18, v17
	v_div_fmas_f32 v10, v10, v11, v18
	v_div_fixup_f32 v7, v10, v13, v7
	v_min_f32_e32 v7, 0x43e00000, v7
	v_max_f32_e32 v10, 0xc3e00000, v7
	v_and_b32_e32 v11, 0x7fffffff, v10
	v_cmp_gt_u32_e32 vcc, s16, v11
	v_mov_b32_e32 v7, 0x7f
	s_and_saveexec_b64 s[2:3], vcc
	s_cbranch_execz .LBB6_97
; %bb.92:                               ;   in Loop: Header=BB6_79 Depth=1
	v_cmp_lt_u32_e32 vcc, s17, v11
                                        ; implicit-def: $vgpr7
	s_and_saveexec_b64 s[4:5], vcc
	s_xor_b64 s[4:5], exec, s[4:5]
; %bb.93:                               ;   in Loop: Header=BB6_79 Depth=1
	v_bfe_u32 v7, v10, 20, 1
	v_add3_u32 v7, v10, v7, s18
	v_lshrrev_b32_e32 v7, 20, v7
; %bb.94:                               ;   in Loop: Header=BB6_79 Depth=1
	s_andn2_saveexec_b64 s[4:5], s[4:5]
; %bb.95:                               ;   in Loop: Header=BB6_79 Depth=1
	v_add_f32_e64 v7, |v10|, s19
; %bb.96:                               ;   in Loop: Header=BB6_79 Depth=1
	s_or_b64 exec, exec, s[4:5]
.LBB6_97:                               ;   in Loop: Header=BB6_79 Depth=1
	s_or_b64 exec, exec, s[2:3]
	v_fma_mixlo_f16 v5, v12, v5, 0
	v_mul_f16_sdwa v3, v3, v5 dst_sel:DWORD dst_unused:UNUSED_PAD src0_sel:WORD_1 src1_sel:DWORD
	v_cvt_f32_f16_e32 v3, v3
	v_div_scale_f32 v5, s[2:3], v13, v13, v3
	v_rcp_f32_e32 v11, v5
	v_div_scale_f32 v17, vcc, v3, v13, v3
	v_fma_f32 v18, -v5, v11, 1.0
	v_fmac_f32_e32 v11, v18, v11
	v_mul_f32_e32 v18, v17, v11
	v_fma_f32 v19, -v5, v18, v17
	v_fmac_f32_e32 v18, v19, v11
	v_fma_f32 v5, -v5, v18, v17
	v_div_fmas_f32 v5, v5, v11, v18
	v_div_fixup_f32 v3, v5, v13, v3
	v_min_f32_e32 v3, 0x43e00000, v3
	v_max_f32_e32 v3, 0xc3e00000, v3
	v_and_b32_e32 v5, 0x7fffffff, v3
	v_cmp_gt_u32_e32 vcc, s16, v5
	s_and_saveexec_b64 s[2:3], vcc
	s_cbranch_execz .LBB6_103
; %bb.98:                               ;   in Loop: Header=BB6_79 Depth=1
	v_cmp_lt_u32_e32 vcc, s17, v5
                                        ; implicit-def: $vgpr4
	s_and_saveexec_b64 s[4:5], vcc
	s_xor_b64 s[4:5], exec, s[4:5]
; %bb.99:                               ;   in Loop: Header=BB6_79 Depth=1
	v_bfe_u32 v4, v3, 20, 1
	v_add3_u32 v4, v3, v4, s18
	v_lshrrev_b32_e32 v4, 20, v4
; %bb.100:                              ;   in Loop: Header=BB6_79 Depth=1
	s_andn2_saveexec_b64 s[4:5], s[4:5]
; %bb.101:                              ;   in Loop: Header=BB6_79 Depth=1
	v_add_f32_e64 v4, |v3|, s19
; %bb.102:                              ;   in Loop: Header=BB6_79 Depth=1
	s_or_b64 exec, exec, s[4:5]
.LBB6_103:                              ;   in Loop: Header=BB6_79 Depth=1
	s_or_b64 exec, exec, s[2:3]
	v_and_b32_sdwa v5, v10, s20 dst_sel:DWORD dst_unused:UNUSED_PAD src0_sel:BYTE_3 src1_sel:DWORD
	v_and_or_b32 v5, v7, s21, v5
	v_and_b32_sdwa v2, v2, s20 dst_sel:DWORD dst_unused:UNUSED_PAD src0_sel:BYTE_3 src1_sel:DWORD
	v_lshlrev_b32_e32 v4, 24, v4
	v_and_b32_e32 v3, 0x80000000, v3
	v_lshlrev_b32_e32 v5, 16, v5
	v_lshrrev_b32_e32 v9, 24, v9
	v_lshlrev_b64 v[10:11], 2, v[0:1]
	v_or3_b32 v3, v3, v4, v5
	v_and_or_b32 v2, v8, s21, v2
	v_and_b32_e32 v4, 0xff, v6
	v_mov_b32_e32 v17, s13
	v_add_co_u32_e32 v10, vcc, s12, v10
	v_lshlrev_b32_e32 v2, 8, v2
	v_and_or_b32 v4, v9, s20, v4
	v_addc_co_u32_e32 v11, vcc, v17, v11, vcc
	v_or3_b32 v2, v3, v2, v4
	global_store_dword v[10:11], v2, off
	v_add_u32_e32 v2, s52, v0
	v_cmp_gt_u32_e32 vcc, s51, v2
	s_mov_b64 s[4:5], -1
	s_and_saveexec_b64 s[2:3], vcc
	s_cbranch_execz .LBB6_78
; %bb.104:                              ;   in Loop: Header=BB6_79 Depth=1
	v_mov_b32_e32 v3, v1
	v_lshlrev_b64 v[4:5], 3, v[2:3]
	v_mov_b32_e32 v7, s48
	v_add_co_u32_e32 v6, vcc, s33, v4
	v_addc_co_u32_e32 v7, vcc, v7, v5, vcc
	v_mov_b32_e32 v8, s50
	v_add_co_u32_e32 v18, vcc, s49, v4
	v_addc_co_u32_e32 v19, vcc, v8, v5, vcc
	global_load_dwordx2 v[6:7], v[6:7], off
	v_mov_b32_e32 v10, s31
	global_load_dwordx2 v[8:9], v[18:19], off
	v_add_co_u32_e32 v4, vcc, s30, v4
	v_addc_co_u32_e32 v5, vcc, v10, v5, vcc
	global_load_dwordx2 v[4:5], v[4:5], off
	v_mov_b32_e32 v10, 0x7f
	s_waitcnt vmcnt(2)
	v_cvt_f32_f16_e32 v22, v6
	v_cvt_f32_f16_sdwa v23, v6 dst_sel:DWORD dst_unused:UNUSED_PAD src0_sel:WORD_1
	s_waitcnt vmcnt(1)
	v_cvt_f32_f16_e32 v24, v8
	v_cvt_f32_f16_sdwa v25, v8 dst_sel:DWORD dst_unused:UNUSED_PAD src0_sel:WORD_1
	v_cvt_f32_f16_e32 v20, v7
	v_cvt_f32_f16_sdwa v21, v7 dst_sel:DWORD dst_unused:UNUSED_PAD src0_sel:WORD_1
	;; [unrolled: 2-line block ×3, first 2 shown]
	v_pk_add_f32 v[8:9], v[22:23], v[24:25]
	v_cvt_f16_f32_e32 v22, v8
	v_fma_mixlo_f16 v8, v12, v8, 0
	v_pk_add_f32 v[6:7], v[20:21], v[6:7]
	s_waitcnt vmcnt(0)
	v_mul_f16_e32 v8, v4, v8
	v_cvt_f16_f32_e32 v11, v7
	v_cvt_f16_f32_e32 v17, v6
	v_cvt_f32_f16_e32 v8, v8
	v_cvt_f16_f32_e32 v20, v9
	v_pack_b32_f16 v21, v17, v11
	v_div_scale_f32 v11, s[4:5], v13, v13, v8
	v_rcp_f32_e32 v17, v11
	v_pack_b32_f16 v20, v22, v20
	global_store_dwordx2 v[18:19], v[20:21], off
	v_div_scale_f32 v18, vcc, v8, v13, v8
	v_fma_f32 v19, -v11, v17, 1.0
	v_fmac_f32_e32 v17, v19, v17
	v_mul_f32_e32 v19, v18, v17
	v_fma_f32 v20, -v11, v19, v18
	v_fmac_f32_e32 v19, v20, v17
	v_fma_f32 v11, -v11, v19, v18
	v_div_fmas_f32 v11, v11, v17, v19
	v_div_fixup_f32 v8, v11, v13, v8
	v_min_f32_e32 v8, 0x43e00000, v8
	v_max_f32_e32 v11, 0xc3e00000, v8
	v_and_b32_e32 v17, 0x7fffffff, v11
	v_cmp_gt_u32_e32 vcc, s16, v17
	v_mov_b32_e32 v8, 0x7f
	s_and_saveexec_b64 s[4:5], vcc
	s_cbranch_execz .LBB6_110
; %bb.105:                              ;   in Loop: Header=BB6_79 Depth=1
	v_cmp_lt_u32_e32 vcc, s17, v17
                                        ; implicit-def: $vgpr8
	s_and_saveexec_b64 s[6:7], vcc
	s_xor_b64 s[6:7], exec, s[6:7]
; %bb.106:                              ;   in Loop: Header=BB6_79 Depth=1
	v_bfe_u32 v8, v11, 20, 1
	v_add3_u32 v8, v11, v8, s18
	v_lshrrev_b32_e32 v8, 20, v8
; %bb.107:                              ;   in Loop: Header=BB6_79 Depth=1
	s_andn2_saveexec_b64 s[6:7], s[6:7]
; %bb.108:                              ;   in Loop: Header=BB6_79 Depth=1
	v_add_f32_e64 v8, |v11|, s19
; %bb.109:                              ;   in Loop: Header=BB6_79 Depth=1
	s_or_b64 exec, exec, s[6:7]
.LBB6_110:                              ;   in Loop: Header=BB6_79 Depth=1
	s_or_b64 exec, exec, s[4:5]
	v_fma_mixlo_f16 v9, v12, v9, 0
	v_mul_f16_sdwa v4, v4, v9 dst_sel:DWORD dst_unused:UNUSED_PAD src0_sel:WORD_1 src1_sel:DWORD
	v_cvt_f32_f16_e32 v4, v4
	v_div_scale_f32 v9, s[4:5], v13, v13, v4
	v_rcp_f32_e32 v17, v9
	v_div_scale_f32 v18, vcc, v4, v13, v4
	v_fma_f32 v19, -v9, v17, 1.0
	v_fmac_f32_e32 v17, v19, v17
	v_mul_f32_e32 v19, v18, v17
	v_fma_f32 v20, -v9, v19, v18
	v_fmac_f32_e32 v19, v20, v17
	v_fma_f32 v9, -v9, v19, v18
	v_div_fmas_f32 v9, v9, v17, v19
	v_div_fixup_f32 v4, v9, v13, v4
	v_min_f32_e32 v4, 0x43e00000, v4
	v_max_f32_e32 v4, 0xc3e00000, v4
	v_and_b32_e32 v9, 0x7fffffff, v4
	v_cmp_gt_u32_e32 vcc, s16, v9
	s_and_saveexec_b64 s[4:5], vcc
	s_cbranch_execz .LBB6_116
; %bb.111:                              ;   in Loop: Header=BB6_79 Depth=1
	v_cmp_lt_u32_e32 vcc, s17, v9
                                        ; implicit-def: $vgpr10
	s_and_saveexec_b64 s[6:7], vcc
	s_xor_b64 s[6:7], exec, s[6:7]
; %bb.112:                              ;   in Loop: Header=BB6_79 Depth=1
	v_bfe_u32 v9, v4, 20, 1
	v_add3_u32 v9, v4, v9, s18
	v_lshrrev_b32_e32 v10, 20, v9
; %bb.113:                              ;   in Loop: Header=BB6_79 Depth=1
	s_andn2_saveexec_b64 s[6:7], s[6:7]
; %bb.114:                              ;   in Loop: Header=BB6_79 Depth=1
	v_add_f32_e64 v10, |v4|, s19
; %bb.115:                              ;   in Loop: Header=BB6_79 Depth=1
	s_or_b64 exec, exec, s[6:7]
.LBB6_116:                              ;   in Loop: Header=BB6_79 Depth=1
	s_or_b64 exec, exec, s[4:5]
	v_fma_mixlo_f16 v6, v12, v6, 0
	v_mul_f16_e32 v6, v5, v6
	v_cvt_f32_f16_e32 v9, v6
	v_mov_b32_e32 v6, 0x7f
	v_div_scale_f32 v17, s[4:5], v13, v13, v9
	v_rcp_f32_e32 v18, v17
	v_div_scale_f32 v19, vcc, v9, v13, v9
	v_fma_f32 v20, -v17, v18, 1.0
	v_fmac_f32_e32 v18, v20, v18
	v_mul_f32_e32 v20, v19, v18
	v_fma_f32 v21, -v17, v20, v19
	v_fmac_f32_e32 v20, v21, v18
	v_fma_f32 v17, -v17, v20, v19
	v_div_fmas_f32 v17, v17, v18, v20
	v_div_fixup_f32 v9, v17, v13, v9
	v_min_f32_e32 v9, 0x43e00000, v9
	v_max_f32_e32 v17, 0xc3e00000, v9
	v_and_b32_e32 v18, 0x7fffffff, v17
	v_cmp_gt_u32_e32 vcc, s16, v18
	v_mov_b32_e32 v9, 0x7f
	s_and_saveexec_b64 s[4:5], vcc
	s_cbranch_execz .LBB6_122
; %bb.117:                              ;   in Loop: Header=BB6_79 Depth=1
	v_cmp_lt_u32_e32 vcc, s17, v18
                                        ; implicit-def: $vgpr9
	s_and_saveexec_b64 s[6:7], vcc
	s_xor_b64 s[6:7], exec, s[6:7]
; %bb.118:                              ;   in Loop: Header=BB6_79 Depth=1
	v_bfe_u32 v9, v17, 20, 1
	v_add3_u32 v9, v17, v9, s18
	v_lshrrev_b32_e32 v9, 20, v9
; %bb.119:                              ;   in Loop: Header=BB6_79 Depth=1
	s_andn2_saveexec_b64 s[6:7], s[6:7]
; %bb.120:                              ;   in Loop: Header=BB6_79 Depth=1
	v_add_f32_e64 v9, |v17|, s19
; %bb.121:                              ;   in Loop: Header=BB6_79 Depth=1
	s_or_b64 exec, exec, s[6:7]
.LBB6_122:                              ;   in Loop: Header=BB6_79 Depth=1
	s_or_b64 exec, exec, s[4:5]
	v_fma_mixlo_f16 v7, v12, v7, 0
	v_mul_f16_sdwa v5, v5, v7 dst_sel:DWORD dst_unused:UNUSED_PAD src0_sel:WORD_1 src1_sel:DWORD
	v_cvt_f32_f16_e32 v5, v5
	v_div_scale_f32 v7, s[4:5], v13, v13, v5
	v_rcp_f32_e32 v18, v7
	v_div_scale_f32 v19, vcc, v5, v13, v5
	v_fma_f32 v20, -v7, v18, 1.0
	v_fmac_f32_e32 v18, v20, v18
	v_mul_f32_e32 v20, v19, v18
	v_fma_f32 v21, -v7, v20, v19
	v_fmac_f32_e32 v20, v21, v18
	v_fma_f32 v7, -v7, v20, v19
	v_div_fmas_f32 v7, v7, v18, v20
	v_div_fixup_f32 v5, v7, v13, v5
	v_min_f32_e32 v5, 0x43e00000, v5
	v_max_f32_e32 v5, 0xc3e00000, v5
	v_and_b32_e32 v7, 0x7fffffff, v5
	v_cmp_gt_u32_e32 vcc, s16, v7
	s_and_saveexec_b64 s[4:5], vcc
	s_cbranch_execz .LBB6_128
; %bb.123:                              ;   in Loop: Header=BB6_79 Depth=1
	v_cmp_lt_u32_e32 vcc, s17, v7
                                        ; implicit-def: $vgpr6
	s_and_saveexec_b64 s[6:7], vcc
	s_xor_b64 s[6:7], exec, s[6:7]
; %bb.124:                              ;   in Loop: Header=BB6_79 Depth=1
	v_bfe_u32 v6, v5, 20, 1
	v_add3_u32 v6, v5, v6, s18
	v_lshrrev_b32_e32 v6, 20, v6
; %bb.125:                              ;   in Loop: Header=BB6_79 Depth=1
	s_andn2_saveexec_b64 s[6:7], s[6:7]
; %bb.126:                              ;   in Loop: Header=BB6_79 Depth=1
	v_add_f32_e64 v6, |v5|, s19
; %bb.127:                              ;   in Loop: Header=BB6_79 Depth=1
	s_or_b64 exec, exec, s[6:7]
.LBB6_128:                              ;   in Loop: Header=BB6_79 Depth=1
	s_or_b64 exec, exec, s[4:5]
	v_lshlrev_b64 v[18:19], 2, v[2:3]
	v_and_b32_sdwa v7, v17, s20 dst_sel:DWORD dst_unused:UNUSED_PAD src0_sel:BYTE_3 src1_sel:DWORD
	v_mov_b32_e32 v3, s13
	v_add_co_u32_e32 v18, vcc, s12, v18
	v_addc_co_u32_e32 v19, vcc, v3, v19, vcc
	v_lshlrev_b32_e32 v3, 24, v6
	v_and_or_b32 v6, v9, s21, v7
	v_and_b32_sdwa v4, v4, s20 dst_sel:DWORD dst_unused:UNUSED_PAD src0_sel:BYTE_3 src1_sel:DWORD
	v_and_b32_e32 v5, 0x80000000, v5
	v_lshlrev_b32_e32 v6, 16, v6
	v_lshrrev_b32_e32 v11, 24, v11
	v_or3_b32 v3, v5, v3, v6
	v_and_or_b32 v4, v10, s21, v4
	v_and_b32_e32 v5, 0xff, v8
	v_lshlrev_b32_e32 v4, 8, v4
	v_and_or_b32 v5, v11, s20, v5
	v_or3_b32 v3, v3, v4, v5
	v_add_u32_e32 v4, s15, v0
	v_cmp_gt_u32_e32 vcc, s51, v4
	s_mov_b64 s[6:7], -1
	global_store_dword v[18:19], v3, off
	s_and_saveexec_b64 s[4:5], vcc
	s_cbranch_execz .LBB6_77
; %bb.129:                              ;   in Loop: Header=BB6_79 Depth=1
	v_mov_b32_e32 v5, v1
	v_lshlrev_b64 v[6:7], 3, v[4:5]
	v_mov_b32_e32 v3, s48
	v_add_co_u32_e32 v8, vcc, s33, v6
	v_addc_co_u32_e32 v9, vcc, v3, v7, vcc
	v_mov_b32_e32 v3, s50
	v_add_co_u32_e32 v18, vcc, s49, v6
	v_addc_co_u32_e32 v19, vcc, v3, v7, vcc
	global_load_dwordx2 v[8:9], v[8:9], off
	v_mov_b32_e32 v3, s31
	global_load_dwordx2 v[10:11], v[18:19], off
	v_add_co_u32_e32 v6, vcc, s30, v6
	v_addc_co_u32_e32 v7, vcc, v3, v7, vcc
	global_load_dwordx2 v[6:7], v[6:7], off
	v_mov_b32_e32 v3, 0x7f
	s_waitcnt vmcnt(2)
	v_cvt_f32_f16_e32 v22, v8
	v_cvt_f32_f16_sdwa v23, v8 dst_sel:DWORD dst_unused:UNUSED_PAD src0_sel:WORD_1
	s_waitcnt vmcnt(1)
	v_cvt_f32_f16_e32 v24, v10
	v_cvt_f32_f16_sdwa v25, v10 dst_sel:DWORD dst_unused:UNUSED_PAD src0_sel:WORD_1
	v_cvt_f32_f16_e32 v20, v9
	v_cvt_f32_f16_sdwa v21, v9 dst_sel:DWORD dst_unused:UNUSED_PAD src0_sel:WORD_1
	v_cvt_f32_f16_e32 v8, v11
	v_cvt_f32_f16_sdwa v9, v11 dst_sel:DWORD dst_unused:UNUSED_PAD src0_sel:WORD_1
	v_pk_add_f32 v[10:11], v[22:23], v[24:25]
	v_cvt_f16_f32_e32 v23, v10
	v_fma_mixlo_f16 v10, v12, v10, 0
	v_pk_add_f32 v[8:9], v[20:21], v[8:9]
	s_waitcnt vmcnt(0)
	v_mul_f16_e32 v10, v6, v10
	v_cvt_f16_f32_e32 v17, v9
	v_cvt_f16_f32_e32 v20, v8
	v_cvt_f32_f16_e32 v10, v10
	v_cvt_f16_f32_e32 v22, v11
	v_pack_b32_f16 v21, v20, v17
	v_div_scale_f32 v17, s[6:7], v13, v13, v10
	v_pack_b32_f16 v20, v23, v22
	v_rcp_f32_e32 v22, v17
	global_store_dwordx2 v[18:19], v[20:21], off
	v_div_scale_f32 v18, vcc, v10, v13, v10
	v_fma_f32 v19, -v17, v22, 1.0
	v_fmac_f32_e32 v22, v19, v22
	v_mul_f32_e32 v19, v18, v22
	v_fma_f32 v20, -v17, v19, v18
	v_fmac_f32_e32 v19, v20, v22
	v_fma_f32 v17, -v17, v19, v18
	v_div_fmas_f32 v17, v17, v22, v19
	v_div_fixup_f32 v10, v17, v13, v10
	v_min_f32_e32 v10, 0x43e00000, v10
	v_max_f32_e32 v17, 0xc3e00000, v10
	v_and_b32_e32 v18, 0x7fffffff, v17
	v_cmp_gt_u32_e32 vcc, s16, v18
	v_mov_b32_e32 v10, 0x7f
	s_and_saveexec_b64 s[6:7], vcc
	s_cbranch_execz .LBB6_135
; %bb.130:                              ;   in Loop: Header=BB6_79 Depth=1
	v_cmp_lt_u32_e32 vcc, s17, v18
                                        ; implicit-def: $vgpr10
	s_and_saveexec_b64 s[8:9], vcc
	s_xor_b64 s[8:9], exec, s[8:9]
; %bb.131:                              ;   in Loop: Header=BB6_79 Depth=1
	v_bfe_u32 v10, v17, 20, 1
	v_add3_u32 v10, v17, v10, s18
	v_lshrrev_b32_e32 v10, 20, v10
; %bb.132:                              ;   in Loop: Header=BB6_79 Depth=1
	s_andn2_saveexec_b64 s[8:9], s[8:9]
; %bb.133:                              ;   in Loop: Header=BB6_79 Depth=1
	v_add_f32_e64 v10, |v17|, s19
; %bb.134:                              ;   in Loop: Header=BB6_79 Depth=1
	s_or_b64 exec, exec, s[8:9]
.LBB6_135:                              ;   in Loop: Header=BB6_79 Depth=1
	s_or_b64 exec, exec, s[6:7]
	v_fma_mixlo_f16 v11, v12, v11, 0
	v_mul_f16_sdwa v6, v6, v11 dst_sel:DWORD dst_unused:UNUSED_PAD src0_sel:WORD_1 src1_sel:DWORD
	v_cvt_f32_f16_e32 v6, v6
	v_div_scale_f32 v11, s[6:7], v13, v13, v6
	v_rcp_f32_e32 v18, v11
	v_div_scale_f32 v19, vcc, v6, v13, v6
	v_fma_f32 v20, -v11, v18, 1.0
	v_fmac_f32_e32 v18, v20, v18
	v_mul_f32_e32 v20, v19, v18
	v_fma_f32 v21, -v11, v20, v19
	v_fmac_f32_e32 v20, v21, v18
	v_fma_f32 v11, -v11, v20, v19
	v_div_fmas_f32 v11, v11, v18, v20
	v_div_fixup_f32 v6, v11, v13, v6
	v_min_f32_e32 v6, 0x43e00000, v6
	v_max_f32_e32 v6, 0xc3e00000, v6
	v_and_b32_e32 v11, 0x7fffffff, v6
	v_cmp_gt_u32_e32 vcc, s16, v11
	s_and_saveexec_b64 s[6:7], vcc
	s_cbranch_execz .LBB6_141
; %bb.136:                              ;   in Loop: Header=BB6_79 Depth=1
	v_cmp_lt_u32_e32 vcc, s17, v11
                                        ; implicit-def: $vgpr3
	s_and_saveexec_b64 s[8:9], vcc
	s_xor_b64 s[8:9], exec, s[8:9]
; %bb.137:                              ;   in Loop: Header=BB6_79 Depth=1
	v_bfe_u32 v3, v6, 20, 1
	v_add3_u32 v3, v6, v3, s18
	v_lshrrev_b32_e32 v3, 20, v3
; %bb.138:                              ;   in Loop: Header=BB6_79 Depth=1
	s_andn2_saveexec_b64 s[8:9], s[8:9]
; %bb.139:                              ;   in Loop: Header=BB6_79 Depth=1
	v_add_f32_e64 v3, |v6|, s19
; %bb.140:                              ;   in Loop: Header=BB6_79 Depth=1
	s_or_b64 exec, exec, s[8:9]
.LBB6_141:                              ;   in Loop: Header=BB6_79 Depth=1
	s_or_b64 exec, exec, s[6:7]
	v_fma_mixlo_f16 v8, v12, v8, 0
	v_mul_f16_e32 v8, v7, v8
	v_cvt_f32_f16_e32 v11, v8
	v_mov_b32_e32 v8, 0x7f
	v_div_scale_f32 v18, s[6:7], v13, v13, v11
	v_rcp_f32_e32 v19, v18
	v_div_scale_f32 v20, vcc, v11, v13, v11
	v_fma_f32 v21, -v18, v19, 1.0
	v_fmac_f32_e32 v19, v21, v19
	v_mul_f32_e32 v21, v20, v19
	v_fma_f32 v22, -v18, v21, v20
	v_fmac_f32_e32 v21, v22, v19
	v_fma_f32 v18, -v18, v21, v20
	v_div_fmas_f32 v18, v18, v19, v21
	v_div_fixup_f32 v11, v18, v13, v11
	v_min_f32_e32 v11, 0x43e00000, v11
	v_max_f32_e32 v18, 0xc3e00000, v11
	v_and_b32_e32 v19, 0x7fffffff, v18
	v_cmp_gt_u32_e32 vcc, s16, v19
	v_mov_b32_e32 v11, 0x7f
	s_and_saveexec_b64 s[6:7], vcc
	s_cbranch_execz .LBB6_147
; %bb.142:                              ;   in Loop: Header=BB6_79 Depth=1
	v_cmp_lt_u32_e32 vcc, s17, v19
                                        ; implicit-def: $vgpr11
	s_and_saveexec_b64 s[8:9], vcc
	s_xor_b64 s[8:9], exec, s[8:9]
; %bb.143:                              ;   in Loop: Header=BB6_79 Depth=1
	v_bfe_u32 v11, v18, 20, 1
	v_add3_u32 v11, v18, v11, s18
	v_lshrrev_b32_e32 v11, 20, v11
; %bb.144:                              ;   in Loop: Header=BB6_79 Depth=1
	s_andn2_saveexec_b64 s[8:9], s[8:9]
; %bb.145:                              ;   in Loop: Header=BB6_79 Depth=1
	v_add_f32_e64 v11, |v18|, s19
; %bb.146:                              ;   in Loop: Header=BB6_79 Depth=1
	s_or_b64 exec, exec, s[8:9]
.LBB6_147:                              ;   in Loop: Header=BB6_79 Depth=1
	s_or_b64 exec, exec, s[6:7]
	v_fma_mixlo_f16 v9, v12, v9, 0
	v_mul_f16_sdwa v7, v7, v9 dst_sel:DWORD dst_unused:UNUSED_PAD src0_sel:WORD_1 src1_sel:DWORD
	v_cvt_f32_f16_e32 v7, v7
	v_div_scale_f32 v9, s[6:7], v13, v13, v7
	v_rcp_f32_e32 v19, v9
	v_div_scale_f32 v20, vcc, v7, v13, v7
	v_fma_f32 v21, -v9, v19, 1.0
	v_fmac_f32_e32 v19, v21, v19
	v_mul_f32_e32 v21, v20, v19
	v_fma_f32 v22, -v9, v21, v20
	v_fmac_f32_e32 v21, v22, v19
	v_fma_f32 v9, -v9, v21, v20
	v_div_fmas_f32 v9, v9, v19, v21
	v_div_fixup_f32 v7, v9, v13, v7
	v_min_f32_e32 v7, 0x43e00000, v7
	v_max_f32_e32 v7, 0xc3e00000, v7
	v_and_b32_e32 v9, 0x7fffffff, v7
	v_cmp_gt_u32_e32 vcc, s16, v9
	s_and_saveexec_b64 s[6:7], vcc
	s_cbranch_execz .LBB6_153
; %bb.148:                              ;   in Loop: Header=BB6_79 Depth=1
	v_cmp_lt_u32_e32 vcc, s17, v9
                                        ; implicit-def: $vgpr8
	s_and_saveexec_b64 s[8:9], vcc
	s_xor_b64 s[8:9], exec, s[8:9]
; %bb.149:                              ;   in Loop: Header=BB6_79 Depth=1
	v_bfe_u32 v8, v7, 20, 1
	v_add3_u32 v8, v7, v8, s18
	v_lshrrev_b32_e32 v8, 20, v8
; %bb.150:                              ;   in Loop: Header=BB6_79 Depth=1
	s_andn2_saveexec_b64 s[8:9], s[8:9]
; %bb.151:                              ;   in Loop: Header=BB6_79 Depth=1
	v_add_f32_e64 v8, |v7|, s19
; %bb.152:                              ;   in Loop: Header=BB6_79 Depth=1
	s_or_b64 exec, exec, s[8:9]
.LBB6_153:                              ;   in Loop: Header=BB6_79 Depth=1
	s_or_b64 exec, exec, s[6:7]
	v_and_b32_sdwa v9, v18, s20 dst_sel:DWORD dst_unused:UNUSED_PAD src0_sel:BYTE_3 src1_sel:DWORD
	v_and_b32_sdwa v6, v6, s20 dst_sel:DWORD dst_unused:UNUSED_PAD src0_sel:BYTE_3 src1_sel:DWORD
	v_lshlrev_b64 v[4:5], 2, v[4:5]
	v_and_or_b32 v9, v11, s21, v9
	v_lshrrev_b32_e32 v17, 24, v17
	v_mov_b32_e32 v18, s13
	v_add_co_u32_e32 v4, vcc, s12, v4
	v_lshlrev_b32_e32 v8, 24, v8
	v_and_b32_e32 v7, 0x80000000, v7
	v_lshlrev_b32_e32 v9, 16, v9
	v_and_or_b32 v3, v3, s21, v6
	v_and_b32_e32 v6, 0xff, v10
	v_addc_co_u32_e32 v5, vcc, v18, v5, vcc
	v_or3_b32 v7, v7, v8, v9
	v_lshlrev_b32_e32 v3, 8, v3
	v_and_or_b32 v6, v17, s20, v6
	v_add_u32_e32 v0, s14, v0
	v_or3_b32 v3, v7, v3, v6
	v_cmp_gt_u32_e32 vcc, s51, v0
	s_mov_b64 s[8:9], -1
	global_store_dword v[4:5], v3, off
	s_and_saveexec_b64 s[6:7], vcc
	s_cbranch_execz .LBB6_76
; %bb.154:                              ;   in Loop: Header=BB6_79 Depth=1
	v_lshlrev_b64 v[4:5], 3, v[0:1]
	v_mov_b32_e32 v3, s48
	v_add_co_u32_e32 v6, vcc, s33, v4
	v_addc_co_u32_e32 v7, vcc, v3, v5, vcc
	v_mov_b32_e32 v3, s50
	v_add_co_u32_e32 v10, vcc, s49, v4
	v_addc_co_u32_e32 v11, vcc, v3, v5, vcc
	global_load_dwordx2 v[6:7], v[6:7], off
	v_mov_b32_e32 v3, s31
	global_load_dwordx2 v[8:9], v[10:11], off
	v_add_co_u32_e32 v4, vcc, s30, v4
	v_addc_co_u32_e32 v5, vcc, v3, v5, vcc
	global_load_dwordx2 v[4:5], v[4:5], off
	v_mov_b32_e32 v3, 0x7f
	s_waitcnt vmcnt(2)
	v_cvt_f32_f16_e32 v20, v6
	v_cvt_f32_f16_sdwa v21, v6 dst_sel:DWORD dst_unused:UNUSED_PAD src0_sel:WORD_1
	s_waitcnt vmcnt(1)
	v_cvt_f32_f16_e32 v22, v8
	v_cvt_f32_f16_sdwa v23, v8 dst_sel:DWORD dst_unused:UNUSED_PAD src0_sel:WORD_1
	v_cvt_f32_f16_e32 v18, v7
	v_cvt_f32_f16_sdwa v19, v7 dst_sel:DWORD dst_unused:UNUSED_PAD src0_sel:WORD_1
	;; [unrolled: 2-line block ×3, first 2 shown]
	v_pk_add_f32 v[8:9], v[20:21], v[22:23]
	v_cvt_f16_f32_e32 v21, v8
	v_fma_mixlo_f16 v8, v12, v8, 0
	v_pk_add_f32 v[6:7], v[18:19], v[6:7]
	s_waitcnt vmcnt(0)
	v_mul_f16_e32 v8, v4, v8
	v_cvt_f16_f32_e32 v17, v7
	v_cvt_f16_f32_e32 v18, v6
	v_cvt_f32_f16_e32 v8, v8
	v_cvt_f16_f32_e32 v20, v9
	v_pack_b32_f16 v19, v18, v17
	v_div_scale_f32 v17, s[8:9], v13, v13, v8
	v_pack_b32_f16 v18, v21, v20
	v_rcp_f32_e32 v20, v17
	global_store_dwordx2 v[10:11], v[18:19], off
	v_div_scale_f32 v10, vcc, v8, v13, v8
	v_fma_f32 v11, -v17, v20, 1.0
	v_fmac_f32_e32 v20, v11, v20
	v_mul_f32_e32 v11, v10, v20
	v_fma_f32 v18, -v17, v11, v10
	v_fmac_f32_e32 v11, v18, v20
	v_fma_f32 v10, -v17, v11, v10
	v_div_fmas_f32 v10, v10, v20, v11
	v_div_fixup_f32 v8, v10, v13, v8
	v_min_f32_e32 v8, 0x43e00000, v8
	v_max_f32_e32 v10, 0xc3e00000, v8
	v_and_b32_e32 v11, 0x7fffffff, v10
	v_cmp_gt_u32_e32 vcc, s16, v11
	v_mov_b32_e32 v8, 0x7f
	s_and_saveexec_b64 s[8:9], vcc
	s_cbranch_execz .LBB6_160
; %bb.155:                              ;   in Loop: Header=BB6_79 Depth=1
	v_cmp_lt_u32_e32 vcc, s17, v11
                                        ; implicit-def: $vgpr8
	s_and_saveexec_b64 s[10:11], vcc
	s_xor_b64 s[10:11], exec, s[10:11]
; %bb.156:                              ;   in Loop: Header=BB6_79 Depth=1
	v_bfe_u32 v8, v10, 20, 1
	v_add3_u32 v8, v10, v8, s18
	v_lshrrev_b32_e32 v8, 20, v8
; %bb.157:                              ;   in Loop: Header=BB6_79 Depth=1
	s_andn2_saveexec_b64 s[10:11], s[10:11]
; %bb.158:                              ;   in Loop: Header=BB6_79 Depth=1
	v_add_f32_e64 v8, |v10|, s19
; %bb.159:                              ;   in Loop: Header=BB6_79 Depth=1
	s_or_b64 exec, exec, s[10:11]
.LBB6_160:                              ;   in Loop: Header=BB6_79 Depth=1
	s_or_b64 exec, exec, s[8:9]
	v_fma_mixlo_f16 v9, v12, v9, 0
	v_mul_f16_sdwa v4, v4, v9 dst_sel:DWORD dst_unused:UNUSED_PAD src0_sel:WORD_1 src1_sel:DWORD
	v_cvt_f32_f16_e32 v4, v4
	v_div_scale_f32 v9, s[8:9], v13, v13, v4
	v_rcp_f32_e32 v11, v9
	v_div_scale_f32 v17, vcc, v4, v13, v4
	v_fma_f32 v18, -v9, v11, 1.0
	v_fmac_f32_e32 v11, v18, v11
	v_mul_f32_e32 v18, v17, v11
	v_fma_f32 v19, -v9, v18, v17
	v_fmac_f32_e32 v18, v19, v11
	v_fma_f32 v9, -v9, v18, v17
	v_div_fmas_f32 v9, v9, v11, v18
	v_div_fixup_f32 v4, v9, v13, v4
	v_min_f32_e32 v4, 0x43e00000, v4
	v_max_f32_e32 v4, 0xc3e00000, v4
	v_and_b32_e32 v9, 0x7fffffff, v4
	v_cmp_gt_u32_e32 vcc, s16, v9
	s_and_saveexec_b64 s[8:9], vcc
	s_cbranch_execz .LBB6_166
; %bb.161:                              ;   in Loop: Header=BB6_79 Depth=1
	v_cmp_lt_u32_e32 vcc, s17, v9
                                        ; implicit-def: $vgpr3
	s_and_saveexec_b64 s[10:11], vcc
	s_xor_b64 s[10:11], exec, s[10:11]
; %bb.162:                              ;   in Loop: Header=BB6_79 Depth=1
	v_bfe_u32 v3, v4, 20, 1
	v_add3_u32 v3, v4, v3, s18
	v_lshrrev_b32_e32 v3, 20, v3
; %bb.163:                              ;   in Loop: Header=BB6_79 Depth=1
	s_andn2_saveexec_b64 s[10:11], s[10:11]
; %bb.164:                              ;   in Loop: Header=BB6_79 Depth=1
	v_add_f32_e64 v3, |v4|, s19
; %bb.165:                              ;   in Loop: Header=BB6_79 Depth=1
	s_or_b64 exec, exec, s[10:11]
.LBB6_166:                              ;   in Loop: Header=BB6_79 Depth=1
	s_or_b64 exec, exec, s[8:9]
	v_fma_mixlo_f16 v6, v12, v6, 0
	v_mul_f16_e32 v6, v5, v6
	v_cvt_f32_f16_e32 v9, v6
	v_mov_b32_e32 v6, 0x7f
	v_div_scale_f32 v11, s[8:9], v13, v13, v9
	v_rcp_f32_e32 v17, v11
	v_div_scale_f32 v18, vcc, v9, v13, v9
	v_fma_f32 v19, -v11, v17, 1.0
	v_fmac_f32_e32 v17, v19, v17
	v_mul_f32_e32 v19, v18, v17
	v_fma_f32 v20, -v11, v19, v18
	v_fmac_f32_e32 v19, v20, v17
	v_fma_f32 v11, -v11, v19, v18
	v_div_fmas_f32 v11, v11, v17, v19
	v_div_fixup_f32 v9, v11, v13, v9
	v_min_f32_e32 v9, 0x43e00000, v9
	v_max_f32_e32 v11, 0xc3e00000, v9
	v_and_b32_e32 v17, 0x7fffffff, v11
	v_cmp_gt_u32_e32 vcc, s16, v17
	v_mov_b32_e32 v9, 0x7f
	s_and_saveexec_b64 s[8:9], vcc
	s_cbranch_execz .LBB6_172
; %bb.167:                              ;   in Loop: Header=BB6_79 Depth=1
	v_cmp_lt_u32_e32 vcc, s17, v17
                                        ; implicit-def: $vgpr9
	s_and_saveexec_b64 s[10:11], vcc
	s_xor_b64 s[10:11], exec, s[10:11]
; %bb.168:                              ;   in Loop: Header=BB6_79 Depth=1
	v_bfe_u32 v9, v11, 20, 1
	v_add3_u32 v9, v11, v9, s18
	v_lshrrev_b32_e32 v9, 20, v9
; %bb.169:                              ;   in Loop: Header=BB6_79 Depth=1
	s_andn2_saveexec_b64 s[10:11], s[10:11]
; %bb.170:                              ;   in Loop: Header=BB6_79 Depth=1
	v_add_f32_e64 v9, |v11|, s19
; %bb.171:                              ;   in Loop: Header=BB6_79 Depth=1
	s_or_b64 exec, exec, s[10:11]
.LBB6_172:                              ;   in Loop: Header=BB6_79 Depth=1
	s_or_b64 exec, exec, s[8:9]
	v_fma_mixlo_f16 v7, v12, v7, 0
	v_mul_f16_sdwa v5, v5, v7 dst_sel:DWORD dst_unused:UNUSED_PAD src0_sel:WORD_1 src1_sel:DWORD
	v_cvt_f32_f16_e32 v5, v5
	v_div_scale_f32 v7, s[8:9], v13, v13, v5
	v_rcp_f32_e32 v17, v7
	v_div_scale_f32 v18, vcc, v5, v13, v5
	v_fma_f32 v19, -v7, v17, 1.0
	v_fmac_f32_e32 v17, v19, v17
	v_mul_f32_e32 v19, v18, v17
	v_fma_f32 v20, -v7, v19, v18
	v_fmac_f32_e32 v19, v20, v17
	v_fma_f32 v7, -v7, v19, v18
	v_div_fmas_f32 v7, v7, v17, v19
	v_div_fixup_f32 v5, v7, v13, v5
	v_min_f32_e32 v5, 0x43e00000, v5
	v_max_f32_e32 v5, 0xc3e00000, v5
	v_and_b32_e32 v7, 0x7fffffff, v5
	v_cmp_gt_u32_e32 vcc, s16, v7
	s_and_saveexec_b64 s[8:9], vcc
	s_cbranch_execz .LBB6_75
; %bb.173:                              ;   in Loop: Header=BB6_79 Depth=1
	v_cmp_lt_u32_e32 vcc, s17, v7
                                        ; implicit-def: $vgpr6
	s_and_saveexec_b64 s[10:11], vcc
	s_xor_b64 s[10:11], exec, s[10:11]
; %bb.174:                              ;   in Loop: Header=BB6_79 Depth=1
	v_bfe_u32 v6, v5, 20, 1
	v_add3_u32 v6, v5, v6, s18
	v_lshrrev_b32_e32 v6, 20, v6
; %bb.175:                              ;   in Loop: Header=BB6_79 Depth=1
	s_andn2_saveexec_b64 s[10:11], s[10:11]
	s_cbranch_execz .LBB6_74
; %bb.176:                              ;   in Loop: Header=BB6_79 Depth=1
	v_add_f32_e64 v6, |v5|, s19
	s_branch .LBB6_74
.LBB6_177:
	s_endpgm
	.section	.rodata,"a",@progbits
	.p2align	6, 0x0
	.amdhsa_kernel _ZN4vllm39rms_norm_dynamic_per_token_quant_kernelIN3c104HalfENS1_13Float8_e4m3fnELb1EEEvPT0_PfPKT_S9_PKffiiPS7_
		.amdhsa_group_segment_fixed_size 272
		.amdhsa_private_segment_fixed_size 0
		.amdhsa_kernarg_size 320
		.amdhsa_user_sgpr_count 6
		.amdhsa_user_sgpr_private_segment_buffer 1
		.amdhsa_user_sgpr_dispatch_ptr 0
		.amdhsa_user_sgpr_queue_ptr 0
		.amdhsa_user_sgpr_kernarg_segment_ptr 1
		.amdhsa_user_sgpr_dispatch_id 0
		.amdhsa_user_sgpr_flat_scratch_init 0
		.amdhsa_user_sgpr_kernarg_preload_length 0
		.amdhsa_user_sgpr_kernarg_preload_offset 0
		.amdhsa_user_sgpr_private_segment_size 0
		.amdhsa_uses_dynamic_stack 0
		.amdhsa_system_sgpr_private_segment_wavefront_offset 0
		.amdhsa_system_sgpr_workgroup_id_x 1
		.amdhsa_system_sgpr_workgroup_id_y 0
		.amdhsa_system_sgpr_workgroup_id_z 0
		.amdhsa_system_sgpr_workgroup_info 0
		.amdhsa_system_vgpr_workitem_id 0
		.amdhsa_next_free_vgpr 32
		.amdhsa_next_free_sgpr 56
		.amdhsa_accum_offset 32
		.amdhsa_reserve_vcc 1
		.amdhsa_reserve_flat_scratch 0
		.amdhsa_float_round_mode_32 0
		.amdhsa_float_round_mode_16_64 0
		.amdhsa_float_denorm_mode_32 3
		.amdhsa_float_denorm_mode_16_64 3
		.amdhsa_dx10_clamp 1
		.amdhsa_ieee_mode 1
		.amdhsa_fp16_overflow 0
		.amdhsa_tg_split 0
		.amdhsa_exception_fp_ieee_invalid_op 0
		.amdhsa_exception_fp_denorm_src 0
		.amdhsa_exception_fp_ieee_div_zero 0
		.amdhsa_exception_fp_ieee_overflow 0
		.amdhsa_exception_fp_ieee_underflow 0
		.amdhsa_exception_fp_ieee_inexact 0
		.amdhsa_exception_int_div_zero 0
	.end_amdhsa_kernel
	.section	.text._ZN4vllm39rms_norm_dynamic_per_token_quant_kernelIN3c104HalfENS1_13Float8_e4m3fnELb1EEEvPT0_PfPKT_S9_PKffiiPS7_,"axG",@progbits,_ZN4vllm39rms_norm_dynamic_per_token_quant_kernelIN3c104HalfENS1_13Float8_e4m3fnELb1EEEvPT0_PfPKT_S9_PKffiiPS7_,comdat
.Lfunc_end6:
	.size	_ZN4vllm39rms_norm_dynamic_per_token_quant_kernelIN3c104HalfENS1_13Float8_e4m3fnELb1EEEvPT0_PfPKT_S9_PKffiiPS7_, .Lfunc_end6-_ZN4vllm39rms_norm_dynamic_per_token_quant_kernelIN3c104HalfENS1_13Float8_e4m3fnELb1EEEvPT0_PfPKT_S9_PKffiiPS7_
                                        ; -- End function
	.section	.AMDGPU.csdata,"",@progbits
; Kernel info:
; codeLenInByte = 10984
; NumSgprs: 60
; NumVgprs: 32
; NumAgprs: 0
; TotalNumVgprs: 32
; ScratchSize: 0
; MemoryBound: 0
; FloatMode: 240
; IeeeMode: 1
; LDSByteSize: 272 bytes/workgroup (compile time only)
; SGPRBlocks: 7
; VGPRBlocks: 3
; NumSGPRsForWavesPerEU: 60
; NumVGPRsForWavesPerEU: 32
; AccumOffset: 32
; Occupancy: 8
; WaveLimiterHint : 0
; COMPUTE_PGM_RSRC2:SCRATCH_EN: 0
; COMPUTE_PGM_RSRC2:USER_SGPR: 6
; COMPUTE_PGM_RSRC2:TRAP_HANDLER: 0
; COMPUTE_PGM_RSRC2:TGID_X_EN: 1
; COMPUTE_PGM_RSRC2:TGID_Y_EN: 0
; COMPUTE_PGM_RSRC2:TGID_Z_EN: 0
; COMPUTE_PGM_RSRC2:TIDIG_COMP_CNT: 0
; COMPUTE_PGM_RSRC3_GFX90A:ACCUM_OFFSET: 7
; COMPUTE_PGM_RSRC3_GFX90A:TG_SPLIT: 0
	.section	.text._ZN4vllm39rms_norm_dynamic_per_token_quant_kernelIN3c104HalfENS1_15Float8_e4m3fnuzELb1EEEvPT0_PfPKT_S9_PKffiiPS7_,"axG",@progbits,_ZN4vllm39rms_norm_dynamic_per_token_quant_kernelIN3c104HalfENS1_15Float8_e4m3fnuzELb1EEEvPT0_PfPKT_S9_PKffiiPS7_,comdat
	.protected	_ZN4vllm39rms_norm_dynamic_per_token_quant_kernelIN3c104HalfENS1_15Float8_e4m3fnuzELb1EEEvPT0_PfPKT_S9_PKffiiPS7_ ; -- Begin function _ZN4vllm39rms_norm_dynamic_per_token_quant_kernelIN3c104HalfENS1_15Float8_e4m3fnuzELb1EEEvPT0_PfPKT_S9_PKffiiPS7_
	.globl	_ZN4vllm39rms_norm_dynamic_per_token_quant_kernelIN3c104HalfENS1_15Float8_e4m3fnuzELb1EEEvPT0_PfPKT_S9_PKffiiPS7_
	.p2align	8
	.type	_ZN4vllm39rms_norm_dynamic_per_token_quant_kernelIN3c104HalfENS1_15Float8_e4m3fnuzELb1EEEvPT0_PfPKT_S9_PKffiiPS7_,@function
_ZN4vllm39rms_norm_dynamic_per_token_quant_kernelIN3c104HalfENS1_15Float8_e4m3fnuzELb1EEEvPT0_PfPKT_S9_PKffiiPS7_: ; @_ZN4vllm39rms_norm_dynamic_per_token_quant_kernelIN3c104HalfENS1_15Float8_e4m3fnuzELb1EEEvPT0_PfPKT_S9_PKffiiPS7_
; %bb.0:
	s_load_dwordx4 s[36:39], s[4:5], 0x28
	s_load_dwordx2 s[22:23], s[4:5], 0x20
	s_load_dwordx8 s[24:31], s[4:5], 0x0
	s_load_dwordx2 s[40:41], s[4:5], 0x38
	s_waitcnt lgkmcnt(0)
	s_or_b32 s0, s38, s37
	s_and_b32 s0, s0, 3
	s_cmp_lg_u32 s0, 0
	s_cbranch_scc0 .LBB7_39
; %bb.1:
	v_cmp_gt_u32_e64 s[0:1], s37, v0
	v_cmp_le_u32_e64 s[2:3], s37, v0
                                        ; implicit-def: $sgpr7
                                        ; implicit-def: $sgpr10_sgpr11
	s_and_saveexec_b64 s[8:9], s[2:3]
	s_xor_b64 s[8:9], exec, s[8:9]
; %bb.2:
	s_add_u32 s10, s4, 64
	s_addc_u32 s11, s5, 0
	s_mov_b32 s7, 0
; %bb.3:
	s_or_saveexec_b64 s[8:9], s[8:9]
	v_mov_b32_e32 v6, s7
	v_pk_mov_b32 v[2:3], s[10:11], s[10:11] op_sel:[0,1]
	v_mov_b32_e32 v1, s6
	s_xor_b64 exec, exec, s[8:9]
	s_cbranch_execz .LBB7_7
; %bb.4:
	s_ashr_i32 s7, s37, 31
	s_mul_hi_u32 s10, s37, s6
	s_mul_i32 s7, s7, s6
	s_add_i32 s11, s10, s7
	s_ashr_i32 s7, s38, 31
	s_mul_hi_u32 s12, s38, s6
	s_mul_i32 s7, s7, s6
	s_add_i32 s13, s12, s7
	s_mul_i32 s12, s38, s6
	s_lshl_b64 s[12:13], s[12:13], 1
	s_mul_i32 s10, s37, s6
	s_add_u32 s7, s28, s12
	s_load_dword s12, s[4:5], 0x4c
	s_addc_u32 s16, s29, s13
	s_lshl_b64 s[10:11], s[10:11], 1
	s_add_u32 s14, s40, s10
	s_addc_u32 s17, s41, s11
	s_add_u32 s10, s4, 64
	s_addc_u32 s11, s5, 0
	s_waitcnt lgkmcnt(0)
	s_and_b32 s15, s12, 0xffff
	s_mov_b64 s[12:13], 0
	v_mov_b32_e32 v3, 0
	v_mov_b32_e32 v1, s16
	;; [unrolled: 1-line block ×5, first 2 shown]
.LBB7_5:                                ; =>This Inner Loop Header: Depth=1
	v_lshlrev_b64 v[8:9], 1, v[2:3]
	v_add_co_u32_e32 v10, vcc, s7, v8
	v_addc_co_u32_e32 v11, vcc, v1, v9, vcc
	v_add_co_u32_e32 v8, vcc, s14, v8
	v_addc_co_u32_e32 v9, vcc, v4, v9, vcc
	global_load_ushort v5, v[10:11], off
	global_load_ushort v7, v[8:9], off
	v_add_u32_e32 v2, s15, v2
	v_cmp_le_u32_e32 vcc, s37, v2
	s_or_b64 s[12:13], vcc, s[12:13]
	s_waitcnt vmcnt(1)
	v_cvt_f32_f16_e32 v5, v5
	s_waitcnt vmcnt(0)
	v_cvt_f32_f16_e32 v7, v7
	v_add_f32_e32 v5, v5, v7
	v_fmac_f32_e32 v6, v5, v5
	s_andn2_b64 exec, exec, s[12:13]
	s_cbranch_execnz .LBB7_5
; %bb.6:
	s_or_b64 exec, exec, s[12:13]
	v_pk_mov_b32 v[2:3], s[10:11], s[10:11] op_sel:[0,1]
	v_mov_b32_e32 v1, s6
.LBB7_7:
	s_or_b64 exec, exec, s[8:9]
	global_load_dword v4, v[2:3], off
	v_and_b32_e32 v5, 0x3c0, v0
	s_waitcnt vmcnt(0)
	v_cmp_lt_u32_e32 vcc, v1, v4
	v_cndmask_b32_e64 v1, 18, 12, vcc
	v_add_co_u32_e32 v2, vcc, v2, v1
	v_addc_co_u32_e32 v3, vcc, 0, v3, vcc
	global_load_ushort v1, v[2:3], off
	v_mbcnt_lo_u32_b32 v2, -1, 0
	v_mbcnt_hi_u32_b32 v4, -1, v2
	v_and_b32_e32 v2, 63, v4
	v_cmp_ne_u32_e32 vcc, 63, v2
	v_addc_co_u32_e32 v3, vcc, 0, v4, vcc
	v_lshlrev_b32_e32 v14, 2, v3
	ds_bpermute_b32 v3, v14, v6
	v_cmp_gt_u32_e32 vcc, 62, v2
	v_cndmask_b32_e64 v12, 0, 1, vcc
	v_lshlrev_b32_e32 v12, 1, v12
	v_add_u32_e32 v7, 1, v4
	v_add_lshl_u32 v13, v12, v4, 2
	s_waitcnt lgkmcnt(0)
	v_add_f32_e32 v3, v6, v3
	v_add_u32_e32 v8, 2, v4
	v_add_u32_e32 v10, 4, v4
	;; [unrolled: 1-line block ×5, first 2 shown]
	v_cmp_eq_u32_e64 s[8:9], 0, v4
	s_waitcnt vmcnt(0)
	v_sub_u32_e64 v12, v1, v5 clamp
	v_cmp_lt_u32_e32 vcc, v7, v12
	v_cndmask_b32_e32 v3, v6, v3, vcc
	ds_bpermute_b32 v6, v13, v3
	v_cmp_gt_u32_e32 vcc, 60, v2
	v_cndmask_b32_e64 v15, 0, 1, vcc
	v_lshlrev_b32_e32 v15, 2, v15
	v_cmp_lt_u32_e32 vcc, v8, v12
	s_waitcnt lgkmcnt(0)
	v_add_f32_e32 v6, v3, v6
	v_add_lshl_u32 v15, v15, v4, 2
	v_cndmask_b32_e32 v3, v3, v6, vcc
	ds_bpermute_b32 v6, v15, v3
	v_cmp_gt_u32_e32 vcc, 56, v2
	v_cndmask_b32_e64 v16, 0, 1, vcc
	v_lshlrev_b32_e32 v16, 3, v16
	v_cmp_lt_u32_e32 vcc, v10, v12
	s_waitcnt lgkmcnt(0)
	v_add_f32_e32 v6, v3, v6
	v_add_lshl_u32 v16, v16, v4, 2
	v_cndmask_b32_e32 v3, v3, v6, vcc
	ds_bpermute_b32 v6, v16, v3
	v_cmp_gt_u32_e32 vcc, 48, v2
	v_cndmask_b32_e64 v17, 0, 1, vcc
	v_lshlrev_b32_e32 v17, 4, v17
	v_cmp_lt_u32_e32 vcc, v11, v12
	s_waitcnt lgkmcnt(0)
	v_add_f32_e32 v6, v3, v6
	v_add_lshl_u32 v18, v17, v4, 2
	v_cndmask_b32_e32 v3, v3, v6, vcc
	ds_bpermute_b32 v6, v18, v3
	v_cmp_gt_u32_e32 vcc, 32, v2
	v_cndmask_b32_e64 v2, 0, 1, vcc
	v_lshlrev_b32_e32 v2, 5, v2
	v_add_lshl_u32 v17, v2, v4, 2
	s_waitcnt lgkmcnt(0)
	v_add_f32_e32 v2, v3, v6
	v_cmp_lt_u32_e32 vcc, v9, v12
	v_cndmask_b32_e32 v2, v3, v2, vcc
	ds_bpermute_b32 v3, v17, v2
	v_cmp_lt_u32_e32 vcc, v19, v12
	s_waitcnt lgkmcnt(0)
	v_add_f32_e32 v3, v2, v3
	v_cndmask_b32_e32 v2, v2, v3, vcc
	s_and_saveexec_b64 s[10:11], s[8:9]
	s_cbranch_execz .LBB7_9
; %bb.8:
	v_lshrrev_b32_e32 v3, 4, v0
	v_and_b32_e32 v3, 60, v3
	ds_write_b32 v3, v2 offset:128
.LBB7_9:
	s_or_b64 exec, exec, s[10:11]
	v_cmp_gt_u32_e64 s[10:11], 16, v0
	v_lshlrev_b32_e32 v12, 2, v4
	v_and_b32_e32 v6, 15, v4
	s_waitcnt lgkmcnt(0)
	s_barrier
	s_and_saveexec_b64 s[14:15], s[10:11]
	s_cbranch_execz .LBB7_11
; %bb.10:
	ds_read_b32 v2, v12 offset:128
	v_cmp_ne_u32_e32 vcc, 15, v6
	v_addc_co_u32_e32 v3, vcc, 0, v4, vcc
	v_lshlrev_b32_e32 v3, 2, v3
	s_waitcnt lgkmcnt(0)
	ds_bpermute_b32 v3, v3, v2
	v_add_u32_e32 v1, 63, v1
	v_add_u32_e32 v20, 1, v6
	v_lshrrev_b32_e32 v1, 6, v1
	v_cmp_gt_u32_e64 s[12:13], 14, v6
	v_cmp_lt_u32_e32 vcc, v20, v1
	v_cndmask_b32_e64 v20, 0, 1, s[12:13]
	s_waitcnt lgkmcnt(0)
	v_add_f32_e32 v3, v2, v3
	v_lshlrev_b32_e32 v20, 1, v20
	v_cndmask_b32_e32 v3, v2, v3, vcc
	v_add_lshl_u32 v20, v20, v4, 2
	ds_bpermute_b32 v20, v20, v3
	v_add_u32_e32 v21, 2, v6
	v_cmp_lt_u32_e64 s[12:13], v21, v1
	v_add_u32_e32 v21, 4, v6
	s_waitcnt lgkmcnt(0)
	v_add_f32_e32 v20, v3, v20
	v_cndmask_b32_e64 v3, v3, v20, s[12:13]
	v_cmp_gt_u32_e64 s[12:13], 12, v6
	v_cndmask_b32_e64 v20, 0, 1, s[12:13]
	v_lshlrev_b32_e32 v20, 2, v20
	v_add_lshl_u32 v20, v20, v4, 2
	ds_bpermute_b32 v20, v20, v3
	v_cmp_lt_u32_e64 s[12:13], v21, v1
	v_add_u32_e32 v21, 8, v6
	s_waitcnt lgkmcnt(0)
	v_add_f32_e32 v20, v3, v20
	v_cndmask_b32_e64 v3, v3, v20, s[12:13]
	v_cmp_gt_u32_e64 s[12:13], 8, v6
	v_cndmask_b32_e64 v20, 0, 1, s[12:13]
	v_lshlrev_b32_e32 v20, 3, v20
	v_add_lshl_u32 v20, v20, v4, 2
	ds_bpermute_b32 v20, v20, v3
	v_cmp_lt_u32_e64 s[12:13], v21, v1
	s_waitcnt lgkmcnt(0)
	v_add_f32_e32 v20, v3, v20
	v_cndmask_b32_e64 v1, v3, v20, s[12:13]
	v_cndmask_b32_e32 v2, v2, v1, vcc
.LBB7_11:
	s_or_b64 exec, exec, s[14:15]
	s_mov_b32 s7, 0
	v_cmp_eq_u32_e64 s[12:13], 0, v0
	s_and_saveexec_b64 s[14:15], s[12:13]
	s_cbranch_execz .LBB7_13
; %bb.12:
	v_cvt_f32_i32_e32 v1, s37
	v_div_scale_f32 v3, s[16:17], v1, v1, v2
	v_rcp_f32_e32 v20, v3
	v_div_scale_f32 v21, vcc, v2, v1, v2
	s_mov_b32 s16, 0x800000
	v_fma_f32 v22, -v3, v20, 1.0
	v_fmac_f32_e32 v20, v22, v20
	v_mul_f32_e32 v22, v21, v20
	v_fma_f32 v23, -v3, v22, v21
	v_fmac_f32_e32 v22, v23, v20
	v_fma_f32 v3, -v3, v22, v21
	v_div_fmas_f32 v3, v3, v20, v22
	v_div_fixup_f32 v1, v3, v1, v2
	v_add_f32_e32 v1, s36, v1
	v_mul_f32_e32 v2, 0x4b800000, v1
	v_cmp_gt_f32_e32 vcc, s16, v1
	v_cndmask_b32_e32 v1, v1, v2, vcc
	v_rsq_f32_e32 v1, v1
	v_mul_f32_e32 v2, 0x45800000, v1
	v_cndmask_b32_e32 v1, v1, v2, vcc
	v_mov_b32_e32 v2, 0
	ds_write_b32 v2, v1 offset:264
.LBB7_13:
	s_or_b64 exec, exec, s[14:15]
	v_mov_b32_e32 v1, 0
	s_waitcnt lgkmcnt(0)
	s_barrier
	ds_read_b32 v1, v1 offset:264
	s_waitcnt lgkmcnt(0)
	s_barrier
	s_waitcnt lgkmcnt(0)
                                        ; implicit-def: $sgpr16
                                        ; implicit-def: $sgpr14_sgpr15
	s_and_saveexec_b64 s[18:19], s[2:3]
	s_xor_b64 s[2:3], exec, s[18:19]
; %bb.14:
	s_add_u32 s14, s4, 64
	s_addc_u32 s15, s5, 0
	s_mov_b32 s16, 0
; %bb.15:
	s_or_saveexec_b64 s[2:3], s[2:3]
	v_mov_b32_e32 v20, s16
	v_pk_mov_b32 v[2:3], s[14:15], s[14:15] op_sel:[0,1]
	s_mul_hi_u32 s39, s37, s6
	s_mul_i32 s34, s37, s6
	s_mul_hi_u32 s33, s38, s6
	s_mul_i32 s42, s38, s6
	s_xor_b64 exec, exec, s[2:3]
	s_cbranch_execz .LBB7_19
; %bb.16:
	s_ashr_i32 s14, s37, 31
	s_mul_i32 s14, s14, s6
	s_add_i32 s35, s39, s14
	s_ashr_i32 s14, s38, 31
	s_mul_i32 s14, s14, s6
	s_add_i32 s43, s33, s14
	s_lshl_b64 s[14:15], s[42:43], 1
	s_add_u32 s18, s28, s14
	s_load_dword s16, s[4:5], 0x4c
	s_addc_u32 s21, s29, s15
	s_lshl_b64 s[14:15], s[34:35], 1
	s_add_u32 s19, s40, s14
	s_addc_u32 s35, s41, s15
	s_add_u32 s14, s4, 64
	s_addc_u32 s15, s5, 0
	s_waitcnt lgkmcnt(0)
	s_and_b32 s20, s16, 0xffff
	s_mov_b64 s[16:17], 0
	v_mov_b32_e32 v3, 0
	v_mov_b32_e32 v21, s21
	;; [unrolled: 1-line block ×6, first 2 shown]
.LBB7_17:                               ; =>This Inner Loop Header: Depth=1
	v_lshlrev_b64 v[24:25], 1, v[2:3]
	v_add_co_u32_e32 v26, vcc, s18, v24
	v_addc_co_u32_e32 v27, vcc, v21, v25, vcc
	v_add_co_u32_e32 v28, vcc, s19, v24
	v_addc_co_u32_e32 v29, vcc, v22, v25, vcc
	global_load_ushort v30, v[26:27], off
	global_load_ushort v31, v[28:29], off
	v_add_co_u32_e32 v24, vcc, s30, v24
	v_addc_co_u32_e32 v25, vcc, v23, v25, vcc
	global_load_ushort v24, v[24:25], off
	v_add_u32_e32 v2, s20, v2
	v_max_f32_e32 v20, v20, v20
	v_cmp_le_u32_e32 vcc, s37, v2
	s_or_b64 s[16:17], vcc, s[16:17]
	s_waitcnt vmcnt(2)
	v_cvt_f32_f16_e32 v25, v30
	s_waitcnt vmcnt(1)
	v_cvt_f32_f16_e32 v26, v31
	v_add_f32_e32 v25, v25, v26
	v_fma_mixlo_f16 v25, v1, v25, 0
	s_waitcnt vmcnt(0)
	v_mul_f16_e32 v24, v24, v25
	v_cvt_f32_f16_e64 v24, |v24|
	v_max_f32_e32 v20, v20, v24
	s_andn2_b64 exec, exec, s[16:17]
	s_cbranch_execnz .LBB7_17
; %bb.18:
	s_or_b64 exec, exec, s[16:17]
	v_pk_mov_b32 v[2:3], s[14:15], s[14:15] op_sel:[0,1]
.LBB7_19:
	s_or_b64 exec, exec, s[2:3]
	global_load_dword v21, v[2:3], off
	s_waitcnt vmcnt(0)
	v_cmp_lt_u32_e32 vcc, s6, v21
	v_cndmask_b32_e64 v21, 18, 12, vcc
	v_add_co_u32_e32 v2, vcc, v2, v21
	v_addc_co_u32_e32 v3, vcc, 0, v3, vcc
	global_load_ushort v2, v[2:3], off
	ds_bpermute_b32 v3, v14, v20
	s_waitcnt lgkmcnt(0)
	v_cmp_lt_f32_e32 vcc, v20, v3
	v_cndmask_b32_e32 v3, v20, v3, vcc
	s_waitcnt vmcnt(0)
	v_sub_u32_e64 v5, v2, v5 clamp
	v_cmp_lt_u32_e32 vcc, v7, v5
	v_cndmask_b32_e32 v3, v20, v3, vcc
	ds_bpermute_b32 v7, v13, v3
	v_cmp_lt_u32_e64 s[18:19], v19, v5
	s_waitcnt lgkmcnt(0)
	v_cmp_lt_f32_e64 s[2:3], v3, v7
	v_cndmask_b32_e64 v7, v3, v7, s[2:3]
	v_cmp_lt_u32_e64 s[2:3], v8, v5
	v_cndmask_b32_e64 v3, v3, v7, s[2:3]
	ds_bpermute_b32 v7, v15, v3
	s_or_b64 s[2:3], vcc, s[2:3]
	s_waitcnt lgkmcnt(0)
	v_cmp_lt_f32_e64 s[14:15], v3, v7
	v_cndmask_b32_e64 v7, v3, v7, s[14:15]
	v_cmp_lt_u32_e64 s[14:15], v10, v5
	v_cndmask_b32_e64 v3, v3, v7, s[14:15]
	ds_bpermute_b32 v7, v16, v3
	s_or_b64 s[2:3], s[14:15], s[2:3]
	s_waitcnt lgkmcnt(0)
	v_cmp_lt_f32_e64 s[16:17], v3, v7
	v_cndmask_b32_e64 v7, v3, v7, s[16:17]
	v_cmp_lt_u32_e64 s[16:17], v11, v5
	v_cndmask_b32_e64 v3, v3, v7, s[16:17]
	ds_bpermute_b32 v7, v18, v3
	s_or_b64 s[2:3], s[16:17], s[2:3]
	;; [unrolled: 7-line block ×3, first 2 shown]
	s_waitcnt lgkmcnt(0)
	v_cmp_lt_f32_e32 vcc, v3, v5
	s_and_b64 vcc, s[18:19], vcc
	v_cndmask_b32_e32 v3, v3, v5, vcc
	s_or_b64 vcc, s[18:19], s[2:3]
	v_cndmask_b32_e32 v3, v20, v3, vcc
	s_and_saveexec_b64 s[2:3], s[8:9]
	s_cbranch_execz .LBB7_21
; %bb.20:
	v_lshrrev_b32_e32 v5, 4, v0
	v_and_b32_e32 v5, 60, v5
	ds_write_b32 v5, v3 offset:192
.LBB7_21:
	s_or_b64 exec, exec, s[2:3]
	s_waitcnt lgkmcnt(0)
	s_barrier
	s_and_saveexec_b64 s[14:15], s[10:11]
	s_cbranch_execz .LBB7_23
; %bb.22:
	ds_read_b32 v3, v12 offset:192
	v_cmp_ne_u32_e32 vcc, 15, v6
	v_addc_co_u32_e32 v5, vcc, 0, v4, vcc
	v_lshlrev_b32_e32 v5, 2, v5
	s_waitcnt lgkmcnt(0)
	ds_bpermute_b32 v5, v5, v3
	v_add_u32_e32 v2, 63, v2
	v_add_u32_e32 v7, 1, v6
	v_lshrrev_b32_e32 v2, 6, v2
	v_cmp_gt_u32_e64 s[2:3], 14, v6
	s_waitcnt lgkmcnt(0)
	v_cmp_lt_f32_e32 vcc, v3, v5
	v_cndmask_b32_e32 v5, v3, v5, vcc
	v_cmp_lt_u32_e32 vcc, v7, v2
	v_cndmask_b32_e64 v7, 0, 1, s[2:3]
	v_lshlrev_b32_e32 v7, 1, v7
	v_cndmask_b32_e32 v5, v3, v5, vcc
	v_add_lshl_u32 v7, v7, v4, 2
	ds_bpermute_b32 v7, v7, v5
	v_add_u32_e32 v8, 2, v6
	s_waitcnt lgkmcnt(0)
	v_cmp_lt_f32_e64 s[2:3], v5, v7
	v_cndmask_b32_e64 v7, v5, v7, s[2:3]
	v_cmp_lt_u32_e64 s[2:3], v8, v2
	v_cndmask_b32_e64 v5, v5, v7, s[2:3]
	v_cmp_gt_u32_e64 s[2:3], 12, v6
	v_cndmask_b32_e64 v7, 0, 1, s[2:3]
	v_lshlrev_b32_e32 v7, 2, v7
	v_add_lshl_u32 v7, v7, v4, 2
	ds_bpermute_b32 v7, v7, v5
	v_add_u32_e32 v8, 4, v6
	s_waitcnt lgkmcnt(0)
	v_cmp_lt_f32_e64 s[2:3], v5, v7
	v_cndmask_b32_e64 v7, v5, v7, s[2:3]
	v_cmp_lt_u32_e64 s[2:3], v8, v2
	v_cndmask_b32_e64 v5, v5, v7, s[2:3]
	v_cmp_gt_u32_e64 s[2:3], 8, v6
	v_cndmask_b32_e64 v7, 0, 1, s[2:3]
	v_lshlrev_b32_e32 v7, 3, v7
	v_add_lshl_u32 v4, v7, v4, 2
	ds_bpermute_b32 v4, v4, v5
	v_add_u32_e32 v6, 8, v6
	v_cmp_lt_u32_e64 s[2:3], v6, v2
	s_waitcnt lgkmcnt(0)
	v_cmp_lt_f32_e64 s[8:9], v5, v4
	s_and_b64 s[2:3], s[2:3], s[8:9]
	v_cndmask_b32_e64 v2, v5, v4, s[2:3]
	v_cndmask_b32_e32 v3, v3, v2, vcc
.LBB7_23:
	s_or_b64 exec, exec, s[14:15]
	s_and_saveexec_b64 s[2:3], s[12:13]
	s_cbranch_execz .LBB7_27
; %bb.24:
	s_cmp_eq_u64 s[22:23], 0
	s_cbranch_scc1 .LBB7_26
; %bb.25:
	s_load_dword s8, s[22:23], 0x0
	v_max_f32_e32 v2, v3, v3
	s_waitcnt lgkmcnt(0)
	v_max_f32_e64 v3, s8, s8
	v_min_f32_e32 v3, v2, v3
.LBB7_26:
	s_mov_b32 s10, 0x43600000
	v_div_scale_f32 v2, s[8:9], s10, s10, v3
	v_rcp_f32_e32 v4, v2
	v_div_scale_f32 v5, vcc, v3, s10, v3
	s_lshl_b64 s[8:9], s[6:7], 2
	v_fma_f32 v6, -v2, v4, 1.0
	v_fmac_f32_e32 v4, v6, v4
	v_mul_f32_e32 v6, v5, v4
	v_fma_f32 v7, -v2, v6, v5
	v_fmac_f32_e32 v6, v7, v4
	v_fma_f32 v2, -v2, v6, v5
	v_div_fmas_f32 v2, v2, v4, v6
	v_div_fixup_f32 v2, v2, s10, v3
	s_add_u32 s8, s26, s8
	v_max_f32_e32 v2, 0x37124925, v2
	v_mov_b32_e32 v3, 0
	s_addc_u32 s9, s27, s9
	ds_write_b32 v3, v2 offset:268
	global_store_dword v3, v2, s[8:9]
.LBB7_27:
	s_or_b64 exec, exec, s[2:3]
	s_waitcnt lgkmcnt(0)
	s_barrier
	s_and_saveexec_b64 s[2:3], s[0:1]
	s_cbranch_execz .LBB7_38
; %bb.28:
	s_ashr_i32 s0, s37, 31
	s_mul_i32 s0, s0, s6
	s_add_i32 s8, s39, s0
	s_ashr_i32 s0, s38, 31
	v_mov_b32_e32 v3, 0
	s_mul_i32 s0, s0, s6
	s_load_dword s9, s[4:5], 0x4c
	ds_read_b32 v6, v3 offset:268
	s_add_i32 s43, s33, s0
	s_lshl_b64 s[0:1], s[42:43], 1
	s_add_u32 s7, s28, s0
	s_addc_u32 s10, s29, s1
	s_waitcnt lgkmcnt(0)
	s_and_b32 s14, s9, 0xffff
	s_mov_b64 s[0:1], 0
	v_mov_b32_e32 v7, s10
	v_mov_b32_e32 v8, s8
	;; [unrolled: 1-line block ×4, first 2 shown]
	s_mov_b32 s15, 0x43800000
	s_mov_b32 s16, 0x3bffffff
	;; [unrolled: 1-line block ×4, first 2 shown]
	s_movk_i32 s19, 0x80
	v_mov_b32_e32 v11, s25
	v_mov_b32_e32 v2, v0
	s_branch .LBB7_31
.LBB7_29:                               ;   in Loop: Header=BB7_31 Depth=1
	s_or_b64 exec, exec, s[12:13]
.LBB7_30:                               ;   in Loop: Header=BB7_31 Depth=1
	s_or_b64 exec, exec, s[8:9]
	v_add_co_u32_e32 v4, vcc, s24, v4
	v_addc_co_u32_e32 v5, vcc, v11, v5, vcc
	v_add_u32_e32 v2, s14, v2
	v_cmp_le_u32_e32 vcc, s37, v2
	s_or_b64 s[0:1], vcc, s[0:1]
	global_store_byte v[4:5], v14, off
	s_andn2_b64 exec, exec, s[0:1]
	s_cbranch_execz .LBB7_38
.LBB7_31:                               ; =>This Inner Loop Header: Depth=1
	v_lshlrev_b64 v[12:13], 1, v[2:3]
	v_add_co_u32_e32 v4, vcc, s7, v12
	v_addc_co_u32_e32 v5, vcc, v7, v13, vcc
	global_load_ushort v16, v[4:5], off
	v_add_co_u32_e32 v4, vcc, s34, v2
	v_addc_co_u32_e32 v5, vcc, 0, v8, vcc
	v_lshlrev_b64 v[14:15], 1, v[4:5]
	v_add_co_u32_e32 v14, vcc, s40, v14
	v_addc_co_u32_e32 v15, vcc, v9, v15, vcc
	global_load_ushort v17, v[14:15], off
	v_add_co_u32_e32 v12, vcc, s30, v12
	v_addc_co_u32_e32 v13, vcc, v10, v13, vcc
	global_load_ushort v12, v[12:13], off
	s_waitcnt vmcnt(2)
	v_cvt_f32_f16_e32 v13, v16
	s_waitcnt vmcnt(1)
	v_cvt_f32_f16_e32 v16, v17
	v_add_f32_e32 v13, v13, v16
	v_fma_mixlo_f16 v16, v1, v13, 0
	s_waitcnt vmcnt(0)
	v_mul_f16_e32 v12, v12, v16
	v_cvt_f32_f16_e32 v12, v12
	v_cvt_f16_f32_e32 v13, v13
	v_div_scale_f32 v16, s[8:9], v6, v6, v12
	v_rcp_f32_e32 v17, v16
	global_store_short v[14:15], v13, off
	v_div_scale_f32 v13, vcc, v12, v6, v12
	v_fma_f32 v14, -v16, v17, 1.0
	v_fmac_f32_e32 v17, v14, v17
	v_mul_f32_e32 v14, v13, v17
	v_fma_f32 v15, -v16, v14, v13
	v_fmac_f32_e32 v14, v15, v17
	v_fma_f32 v13, -v16, v14, v13
	v_div_fmas_f32 v13, v13, v17, v14
	v_div_fixup_f32 v12, v13, v6, v12
	v_min_f32_e32 v12, 0x43600000, v12
	v_max_f32_e32 v12, 0xc3600000, v12
	v_and_b32_e32 v13, 0x7fffffff, v12
	v_cmp_gt_u32_e32 vcc, s15, v13
	v_mov_b32_e32 v14, 0x80
	s_and_saveexec_b64 s[8:9], vcc
	s_cbranch_execz .LBB7_30
; %bb.32:                               ;   in Loop: Header=BB7_31 Depth=1
	v_cmp_lt_u32_e32 vcc, s16, v13
	s_mov_b64 s[10:11], 0
                                        ; implicit-def: $vgpr13
	s_and_saveexec_b64 s[12:13], vcc
	s_xor_b64 s[12:13], exec, s[12:13]
	s_cbranch_execnz .LBB7_35
; %bb.33:                               ;   in Loop: Header=BB7_31 Depth=1
	s_or_saveexec_b64 s[12:13], s[12:13]
                                        ; implicit-def: $sgpr20
	s_xor_b64 exec, exec, s[12:13]
	s_cbranch_execnz .LBB7_36
.LBB7_34:                               ;   in Loop: Header=BB7_31 Depth=1
	s_or_b64 exec, exec, s[12:13]
	v_mov_b32_e32 v14, s20
	s_and_saveexec_b64 s[12:13], s[10:11]
	s_cbranch_execz .LBB7_29
	s_branch .LBB7_37
.LBB7_35:                               ;   in Loop: Header=BB7_31 Depth=1
	v_bfe_u32 v13, v12, 20, 1
	v_add3_u32 v13, v12, v13, s17
	s_mov_b64 s[10:11], exec
	v_lshrrev_b32_e32 v13, 20, v13
	s_or_saveexec_b64 s[12:13], s[12:13]
                                        ; implicit-def: $sgpr20
	s_xor_b64 exec, exec, s[12:13]
	s_cbranch_execz .LBB7_34
.LBB7_36:                               ;   in Loop: Header=BB7_31 Depth=1
	v_add_f32_e64 v13, |v12|, s18
	v_and_b32_e32 v13, 0xff, v13
	v_cmp_ne_u32_e32 vcc, 0, v13
	s_andn2_b64 s[10:11], s[10:11], exec
	s_and_b64 s[42:43], vcc, exec
	s_mov_b32 s20, 0
	s_or_b64 s[10:11], s[10:11], s[42:43]
	s_or_b64 exec, exec, s[12:13]
	v_mov_b32_e32 v14, s20
	s_and_saveexec_b64 s[12:13], s[10:11]
	s_cbranch_execz .LBB7_29
.LBB7_37:                               ;   in Loop: Header=BB7_31 Depth=1
	v_lshrrev_b32_e32 v12, 24, v12
	v_and_or_b32 v14, v12, s19, v13
	s_branch .LBB7_29
.LBB7_38:
	s_or_b64 exec, exec, s[2:3]
	s_branch .LBB7_211
.LBB7_39:
	s_cbranch_execz .LBB7_211
; %bb.40:
	s_ashr_i32 s0, s38, 31
	s_mul_hi_u32 s1, s38, s6
	s_mul_i32 s0, s0, s6
	s_ashr_i32 s2, s37, 31
	s_add_i32 s1, s1, s0
	s_mul_i32 s0, s38, s6
	s_mul_hi_u32 s3, s37, s6
	s_mul_i32 s2, s2, s6
	s_add_i32 s35, s3, s2
	s_lshl_b64 s[0:1], s[0:1], 1
	s_mul_i32 s34, s37, s6
	s_add_u32 s33, s28, s0
	s_addc_u32 s48, s29, s1
	s_lshl_b64 s[0:1], s[34:35], 1
	s_load_dword s18, s[4:5], 0x40
	s_add_u32 s49, s40, s0
	s_addc_u32 s50, s41, s1
	s_ashr_i32 s51, s37, 2
	s_add_u32 s19, s4, 64
	s_mov_b32 s7, 0
	v_cmp_gt_u32_e64 s[0:1], s51, v0
	s_addc_u32 s20, s5, 0
	v_mov_b32_e32 v10, 0
	s_and_saveexec_b64 s[2:3], s[0:1]
	s_cbranch_execz .LBB7_50
; %bb.41:
	s_waitcnt lgkmcnt(0)
	s_cmp_lt_u32 s6, s18
	s_cselect_b32 s4, 12, 18
	s_add_u32 s4, s19, s4
	s_addc_u32 s5, s20, 0
	v_mov_b32_e32 v3, 0
	global_load_ushort v1, v3, s[4:5]
	s_mov_b64 s[4:5], 0
	v_mov_b32_e32 v8, s48
	v_mov_b32_e32 v9, s50
	v_mov_b32_e32 v2, v0
	v_mov_b32_e32 v10, v3
                                        ; implicit-def: $sgpr8_sgpr9
	s_waitcnt vmcnt(0)
	v_mul_lo_u32 v11, v1, 3
	v_lshlrev_b32_e32 v12, 1, v1
	s_branch .LBB7_45
.LBB7_42:                               ;   in Loop: Header=BB7_45 Depth=1
	s_or_b64 exec, exec, s[14:15]
	s_orn2_b64 s[14:15], s[16:17], exec
.LBB7_43:                               ;   in Loop: Header=BB7_45 Depth=1
	s_or_b64 exec, exec, s[12:13]
	s_andn2_b64 s[8:9], s[8:9], exec
	s_and_b64 s[12:13], s[14:15], exec
	s_or_b64 s[8:9], s[8:9], s[12:13]
.LBB7_44:                               ;   in Loop: Header=BB7_45 Depth=1
	s_or_b64 exec, exec, s[10:11]
	s_and_b64 s[10:11], exec, s[8:9]
	s_or_b64 s[4:5], s[10:11], s[4:5]
	s_andn2_b64 exec, exec, s[4:5]
	s_cbranch_execz .LBB7_49
.LBB7_45:                               ; =>This Inner Loop Header: Depth=1
	v_lshlrev_b64 v[4:5], 3, v[2:3]
	v_add_co_u32_e32 v6, vcc, s33, v4
	v_addc_co_u32_e32 v7, vcc, v8, v5, vcc
	v_add_co_u32_e32 v4, vcc, s49, v4
	v_addc_co_u32_e32 v5, vcc, v9, v5, vcc
	global_load_dwordx2 v[6:7], v[6:7], off
	s_or_b64 s[8:9], s[8:9], exec
	global_load_dwordx2 v[4:5], v[4:5], off
	s_waitcnt vmcnt(1)
	v_cvt_f32_f16_e32 v14, v6
	v_cvt_f32_f16_sdwa v15, v6 dst_sel:DWORD dst_unused:UNUSED_PAD src0_sel:WORD_1
	s_waitcnt vmcnt(0)
	v_cvt_f32_f16_e32 v16, v4
	v_cvt_f32_f16_sdwa v17, v4 dst_sel:DWORD dst_unused:UNUSED_PAD src0_sel:WORD_1
	v_cvt_f32_f16_e32 v6, v7
	v_cvt_f32_f16_sdwa v7, v7 dst_sel:DWORD dst_unused:UNUSED_PAD src0_sel:WORD_1
	;; [unrolled: 2-line block ×3, first 2 shown]
	v_pk_add_f32 v[14:15], v[14:15], v[16:17]
	v_pk_mul_f32 v[14:15], v[14:15], v[14:15]
	v_add_f32_e32 v5, v10, v14
	v_pk_add_f32 v[6:7], v[6:7], v[18:19]
	v_pk_mul_f32 v[6:7], v[6:7], v[6:7]
	v_add_f32_e32 v5, v5, v15
	v_add_u32_e32 v4, v2, v1
	v_add_f32_e32 v5, v5, v6
	v_cmp_gt_u32_e32 vcc, s51, v4
	v_add_f32_e32 v10, v5, v7
	s_and_saveexec_b64 s[10:11], vcc
	s_cbranch_execz .LBB7_44
; %bb.46:                               ;   in Loop: Header=BB7_45 Depth=1
	v_mov_b32_e32 v5, v3
	v_lshlrev_b64 v[6:7], 3, v[4:5]
	v_add_co_u32_e32 v14, vcc, s33, v6
	v_addc_co_u32_e32 v15, vcc, v8, v7, vcc
	v_add_co_u32_e32 v6, vcc, s49, v6
	v_addc_co_u32_e32 v7, vcc, v9, v7, vcc
	global_load_dwordx2 v[14:15], v[14:15], off
	s_mov_b64 s[14:15], -1
	global_load_dwordx2 v[6:7], v[6:7], off
	s_waitcnt vmcnt(1)
	v_cvt_f32_f16_e32 v16, v14
	v_cvt_f32_f16_sdwa v17, v14 dst_sel:DWORD dst_unused:UNUSED_PAD src0_sel:WORD_1
	s_waitcnt vmcnt(0)
	v_cvt_f32_f16_e32 v18, v6
	v_cvt_f32_f16_sdwa v19, v6 dst_sel:DWORD dst_unused:UNUSED_PAD src0_sel:WORD_1
	v_cvt_f32_f16_e32 v14, v15
	v_cvt_f32_f16_sdwa v15, v15 dst_sel:DWORD dst_unused:UNUSED_PAD src0_sel:WORD_1
	;; [unrolled: 2-line block ×3, first 2 shown]
	v_pk_add_f32 v[16:17], v[16:17], v[18:19]
	v_pk_mul_f32 v[16:17], v[16:17], v[16:17]
	v_add_f32_e32 v5, v10, v16
	v_pk_add_f32 v[14:15], v[14:15], v[20:21]
	v_pk_mul_f32 v[14:15], v[14:15], v[14:15]
	v_add_f32_e32 v5, v5, v17
	v_add_u32_e32 v6, v12, v2
	v_add_f32_e32 v5, v5, v14
	v_cmp_gt_u32_e32 vcc, s51, v6
	v_add_f32_e32 v10, v5, v15
	s_and_saveexec_b64 s[12:13], vcc
	s_cbranch_execz .LBB7_43
; %bb.47:                               ;   in Loop: Header=BB7_45 Depth=1
	v_mov_b32_e32 v7, v3
	v_lshlrev_b64 v[6:7], 3, v[6:7]
	v_mov_b32_e32 v5, s48
	v_add_co_u32_e32 v14, vcc, s33, v6
	v_addc_co_u32_e32 v15, vcc, v5, v7, vcc
	v_mov_b32_e32 v5, s50
	v_add_co_u32_e32 v6, vcc, s49, v6
	v_addc_co_u32_e32 v7, vcc, v5, v7, vcc
	global_load_dwordx2 v[14:15], v[14:15], off
	v_add_u32_e32 v2, v11, v2
	global_load_dwordx2 v[6:7], v[6:7], off
	v_cmp_gt_u32_e32 vcc, s51, v2
	s_mov_b64 s[16:17], -1
	s_waitcnt vmcnt(1)
	v_cvt_f32_f16_e32 v16, v14
	v_cvt_f32_f16_sdwa v17, v14 dst_sel:DWORD dst_unused:UNUSED_PAD src0_sel:WORD_1
	s_waitcnt vmcnt(0)
	v_cvt_f32_f16_e32 v18, v6
	v_cvt_f32_f16_sdwa v19, v6 dst_sel:DWORD dst_unused:UNUSED_PAD src0_sel:WORD_1
	v_cvt_f32_f16_e32 v14, v15
	v_cvt_f32_f16_sdwa v15, v15 dst_sel:DWORD dst_unused:UNUSED_PAD src0_sel:WORD_1
	;; [unrolled: 2-line block ×3, first 2 shown]
	v_pk_add_f32 v[16:17], v[16:17], v[18:19]
	v_pk_add_f32 v[6:7], v[14:15], v[6:7]
	v_pk_mul_f32 v[14:15], v[16:17], v[16:17]
	v_add_f32_e32 v5, v10, v14
	v_pk_mul_f32 v[6:7], v[6:7], v[6:7]
	v_add_f32_e32 v5, v5, v15
	v_add_f32_e32 v5, v5, v6
	v_add_f32_e32 v10, v5, v7
	s_and_saveexec_b64 s[14:15], vcc
	s_xor_b64 s[14:15], exec, s[14:15]
	s_cbranch_execz .LBB7_42
; %bb.48:                               ;   in Loop: Header=BB7_45 Depth=1
	v_lshlrev_b64 v[6:7], 3, v[2:3]
	v_mov_b32_e32 v2, s48
	v_add_co_u32_e32 v14, vcc, s33, v6
	v_addc_co_u32_e32 v15, vcc, v2, v7, vcc
	v_mov_b32_e32 v2, s50
	v_add_co_u32_e32 v6, vcc, s49, v6
	v_addc_co_u32_e32 v7, vcc, v2, v7, vcc
	global_load_dwordx2 v[14:15], v[14:15], off
	v_add_u32_e32 v2, v1, v1
	global_load_dwordx2 v[6:7], v[6:7], off
	v_add_u32_e32 v2, v2, v1
	v_add_u32_e32 v2, v2, v4
	v_cmp_le_u32_e32 vcc, s51, v2
	s_orn2_b64 s[16:17], vcc, exec
	s_waitcnt vmcnt(1)
	v_cvt_f32_f16_e32 v16, v14
	v_cvt_f32_f16_sdwa v17, v14 dst_sel:DWORD dst_unused:UNUSED_PAD src0_sel:WORD_1
	s_waitcnt vmcnt(0)
	v_cvt_f32_f16_e32 v18, v6
	v_cvt_f32_f16_sdwa v19, v6 dst_sel:DWORD dst_unused:UNUSED_PAD src0_sel:WORD_1
	v_cvt_f32_f16_e32 v14, v15
	v_cvt_f32_f16_sdwa v15, v15 dst_sel:DWORD dst_unused:UNUSED_PAD src0_sel:WORD_1
	;; [unrolled: 2-line block ×3, first 2 shown]
	v_pk_add_f32 v[4:5], v[16:17], v[18:19]
	v_pk_mul_f32 v[4:5], v[4:5], v[4:5]
	v_add_f32_e32 v4, v10, v4
	v_pk_add_f32 v[6:7], v[14:15], v[6:7]
	v_pk_mul_f32 v[6:7], v[6:7], v[6:7]
	v_add_f32_e32 v4, v4, v5
	v_add_f32_e32 v4, v4, v6
	;; [unrolled: 1-line block ×3, first 2 shown]
	s_branch .LBB7_42
.LBB7_49:
	s_or_b64 exec, exec, s[4:5]
.LBB7_50:
	s_or_b64 exec, exec, s[2:3]
	s_waitcnt lgkmcnt(0)
	s_cmp_lt_u32 s6, s18
	s_cselect_b32 s2, 12, 18
	s_add_u32 s2, s19, s2
	s_addc_u32 s3, s20, 0
	v_mov_b32_e32 v1, 0
	global_load_ushort v2, v1, s[2:3]
	v_mbcnt_lo_u32_b32 v1, -1, 0
	v_mbcnt_hi_u32_b32 v1, -1, v1
	v_and_b32_e32 v4, 63, v1
	v_cmp_ne_u32_e32 vcc, 63, v4
	v_addc_co_u32_e32 v8, vcc, 0, v1, vcc
	v_lshlrev_b32_e32 v8, 2, v8
	ds_bpermute_b32 v11, v8, v10
	v_and_b32_e32 v3, 0x3c0, v0
	v_cmp_gt_u32_e32 vcc, 62, v4
	v_add_u32_e32 v5, 1, v1
	v_cndmask_b32_e64 v9, 0, 1, vcc
	v_lshlrev_b32_e32 v9, 1, v9
	s_waitcnt lgkmcnt(0)
	v_add_f32_e32 v11, v10, v11
	v_add_lshl_u32 v9, v9, v1, 2
	v_cmp_gt_u32_e32 vcc, 60, v4
	v_add_u32_e32 v6, 2, v1
	v_add_u32_e32 v7, 4, v1
	;; [unrolled: 1-line block ×4, first 2 shown]
	v_cmp_eq_u32_e64 s[14:15], 0, v1
	s_waitcnt vmcnt(0)
	v_sub_u32_e64 v3, v2, v3 clamp
	v_cmp_lt_u32_e64 s[2:3], v5, v3
	v_cndmask_b32_e64 v5, v10, v11, s[2:3]
	ds_bpermute_b32 v11, v9, v5
	v_cndmask_b32_e64 v10, 0, 1, vcc
	v_lshlrev_b32_e32 v10, 2, v10
	v_cmp_lt_u32_e64 s[4:5], v6, v3
	v_add_lshl_u32 v10, v10, v1, 2
	s_waitcnt lgkmcnt(0)
	v_add_f32_e32 v11, v5, v11
	v_cndmask_b32_e64 v5, v5, v11, s[4:5]
	ds_bpermute_b32 v6, v10, v5
	v_cmp_gt_u32_e32 vcc, 56, v4
	v_cndmask_b32_e64 v11, 0, 1, vcc
	v_lshlrev_b32_e32 v11, 3, v11
	v_cmp_lt_u32_e64 s[8:9], v7, v3
	s_waitcnt lgkmcnt(0)
	v_add_f32_e32 v6, v5, v6
	v_add_lshl_u32 v11, v11, v1, 2
	v_cndmask_b32_e64 v5, v5, v6, s[8:9]
	ds_bpermute_b32 v6, v11, v5
	v_cmp_gt_u32_e32 vcc, 48, v4
	v_cndmask_b32_e64 v7, 0, 1, vcc
	v_lshlrev_b32_e32 v7, 4, v7
	v_cmp_lt_u32_e64 s[10:11], v12, v3
	s_waitcnt lgkmcnt(0)
	v_add_f32_e32 v6, v5, v6
	v_add_lshl_u32 v13, v7, v1, 2
	v_cndmask_b32_e64 v5, v5, v6, s[10:11]
	ds_bpermute_b32 v6, v13, v5
	v_cmp_gt_u32_e32 vcc, 32, v4
	v_cndmask_b32_e64 v4, 0, 1, vcc
	v_lshlrev_b32_e32 v4, 5, v4
	v_add_lshl_u32 v14, v4, v1, 2
	s_waitcnt lgkmcnt(0)
	v_add_f32_e32 v4, v5, v6
	v_cmp_lt_u32_e64 s[12:13], v15, v3
	v_cndmask_b32_e64 v4, v5, v4, s[12:13]
	ds_bpermute_b32 v5, v14, v4
	v_add_u32_e32 v6, 32, v1
	v_readfirstlane_b32 s52, v2
	v_cmp_lt_u32_e64 s[20:21], v6, v3
	s_waitcnt lgkmcnt(0)
	v_add_f32_e32 v2, v4, v5
	v_cndmask_b32_e64 v2, v4, v2, s[20:21]
	s_and_saveexec_b64 s[16:17], s[14:15]
	s_cbranch_execz .LBB7_52
; %bb.51:
	v_lshrrev_b32_e32 v3, 4, v0
	v_and_b32_e32 v3, 60, v3
	ds_write_b32 v3, v2
.LBB7_52:
	s_or_b64 exec, exec, s[16:17]
	v_cmp_gt_u32_e64 s[16:17], 16, v0
	s_waitcnt lgkmcnt(0)
	s_barrier
	s_and_saveexec_b64 s[28:29], s[16:17]
	s_cbranch_execz .LBB7_54
; %bb.53:
	v_lshlrev_b32_e32 v2, 2, v1
	ds_read_b32 v2, v2
	v_and_b32_e32 v3, 15, v1
	v_cmp_ne_u32_e32 vcc, 15, v3
	v_addc_co_u32_e32 v4, vcc, 0, v1, vcc
	v_lshlrev_b32_e32 v4, 2, v4
	s_waitcnt lgkmcnt(0)
	ds_bpermute_b32 v4, v4, v2
	s_add_i32 s18, s52, 63
	s_lshr_b32 s38, s18, 6
	v_add_u32_e32 v5, 1, v3
	v_cmp_gt_u32_e64 s[18:19], 14, v3
	v_cmp_gt_u32_e32 vcc, s38, v5
	v_cndmask_b32_e64 v5, 0, 1, s[18:19]
	s_waitcnt lgkmcnt(0)
	v_add_f32_e32 v4, v2, v4
	v_lshlrev_b32_e32 v5, 1, v5
	v_cndmask_b32_e32 v4, v2, v4, vcc
	v_add_lshl_u32 v5, v5, v1, 2
	ds_bpermute_b32 v5, v5, v4
	v_add_u32_e32 v6, 2, v3
	v_cmp_gt_u32_e64 s[18:19], s38, v6
	v_add_u32_e32 v6, 4, v3
	s_waitcnt lgkmcnt(0)
	v_add_f32_e32 v5, v4, v5
	v_cndmask_b32_e64 v4, v4, v5, s[18:19]
	v_cmp_gt_u32_e64 s[18:19], 12, v3
	v_cndmask_b32_e64 v5, 0, 1, s[18:19]
	v_lshlrev_b32_e32 v5, 2, v5
	v_add_lshl_u32 v5, v5, v1, 2
	ds_bpermute_b32 v5, v5, v4
	v_cmp_gt_u32_e64 s[18:19], s38, v6
	s_waitcnt lgkmcnt(0)
	v_add_f32_e32 v5, v4, v5
	v_cndmask_b32_e64 v4, v4, v5, s[18:19]
	v_cmp_gt_u32_e64 s[18:19], 8, v3
	v_cndmask_b32_e64 v5, 0, 1, s[18:19]
	v_lshlrev_b32_e32 v5, 3, v5
	v_add_lshl_u32 v5, v5, v1, 2
	ds_bpermute_b32 v5, v5, v4
	v_add_u32_e32 v3, 8, v3
	v_cmp_gt_u32_e64 s[18:19], s38, v3
	s_waitcnt lgkmcnt(0)
	v_add_f32_e32 v5, v4, v5
	v_cndmask_b32_e64 v3, v4, v5, s[18:19]
	v_cndmask_b32_e32 v2, v2, v3, vcc
.LBB7_54:
	s_or_b64 exec, exec, s[28:29]
	v_cmp_eq_u32_e64 s[18:19], 0, v0
	s_and_saveexec_b64 s[28:29], s[18:19]
	s_cbranch_execz .LBB7_56
; %bb.55:
	v_cvt_f32_i32_e32 v3, s37
	s_mov_b32 s37, 0x800000
	v_div_scale_f32 v4, s[38:39], v3, v3, v2
	v_rcp_f32_e32 v5, v4
	v_div_scale_f32 v6, vcc, v2, v3, v2
	v_fma_f32 v7, -v4, v5, 1.0
	v_fmac_f32_e32 v5, v7, v5
	v_mul_f32_e32 v7, v6, v5
	v_fma_f32 v12, -v4, v7, v6
	v_fmac_f32_e32 v7, v12, v5
	v_fma_f32 v4, -v4, v7, v6
	v_div_fmas_f32 v4, v4, v5, v7
	v_div_fixup_f32 v2, v4, v3, v2
	v_add_f32_e32 v2, s36, v2
	v_mul_f32_e32 v3, 0x4b800000, v2
	v_cmp_gt_f32_e32 vcc, s37, v2
	v_cndmask_b32_e32 v2, v2, v3, vcc
	v_rsq_f32_e32 v2, v2
	v_mul_f32_e32 v3, 0x45800000, v2
	v_cndmask_b32_e32 v2, v2, v3, vcc
	v_mov_b32_e32 v3, 0
	ds_write_b32 v3, v2 offset:256
.LBB7_56:
	s_or_b64 exec, exec, s[28:29]
	v_mov_b32_e32 v15, 0
	s_waitcnt lgkmcnt(0)
	s_barrier
	ds_read_b32 v12, v15 offset:256
	s_and_saveexec_b64 s[28:29], s[0:1]
	s_cbranch_execz .LBB7_66
; %bb.57:
	s_add_i32 s55, s52, s52
	s_mul_i32 s53, s52, 3
	s_lshl_b32 s54, s52, 1
	s_mov_b64 s[36:37], 0
	v_mov_b32_e32 v3, 0
	v_mov_b32_e32 v16, s48
	;; [unrolled: 1-line block ×4, first 2 shown]
	s_add_i32 s55, s55, s52
	v_mov_b32_e32 v15, 0
	v_mov_b32_e32 v2, v0
                                        ; implicit-def: $sgpr38_sgpr39
	s_branch .LBB7_61
.LBB7_58:                               ;   in Loop: Header=BB7_61 Depth=1
	s_or_b64 exec, exec, s[44:45]
	s_orn2_b64 s[44:45], s[46:47], exec
.LBB7_59:                               ;   in Loop: Header=BB7_61 Depth=1
	s_or_b64 exec, exec, s[42:43]
	s_andn2_b64 s[38:39], s[38:39], exec
	s_and_b64 s[42:43], s[44:45], exec
	s_or_b64 s[38:39], s[38:39], s[42:43]
.LBB7_60:                               ;   in Loop: Header=BB7_61 Depth=1
	s_or_b64 exec, exec, s[40:41]
	s_and_b64 s[40:41], exec, s[38:39]
	s_or_b64 s[36:37], s[40:41], s[36:37]
	s_andn2_b64 exec, exec, s[36:37]
	s_cbranch_execz .LBB7_65
.LBB7_61:                               ; =>This Inner Loop Header: Depth=1
	v_lshlrev_b64 v[4:5], 3, v[2:3]
	v_add_co_u32_e32 v6, vcc, s33, v4
	v_addc_co_u32_e32 v7, vcc, v16, v5, vcc
	v_add_co_u32_e32 v20, vcc, s49, v4
	v_addc_co_u32_e32 v21, vcc, v18, v5, vcc
	global_load_dwordx2 v[6:7], v[6:7], off
	v_add_co_u32_e32 v4, vcc, s30, v4
	global_load_dwordx2 v[20:21], v[20:21], off
	v_addc_co_u32_e32 v5, vcc, v17, v5, vcc
	global_load_dwordx2 v[4:5], v[4:5], off
	s_or_b64 s[38:39], s[38:39], exec
	s_waitcnt vmcnt(2)
	v_cvt_f32_f16_e32 v19, v6
	v_cvt_f32_f16_sdwa v6, v6 dst_sel:DWORD dst_unused:UNUSED_PAD src0_sel:WORD_1
	v_cvt_f32_f16_e32 v22, v7
	s_waitcnt vmcnt(1)
	v_cvt_f32_f16_e32 v23, v20
	v_cvt_f32_f16_sdwa v20, v20 dst_sel:DWORD dst_unused:UNUSED_PAD src0_sel:WORD_1
	v_cvt_f32_f16_sdwa v7, v7 dst_sel:DWORD dst_unused:UNUSED_PAD src0_sel:WORD_1
	v_cvt_f32_f16_e32 v24, v21
	v_cvt_f32_f16_sdwa v21, v21 dst_sel:DWORD dst_unused:UNUSED_PAD src0_sel:WORD_1
	v_add_f32_e32 v19, v19, v23
	v_add_f32_e32 v6, v6, v20
	;; [unrolled: 1-line block ×4, first 2 shown]
	s_waitcnt lgkmcnt(0)
	v_fma_mixlo_f16 v19, v12, v19, 0
	v_fma_mixlo_f16 v6, v12, v6, 0
	v_fma_mixlo_f16 v20, v12, v20, 0
	v_fma_mixlo_f16 v7, v12, v7, 0
	s_waitcnt vmcnt(0)
	v_mul_f16_e32 v19, v4, v19
	v_mul_f16_sdwa v4, v4, v6 dst_sel:DWORD dst_unused:UNUSED_PAD src0_sel:WORD_1 src1_sel:DWORD
	v_mul_f16_e32 v6, v5, v20
	v_mul_f16_sdwa v5, v5, v7 dst_sel:DWORD dst_unused:UNUSED_PAD src0_sel:WORD_1 src1_sel:DWORD
	v_cvt_f32_f16_e64 v7, |v19|
	v_cvt_f32_f16_e64 v19, |v4|
	;; [unrolled: 1-line block ×4, first 2 shown]
	v_add_u32_e32 v4, s52, v2
	v_max3_f32 v7, v15, v7, v19
	v_cmp_gt_u32_e32 vcc, s51, v4
	v_max3_f32 v15, v7, v6, v5
	s_and_saveexec_b64 s[40:41], vcc
	s_cbranch_execz .LBB7_60
; %bb.62:                               ;   in Loop: Header=BB7_61 Depth=1
	v_mov_b32_e32 v5, v3
	v_lshlrev_b64 v[6:7], 3, v[4:5]
	v_add_co_u32_e32 v20, vcc, s33, v6
	v_addc_co_u32_e32 v21, vcc, v16, v7, vcc
	v_add_co_u32_e32 v22, vcc, s49, v6
	v_addc_co_u32_e32 v23, vcc, v18, v7, vcc
	global_load_dwordx2 v[20:21], v[20:21], off
	v_add_co_u32_e32 v6, vcc, s30, v6
	global_load_dwordx2 v[22:23], v[22:23], off
	v_addc_co_u32_e32 v7, vcc, v17, v7, vcc
	global_load_dwordx2 v[6:7], v[6:7], off
	s_mov_b64 s[44:45], -1
	s_waitcnt vmcnt(2)
	v_cvt_f32_f16_e32 v5, v20
	v_cvt_f32_f16_sdwa v19, v20 dst_sel:DWORD dst_unused:UNUSED_PAD src0_sel:WORD_1
	v_cvt_f32_f16_e32 v20, v21
	s_waitcnt vmcnt(1)
	v_cvt_f32_f16_e32 v24, v22
	v_cvt_f32_f16_sdwa v22, v22 dst_sel:DWORD dst_unused:UNUSED_PAD src0_sel:WORD_1
	v_cvt_f32_f16_sdwa v21, v21 dst_sel:DWORD dst_unused:UNUSED_PAD src0_sel:WORD_1
	v_cvt_f32_f16_e32 v25, v23
	v_cvt_f32_f16_sdwa v23, v23 dst_sel:DWORD dst_unused:UNUSED_PAD src0_sel:WORD_1
	v_add_f32_e32 v5, v5, v24
	v_add_f32_e32 v19, v19, v22
	;; [unrolled: 1-line block ×4, first 2 shown]
	v_fma_mixlo_f16 v5, v12, v5, 0
	v_fma_mixlo_f16 v19, v12, v19, 0
	;; [unrolled: 1-line block ×4, first 2 shown]
	s_waitcnt vmcnt(0)
	v_mul_f16_e32 v5, v6, v5
	v_mul_f16_sdwa v6, v6, v19 dst_sel:DWORD dst_unused:UNUSED_PAD src0_sel:WORD_1 src1_sel:DWORD
	v_mul_f16_e32 v19, v7, v20
	v_mul_f16_sdwa v7, v7, v21 dst_sel:DWORD dst_unused:UNUSED_PAD src0_sel:WORD_1 src1_sel:DWORD
	v_cvt_f32_f16_e64 v5, |v5|
	v_cvt_f32_f16_e64 v20, |v6|
	v_cvt_f32_f16_e64 v19, |v19|
	v_cvt_f32_f16_e64 v7, |v7|
	v_add_u32_e32 v6, s54, v2
	v_max3_f32 v5, v15, v5, v20
	v_cmp_gt_u32_e32 vcc, s51, v6
	v_max3_f32 v15, v5, v19, v7
	s_and_saveexec_b64 s[42:43], vcc
	s_cbranch_execz .LBB7_59
; %bb.63:                               ;   in Loop: Header=BB7_61 Depth=1
	v_mov_b32_e32 v7, v3
	v_lshlrev_b64 v[6:7], 3, v[6:7]
	v_add_co_u32_e32 v20, vcc, s33, v6
	v_addc_co_u32_e32 v21, vcc, v16, v7, vcc
	v_add_co_u32_e32 v22, vcc, s49, v6
	v_addc_co_u32_e32 v23, vcc, v18, v7, vcc
	global_load_dwordx2 v[20:21], v[20:21], off
	v_add_co_u32_e32 v6, vcc, s30, v6
	global_load_dwordx2 v[22:23], v[22:23], off
	v_addc_co_u32_e32 v7, vcc, v17, v7, vcc
	global_load_dwordx2 v[6:7], v[6:7], off
	v_add_u32_e32 v2, s53, v2
	v_cmp_gt_u32_e32 vcc, s51, v2
	s_mov_b64 s[46:47], -1
	s_waitcnt vmcnt(2)
	v_cvt_f32_f16_e32 v5, v20
	v_cvt_f32_f16_sdwa v19, v20 dst_sel:DWORD dst_unused:UNUSED_PAD src0_sel:WORD_1
	v_cvt_f32_f16_e32 v20, v21
	s_waitcnt vmcnt(1)
	v_cvt_f32_f16_e32 v24, v22
	v_cvt_f32_f16_sdwa v22, v22 dst_sel:DWORD dst_unused:UNUSED_PAD src0_sel:WORD_1
	v_cvt_f32_f16_sdwa v21, v21 dst_sel:DWORD dst_unused:UNUSED_PAD src0_sel:WORD_1
	v_cvt_f32_f16_e32 v25, v23
	v_cvt_f32_f16_sdwa v23, v23 dst_sel:DWORD dst_unused:UNUSED_PAD src0_sel:WORD_1
	v_add_f32_e32 v5, v5, v24
	v_add_f32_e32 v19, v19, v22
	;; [unrolled: 1-line block ×4, first 2 shown]
	v_fma_mixlo_f16 v5, v12, v5, 0
	v_fma_mixlo_f16 v19, v12, v19, 0
	;; [unrolled: 1-line block ×4, first 2 shown]
	s_waitcnt vmcnt(0)
	v_mul_f16_e32 v5, v6, v5
	v_mul_f16_sdwa v6, v6, v19 dst_sel:DWORD dst_unused:UNUSED_PAD src0_sel:WORD_1 src1_sel:DWORD
	v_mul_f16_e32 v19, v7, v20
	v_mul_f16_sdwa v7, v7, v21 dst_sel:DWORD dst_unused:UNUSED_PAD src0_sel:WORD_1 src1_sel:DWORD
	v_cvt_f32_f16_e64 v5, |v5|
	v_cvt_f32_f16_e64 v6, |v6|
	;; [unrolled: 1-line block ×4, first 2 shown]
	v_max3_f32 v5, v15, v5, v6
	v_max3_f32 v15, v5, v19, v7
	s_and_saveexec_b64 s[44:45], vcc
	s_xor_b64 s[44:45], exec, s[44:45]
	s_cbranch_execz .LBB7_58
; %bb.64:                               ;   in Loop: Header=BB7_61 Depth=1
	v_lshlrev_b64 v[6:7], 3, v[2:3]
	v_mov_b32_e32 v2, s48
	v_add_co_u32_e32 v20, vcc, s33, v6
	v_addc_co_u32_e32 v21, vcc, v2, v7, vcc
	v_mov_b32_e32 v2, s50
	v_add_co_u32_e32 v22, vcc, s49, v6
	v_addc_co_u32_e32 v23, vcc, v2, v7, vcc
	global_load_dwordx2 v[20:21], v[20:21], off
	v_mov_b32_e32 v2, s31
	global_load_dwordx2 v[22:23], v[22:23], off
	v_add_co_u32_e32 v6, vcc, s30, v6
	v_addc_co_u32_e32 v7, vcc, v2, v7, vcc
	global_load_dwordx2 v[6:7], v[6:7], off
	s_waitcnt vmcnt(2)
	v_cvt_f32_f16_e32 v2, v20
	v_cvt_f32_f16_sdwa v5, v20 dst_sel:DWORD dst_unused:UNUSED_PAD src0_sel:WORD_1
	v_cvt_f32_f16_e32 v19, v21
	v_cvt_f32_f16_sdwa v20, v21 dst_sel:DWORD dst_unused:UNUSED_PAD src0_sel:WORD_1
	s_waitcnt vmcnt(1)
	v_cvt_f32_f16_e32 v21, v22
	v_cvt_f32_f16_sdwa v22, v22 dst_sel:DWORD dst_unused:UNUSED_PAD src0_sel:WORD_1
	v_cvt_f32_f16_e32 v24, v23
	v_cvt_f32_f16_sdwa v23, v23 dst_sel:DWORD dst_unused:UNUSED_PAD src0_sel:WORD_1
	v_add_f32_e32 v2, v2, v21
	v_add_f32_e32 v5, v5, v22
	;; [unrolled: 1-line block ×4, first 2 shown]
	v_fma_mixlo_f16 v2, v12, v2, 0
	v_fma_mixlo_f16 v5, v12, v5, 0
	;; [unrolled: 1-line block ×4, first 2 shown]
	s_waitcnt vmcnt(0)
	v_mul_f16_e32 v2, v6, v2
	v_mul_f16_sdwa v5, v6, v5 dst_sel:DWORD dst_unused:UNUSED_PAD src0_sel:WORD_1 src1_sel:DWORD
	v_mul_f16_e32 v6, v7, v19
	v_mul_f16_sdwa v7, v7, v20 dst_sel:DWORD dst_unused:UNUSED_PAD src0_sel:WORD_1 src1_sel:DWORD
	v_cvt_f32_f16_e64 v19, |v2|
	v_cvt_f32_f16_e64 v5, |v5|
	;; [unrolled: 1-line block ×4, first 2 shown]
	v_add_u32_e32 v2, s55, v4
	v_cmp_le_u32_e32 vcc, s51, v2
	v_max3_f32 v4, v15, v19, v5
	v_max3_f32 v15, v4, v6, v7
	s_orn2_b64 s[46:47], vcc, exec
	s_branch .LBB7_58
.LBB7_65:
	s_or_b64 exec, exec, s[36:37]
.LBB7_66:
	s_or_b64 exec, exec, s[28:29]
	ds_bpermute_b32 v2, v8, v15
	s_waitcnt lgkmcnt(0)
	v_cmp_lt_f32_e32 vcc, v15, v2
	v_cndmask_b32_e32 v2, v15, v2, vcc
	v_cndmask_b32_e64 v2, v15, v2, s[2:3]
	ds_bpermute_b32 v3, v9, v2
	s_or_b64 s[2:3], s[2:3], s[4:5]
	s_or_b64 s[2:3], s[8:9], s[2:3]
	;; [unrolled: 1-line block ×4, first 2 shown]
	s_waitcnt lgkmcnt(0)
	v_cmp_lt_f32_e32 vcc, v2, v3
	v_cndmask_b32_e32 v3, v2, v3, vcc
	v_cndmask_b32_e64 v2, v2, v3, s[4:5]
	ds_bpermute_b32 v3, v10, v2
	s_waitcnt lgkmcnt(0)
	v_cmp_lt_f32_e32 vcc, v2, v3
	v_cndmask_b32_e32 v3, v2, v3, vcc
	v_cndmask_b32_e64 v2, v2, v3, s[8:9]
	ds_bpermute_b32 v3, v11, v2
	s_waitcnt lgkmcnt(0)
	v_cmp_lt_f32_e32 vcc, v2, v3
	v_cndmask_b32_e32 v3, v2, v3, vcc
	v_cndmask_b32_e64 v2, v2, v3, s[10:11]
	ds_bpermute_b32 v3, v13, v2
	s_waitcnt lgkmcnt(0)
	v_cmp_lt_f32_e32 vcc, v2, v3
	v_cndmask_b32_e32 v3, v2, v3, vcc
	v_cndmask_b32_e64 v2, v2, v3, s[12:13]
	ds_bpermute_b32 v3, v14, v2
	s_waitcnt lgkmcnt(0)
	v_cmp_lt_f32_e32 vcc, v2, v3
	s_and_b64 vcc, s[20:21], vcc
	v_cndmask_b32_e32 v2, v2, v3, vcc
	s_or_b64 vcc, s[20:21], s[2:3]
	v_cndmask_b32_e32 v2, v15, v2, vcc
	s_and_saveexec_b64 s[2:3], s[14:15]
	s_cbranch_execz .LBB7_68
; %bb.67:
	v_lshrrev_b32_e32 v3, 4, v0
	v_and_b32_e32 v3, 60, v3
	ds_write_b32 v3, v2 offset:64
.LBB7_68:
	s_or_b64 exec, exec, s[2:3]
	s_waitcnt lgkmcnt(0)
	s_barrier
	s_and_saveexec_b64 s[8:9], s[16:17]
	s_cbranch_execz .LBB7_70
; %bb.69:
	v_lshlrev_b32_e32 v2, 2, v1
	ds_read_b32 v2, v2 offset:64
	v_and_b32_e32 v3, 15, v1
	v_cmp_ne_u32_e32 vcc, 15, v3
	v_addc_co_u32_e32 v4, vcc, 0, v1, vcc
	v_lshlrev_b32_e32 v4, 2, v4
	s_waitcnt lgkmcnt(0)
	ds_bpermute_b32 v4, v4, v2
	s_add_i32 s2, s52, 63
	s_lshr_b32 s4, s2, 6
	v_add_u32_e32 v5, 1, v3
	v_cmp_gt_u32_e64 s[2:3], 14, v3
	s_waitcnt lgkmcnt(0)
	v_cmp_lt_f32_e32 vcc, v2, v4
	v_cndmask_b32_e32 v4, v2, v4, vcc
	v_cmp_gt_u32_e32 vcc, s4, v5
	v_cndmask_b32_e64 v5, 0, 1, s[2:3]
	v_lshlrev_b32_e32 v5, 1, v5
	v_cndmask_b32_e32 v4, v2, v4, vcc
	v_add_lshl_u32 v5, v5, v1, 2
	ds_bpermute_b32 v5, v5, v4
	v_add_u32_e32 v6, 2, v3
	s_waitcnt lgkmcnt(0)
	v_cmp_lt_f32_e64 s[2:3], v4, v5
	v_cndmask_b32_e64 v5, v4, v5, s[2:3]
	v_cmp_gt_u32_e64 s[2:3], s4, v6
	v_cndmask_b32_e64 v4, v4, v5, s[2:3]
	v_cmp_gt_u32_e64 s[2:3], 12, v3
	v_cndmask_b32_e64 v5, 0, 1, s[2:3]
	v_lshlrev_b32_e32 v5, 2, v5
	v_add_lshl_u32 v5, v5, v1, 2
	ds_bpermute_b32 v5, v5, v4
	v_add_u32_e32 v6, 4, v3
	s_waitcnt lgkmcnt(0)
	v_cmp_lt_f32_e64 s[2:3], v4, v5
	v_cndmask_b32_e64 v5, v4, v5, s[2:3]
	v_cmp_gt_u32_e64 s[2:3], s4, v6
	v_cndmask_b32_e64 v4, v4, v5, s[2:3]
	v_cmp_gt_u32_e64 s[2:3], 8, v3
	v_cndmask_b32_e64 v5, 0, 1, s[2:3]
	v_lshlrev_b32_e32 v5, 3, v5
	v_add_lshl_u32 v1, v5, v1, 2
	ds_bpermute_b32 v1, v1, v4
	v_add_u32_e32 v3, 8, v3
	v_cmp_gt_u32_e64 s[2:3], s4, v3
	s_waitcnt lgkmcnt(0)
	v_cmp_lt_f32_e64 s[4:5], v4, v1
	s_and_b64 s[2:3], s[2:3], s[4:5]
	v_cndmask_b32_e64 v1, v4, v1, s[2:3]
	v_cndmask_b32_e32 v2, v2, v1, vcc
.LBB7_70:
	s_or_b64 exec, exec, s[8:9]
	s_and_saveexec_b64 s[2:3], s[18:19]
	s_cbranch_execz .LBB7_74
; %bb.71:
	s_cmp_eq_u64 s[22:23], 0
	s_cbranch_scc1 .LBB7_73
; %bb.72:
	s_load_dword s4, s[22:23], 0x0
	v_max_f32_e32 v1, v2, v2
	s_waitcnt lgkmcnt(0)
	v_max_f32_e64 v2, s4, s4
	v_min_f32_e32 v2, v1, v2
.LBB7_73:
	s_mov_b32 s8, 0x43600000
	v_div_scale_f32 v1, s[4:5], s8, s8, v2
	v_rcp_f32_e32 v3, v1
	v_div_scale_f32 v4, vcc, v2, s8, v2
	s_lshl_b64 s[4:5], s[6:7], 2
	v_fma_f32 v5, -v1, v3, 1.0
	v_fmac_f32_e32 v3, v5, v3
	v_mul_f32_e32 v5, v4, v3
	v_fma_f32 v6, -v1, v5, v4
	v_fmac_f32_e32 v5, v6, v3
	v_fma_f32 v1, -v1, v5, v4
	v_div_fmas_f32 v1, v1, v3, v5
	v_div_fixup_f32 v1, v1, s8, v2
	s_add_u32 s4, s26, s4
	v_max_f32_e32 v1, 0x37124925, v1
	v_mov_b32_e32 v2, 0
	s_addc_u32 s5, s27, s5
	ds_write_b32 v2, v1 offset:260
	global_store_dword v2, v1, s[4:5]
.LBB7_74:
	s_or_b64 exec, exec, s[2:3]
	s_waitcnt lgkmcnt(0)
	s_barrier
	s_and_saveexec_b64 s[2:3], s[0:1]
	s_cbranch_execz .LBB7_211
; %bb.75:
	v_mov_b32_e32 v1, 0
	ds_read_b32 v13, v1 offset:260
	s_add_u32 s14, s24, s34
	s_addc_u32 s15, s25, s35
	s_mul_i32 s16, s52, 3
	s_lshl_b32 s17, s52, 1
	s_mov_b64 s[0:1], 0
	v_mov_b32_e32 v14, s48
	v_mov_b32_e32 v15, s31
	;; [unrolled: 1-line block ×3, first 2 shown]
	s_mov_b32 s18, 0x43800000
	s_mov_b32 s19, 0x3bffffff
	;; [unrolled: 1-line block ×4, first 2 shown]
	s_movk_i32 s22, 0x80
	s_mov_b32 s23, 0x4020c0c
	s_branch .LBB7_81
.LBB7_76:                               ;   in Loop: Header=BB7_81 Depth=1
	s_or_b64 exec, exec, s[12:13]
.LBB7_77:                               ;   in Loop: Header=BB7_81 Depth=1
	s_or_b64 exec, exec, s[8:9]
	v_lshlrev_b64 v[10:11], 2, v[0:1]
	v_mov_b32_e32 v0, s15
	v_add_co_u32_e32 v10, vcc, s14, v10
	v_addc_co_u32_e32 v11, vcc, v0, v11, vcc
	v_lshlrev_b32_e32 v0, 16, v6
	v_lshlrev_b32_e32 v3, 8, v3
	v_perm_b32 v0, v4, v0, s23
	v_and_b32_e32 v3, 0xff00, v3
	v_and_b32_e32 v4, 0xff, v8
	s_add_i32 s8, s52, s52
	v_or3_b32 v0, v0, v3, v4
	s_add_i32 s8, s8, s52
	global_store_dword v[10:11], v0, off
	v_add_u32_e32 v0, s8, v2
	v_cmp_le_u32_e32 vcc, s51, v0
	s_orn2_b64 s[8:9], vcc, exec
.LBB7_78:                               ;   in Loop: Header=BB7_81 Depth=1
	s_or_b64 exec, exec, s[6:7]
	s_orn2_b64 s[6:7], s[8:9], exec
.LBB7_79:                               ;   in Loop: Header=BB7_81 Depth=1
	s_or_b64 exec, exec, s[4:5]
	s_orn2_b64 s[4:5], s[6:7], exec
.LBB7_80:                               ;   in Loop: Header=BB7_81 Depth=1
	s_or_b64 exec, exec, s[2:3]
	s_and_b64 s[2:3], exec, s[4:5]
	s_or_b64 s[0:1], s[2:3], s[0:1]
	s_andn2_b64 exec, exec, s[0:1]
	s_cbranch_execz .LBB7_211
.LBB7_81:                               ; =>This Inner Loop Header: Depth=1
	v_lshlrev_b64 v[2:3], 3, v[0:1]
	v_add_co_u32_e32 v4, vcc, s33, v2
	v_addc_co_u32_e32 v5, vcc, v14, v3, vcc
	v_add_co_u32_e32 v10, vcc, s49, v2
	v_addc_co_u32_e32 v11, vcc, v16, v3, vcc
	global_load_dwordx2 v[4:5], v[4:5], off
	v_add_co_u32_e32 v2, vcc, s30, v2
	global_load_dwordx2 v[6:7], v[10:11], off
	v_addc_co_u32_e32 v3, vcc, v15, v3, vcc
	global_load_dwordx2 v[2:3], v[2:3], off
	v_mov_b32_e32 v8, 0x80
	s_waitcnt vmcnt(2)
	v_cvt_f32_f16_e32 v20, v4
	v_cvt_f32_f16_sdwa v21, v4 dst_sel:DWORD dst_unused:UNUSED_PAD src0_sel:WORD_1
	v_cvt_f32_f16_e32 v18, v5
	s_waitcnt vmcnt(1)
	v_cvt_f32_f16_e32 v22, v6
	v_cvt_f32_f16_sdwa v23, v6 dst_sel:DWORD dst_unused:UNUSED_PAD src0_sel:WORD_1
	v_cvt_f32_f16_sdwa v19, v5 dst_sel:DWORD dst_unused:UNUSED_PAD src0_sel:WORD_1
	v_cvt_f32_f16_e32 v4, v7
	v_cvt_f32_f16_sdwa v5, v7 dst_sel:DWORD dst_unused:UNUSED_PAD src0_sel:WORD_1
	v_pk_add_f32 v[6:7], v[20:21], v[22:23]
	v_cvt_f16_f32_e32 v20, v6
	v_fma_mixlo_f16 v6, v12, v6, 0
	v_pk_add_f32 v[4:5], v[18:19], v[4:5]
	s_waitcnt vmcnt(0)
	v_mul_f16_e32 v6, v2, v6
	v_cvt_f16_f32_e32 v9, v5
	v_cvt_f16_f32_e32 v17, v4
	v_cvt_f32_f16_e32 v6, v6
	v_cvt_f16_f32_e32 v18, v7
	v_pack_b32_f16 v19, v17, v9
	s_waitcnt lgkmcnt(0)
	v_div_scale_f32 v9, s[2:3], v13, v13, v6
	v_rcp_f32_e32 v17, v9
	v_pack_b32_f16 v18, v20, v18
	global_store_dwordx2 v[10:11], v[18:19], off
	v_div_scale_f32 v10, vcc, v6, v13, v6
	v_fma_f32 v11, -v9, v17, 1.0
	v_fmac_f32_e32 v17, v11, v17
	v_mul_f32_e32 v11, v10, v17
	v_fma_f32 v18, -v9, v11, v10
	v_fmac_f32_e32 v11, v18, v17
	v_fma_f32 v9, -v9, v11, v10
	v_div_fmas_f32 v9, v9, v17, v11
	v_div_fixup_f32 v6, v9, v13, v6
	v_min_f32_e32 v6, 0x43600000, v6
	v_max_f32_e32 v9, 0xc3600000, v6
	v_and_b32_e32 v10, 0x7fffffff, v9
	v_cmp_gt_u32_e32 vcc, s18, v10
	v_mov_b32_e32 v6, 0x80
	s_and_saveexec_b64 s[2:3], vcc
	s_cbranch_execz .LBB7_87
; %bb.82:                               ;   in Loop: Header=BB7_81 Depth=1
	v_cmp_lt_u32_e32 vcc, s19, v10
	s_mov_b64 s[4:5], 0
                                        ; implicit-def: $vgpr10
	s_and_saveexec_b64 s[6:7], vcc
	s_xor_b64 s[6:7], exec, s[6:7]
	s_cbranch_execnz .LBB7_178
; %bb.83:                               ;   in Loop: Header=BB7_81 Depth=1
	s_or_saveexec_b64 s[6:7], s[6:7]
                                        ; implicit-def: $sgpr8
	s_xor_b64 exec, exec, s[6:7]
	s_cbranch_execnz .LBB7_179
.LBB7_84:                               ;   in Loop: Header=BB7_81 Depth=1
	s_or_b64 exec, exec, s[6:7]
	v_mov_b32_e32 v6, s8
	s_and_saveexec_b64 s[6:7], s[4:5]
.LBB7_85:                               ;   in Loop: Header=BB7_81 Depth=1
	v_lshrrev_b32_e32 v6, 24, v9
	v_and_or_b32 v6, v6, s22, v10
.LBB7_86:                               ;   in Loop: Header=BB7_81 Depth=1
	s_or_b64 exec, exec, s[6:7]
.LBB7_87:                               ;   in Loop: Header=BB7_81 Depth=1
	s_or_b64 exec, exec, s[2:3]
	v_fma_mixlo_f16 v7, v12, v7, 0
	v_mul_f16_sdwa v2, v2, v7 dst_sel:DWORD dst_unused:UNUSED_PAD src0_sel:WORD_1 src1_sel:DWORD
	v_cvt_f32_f16_e32 v2, v2
	v_div_scale_f32 v7, s[2:3], v13, v13, v2
	v_rcp_f32_e32 v9, v7
	v_div_scale_f32 v10, vcc, v2, v13, v2
	v_fma_f32 v11, -v7, v9, 1.0
	v_fmac_f32_e32 v9, v11, v9
	v_mul_f32_e32 v11, v10, v9
	v_fma_f32 v17, -v7, v11, v10
	v_fmac_f32_e32 v11, v17, v9
	v_fma_f32 v7, -v7, v11, v10
	v_div_fmas_f32 v7, v7, v9, v11
	v_div_fixup_f32 v2, v7, v13, v2
	v_min_f32_e32 v2, 0x43600000, v2
	v_max_f32_e32 v2, 0xc3600000, v2
	v_and_b32_e32 v7, 0x7fffffff, v2
	v_cmp_gt_u32_e32 vcc, s18, v7
	s_and_saveexec_b64 s[2:3], vcc
	s_cbranch_execz .LBB7_93
; %bb.88:                               ;   in Loop: Header=BB7_81 Depth=1
	v_cmp_lt_u32_e32 vcc, s19, v7
	s_mov_b64 s[4:5], 0
                                        ; implicit-def: $vgpr7
	s_and_saveexec_b64 s[6:7], vcc
	s_xor_b64 s[6:7], exec, s[6:7]
	s_cbranch_execnz .LBB7_180
; %bb.89:                               ;   in Loop: Header=BB7_81 Depth=1
	s_or_saveexec_b64 s[6:7], s[6:7]
                                        ; implicit-def: $sgpr8
	s_xor_b64 exec, exec, s[6:7]
	s_cbranch_execnz .LBB7_181
.LBB7_90:                               ;   in Loop: Header=BB7_81 Depth=1
	s_or_b64 exec, exec, s[6:7]
	v_mov_b32_e32 v8, s8
	s_and_saveexec_b64 s[6:7], s[4:5]
.LBB7_91:                               ;   in Loop: Header=BB7_81 Depth=1
	v_lshrrev_b32_e32 v2, 24, v2
	v_and_or_b32 v8, v2, s22, v7
.LBB7_92:                               ;   in Loop: Header=BB7_81 Depth=1
	s_or_b64 exec, exec, s[6:7]
.LBB7_93:                               ;   in Loop: Header=BB7_81 Depth=1
	s_or_b64 exec, exec, s[2:3]
	v_fma_mixlo_f16 v2, v12, v4, 0
	v_mul_f16_e32 v2, v3, v2
	v_cvt_f32_f16_e32 v4, v2
	v_mov_b32_e32 v2, 0x80
	v_div_scale_f32 v7, s[2:3], v13, v13, v4
	v_rcp_f32_e32 v9, v7
	v_div_scale_f32 v10, vcc, v4, v13, v4
	v_fma_f32 v11, -v7, v9, 1.0
	v_fmac_f32_e32 v9, v11, v9
	v_mul_f32_e32 v11, v10, v9
	v_fma_f32 v17, -v7, v11, v10
	v_fmac_f32_e32 v11, v17, v9
	v_fma_f32 v7, -v7, v11, v10
	v_div_fmas_f32 v7, v7, v9, v11
	v_div_fixup_f32 v4, v7, v13, v4
	v_min_f32_e32 v4, 0x43600000, v4
	v_max_f32_e32 v7, 0xc3600000, v4
	v_and_b32_e32 v9, 0x7fffffff, v7
	v_cmp_gt_u32_e32 vcc, s18, v9
	v_mov_b32_e32 v4, 0x80
	s_and_saveexec_b64 s[2:3], vcc
	s_cbranch_execz .LBB7_99
; %bb.94:                               ;   in Loop: Header=BB7_81 Depth=1
	v_cmp_lt_u32_e32 vcc, s19, v9
	s_mov_b64 s[4:5], 0
                                        ; implicit-def: $vgpr9
	s_and_saveexec_b64 s[6:7], vcc
	s_xor_b64 s[6:7], exec, s[6:7]
	s_cbranch_execnz .LBB7_182
; %bb.95:                               ;   in Loop: Header=BB7_81 Depth=1
	s_or_saveexec_b64 s[6:7], s[6:7]
                                        ; implicit-def: $sgpr8
	s_xor_b64 exec, exec, s[6:7]
	s_cbranch_execnz .LBB7_183
.LBB7_96:                               ;   in Loop: Header=BB7_81 Depth=1
	s_or_b64 exec, exec, s[6:7]
	v_mov_b32_e32 v4, s8
	s_and_saveexec_b64 s[6:7], s[4:5]
.LBB7_97:                               ;   in Loop: Header=BB7_81 Depth=1
	v_lshrrev_b32_e32 v4, 24, v7
	v_and_or_b32 v4, v4, s22, v9
.LBB7_98:                               ;   in Loop: Header=BB7_81 Depth=1
	s_or_b64 exec, exec, s[6:7]
.LBB7_99:                               ;   in Loop: Header=BB7_81 Depth=1
	s_or_b64 exec, exec, s[2:3]
	v_fma_mixlo_f16 v5, v12, v5, 0
	v_mul_f16_sdwa v3, v3, v5 dst_sel:DWORD dst_unused:UNUSED_PAD src0_sel:WORD_1 src1_sel:DWORD
	v_cvt_f32_f16_e32 v3, v3
	v_div_scale_f32 v5, s[2:3], v13, v13, v3
	v_rcp_f32_e32 v7, v5
	v_div_scale_f32 v9, vcc, v3, v13, v3
	v_fma_f32 v10, -v5, v7, 1.0
	v_fmac_f32_e32 v7, v10, v7
	v_mul_f32_e32 v10, v9, v7
	v_fma_f32 v11, -v5, v10, v9
	v_fmac_f32_e32 v10, v11, v7
	v_fma_f32 v5, -v5, v10, v9
	v_div_fmas_f32 v5, v5, v7, v10
	v_div_fixup_f32 v3, v5, v13, v3
	v_min_f32_e32 v3, 0x43600000, v3
	v_max_f32_e32 v3, 0xc3600000, v3
	v_and_b32_e32 v5, 0x7fffffff, v3
	v_cmp_gt_u32_e32 vcc, s18, v5
	s_and_saveexec_b64 s[2:3], vcc
	s_cbranch_execz .LBB7_105
; %bb.100:                              ;   in Loop: Header=BB7_81 Depth=1
	v_cmp_lt_u32_e32 vcc, s19, v5
	s_mov_b64 s[4:5], 0
                                        ; implicit-def: $vgpr5
	s_and_saveexec_b64 s[6:7], vcc
	s_xor_b64 s[6:7], exec, s[6:7]
	s_cbranch_execnz .LBB7_184
; %bb.101:                              ;   in Loop: Header=BB7_81 Depth=1
	s_or_saveexec_b64 s[6:7], s[6:7]
                                        ; implicit-def: $sgpr8
	s_xor_b64 exec, exec, s[6:7]
	s_cbranch_execnz .LBB7_185
.LBB7_102:                              ;   in Loop: Header=BB7_81 Depth=1
	s_or_b64 exec, exec, s[6:7]
	v_mov_b32_e32 v2, s8
	s_and_saveexec_b64 s[6:7], s[4:5]
.LBB7_103:                              ;   in Loop: Header=BB7_81 Depth=1
	v_lshrrev_b32_e32 v2, 24, v3
	v_and_or_b32 v2, v2, s22, v5
.LBB7_104:                              ;   in Loop: Header=BB7_81 Depth=1
	s_or_b64 exec, exec, s[6:7]
.LBB7_105:                              ;   in Loop: Header=BB7_81 Depth=1
	s_or_b64 exec, exec, s[2:3]
	v_lshlrev_b64 v[10:11], 2, v[0:1]
	v_mov_b32_e32 v3, s15
	v_add_co_u32_e32 v10, vcc, s14, v10
	v_addc_co_u32_e32 v11, vcc, v3, v11, vcc
	v_lshlrev_b32_e32 v3, 16, v4
	v_perm_b32 v2, v2, v3, s23
	v_lshlrev_b32_e32 v3, 8, v8
	v_and_b32_e32 v3, 0xff00, v3
	v_and_b32_e32 v4, 0xff, v6
	v_or3_b32 v2, v2, v3, v4
	global_store_dword v[10:11], v2, off
	v_add_u32_e32 v2, s52, v0
	v_cmp_gt_u32_e32 vcc, s51, v2
	s_mov_b64 s[4:5], -1
	s_and_saveexec_b64 s[2:3], vcc
	s_cbranch_execz .LBB7_80
; %bb.106:                              ;   in Loop: Header=BB7_81 Depth=1
	v_mov_b32_e32 v3, v1
	v_lshlrev_b64 v[4:5], 3, v[2:3]
	v_mov_b32_e32 v7, s48
	v_add_co_u32_e32 v6, vcc, s33, v4
	v_addc_co_u32_e32 v7, vcc, v7, v5, vcc
	v_mov_b32_e32 v8, s50
	v_add_co_u32_e32 v18, vcc, s49, v4
	v_addc_co_u32_e32 v19, vcc, v8, v5, vcc
	global_load_dwordx2 v[6:7], v[6:7], off
	v_mov_b32_e32 v10, s31
	global_load_dwordx2 v[8:9], v[18:19], off
	v_add_co_u32_e32 v4, vcc, s30, v4
	v_addc_co_u32_e32 v5, vcc, v10, v5, vcc
	global_load_dwordx2 v[4:5], v[4:5], off
	v_mov_b32_e32 v10, 0x80
	s_waitcnt vmcnt(2)
	v_cvt_f32_f16_e32 v22, v6
	v_cvt_f32_f16_sdwa v23, v6 dst_sel:DWORD dst_unused:UNUSED_PAD src0_sel:WORD_1
	s_waitcnt vmcnt(1)
	v_cvt_f32_f16_e32 v24, v8
	v_cvt_f32_f16_sdwa v25, v8 dst_sel:DWORD dst_unused:UNUSED_PAD src0_sel:WORD_1
	v_cvt_f32_f16_e32 v20, v7
	v_cvt_f32_f16_sdwa v21, v7 dst_sel:DWORD dst_unused:UNUSED_PAD src0_sel:WORD_1
	;; [unrolled: 2-line block ×3, first 2 shown]
	v_pk_add_f32 v[8:9], v[22:23], v[24:25]
	v_cvt_f16_f32_e32 v22, v8
	v_fma_mixlo_f16 v8, v12, v8, 0
	v_pk_add_f32 v[6:7], v[20:21], v[6:7]
	s_waitcnt vmcnt(0)
	v_mul_f16_e32 v8, v4, v8
	v_cvt_f16_f32_e32 v11, v7
	v_cvt_f16_f32_e32 v17, v6
	v_cvt_f32_f16_e32 v8, v8
	v_cvt_f16_f32_e32 v20, v9
	v_pack_b32_f16 v21, v17, v11
	v_div_scale_f32 v11, s[4:5], v13, v13, v8
	v_rcp_f32_e32 v17, v11
	v_pack_b32_f16 v20, v22, v20
	global_store_dwordx2 v[18:19], v[20:21], off
	v_div_scale_f32 v18, vcc, v8, v13, v8
	v_fma_f32 v19, -v11, v17, 1.0
	v_fmac_f32_e32 v17, v19, v17
	v_mul_f32_e32 v19, v18, v17
	v_fma_f32 v20, -v11, v19, v18
	v_fmac_f32_e32 v19, v20, v17
	v_fma_f32 v11, -v11, v19, v18
	v_div_fmas_f32 v11, v11, v17, v19
	v_div_fixup_f32 v8, v11, v13, v8
	v_min_f32_e32 v8, 0x43600000, v8
	v_max_f32_e32 v11, 0xc3600000, v8
	v_and_b32_e32 v17, 0x7fffffff, v11
	v_cmp_gt_u32_e32 vcc, s18, v17
	v_mov_b32_e32 v8, 0x80
	s_and_saveexec_b64 s[4:5], vcc
	s_cbranch_execz .LBB7_112
; %bb.107:                              ;   in Loop: Header=BB7_81 Depth=1
	v_cmp_lt_u32_e32 vcc, s19, v17
	s_mov_b64 s[6:7], 0
                                        ; implicit-def: $vgpr17
	s_and_saveexec_b64 s[8:9], vcc
	s_xor_b64 s[8:9], exec, s[8:9]
	s_cbranch_execnz .LBB7_186
; %bb.108:                              ;   in Loop: Header=BB7_81 Depth=1
	s_or_saveexec_b64 s[8:9], s[8:9]
                                        ; implicit-def: $sgpr10
	s_xor_b64 exec, exec, s[8:9]
	s_cbranch_execnz .LBB7_187
.LBB7_109:                              ;   in Loop: Header=BB7_81 Depth=1
	s_or_b64 exec, exec, s[8:9]
	v_mov_b32_e32 v8, s10
	s_and_saveexec_b64 s[8:9], s[6:7]
.LBB7_110:                              ;   in Loop: Header=BB7_81 Depth=1
	v_lshrrev_b32_e32 v8, 24, v11
	v_and_or_b32 v8, v8, s22, v17
.LBB7_111:                              ;   in Loop: Header=BB7_81 Depth=1
	s_or_b64 exec, exec, s[8:9]
.LBB7_112:                              ;   in Loop: Header=BB7_81 Depth=1
	s_or_b64 exec, exec, s[4:5]
	v_fma_mixlo_f16 v9, v12, v9, 0
	v_mul_f16_sdwa v4, v4, v9 dst_sel:DWORD dst_unused:UNUSED_PAD src0_sel:WORD_1 src1_sel:DWORD
	v_cvt_f32_f16_e32 v4, v4
	v_div_scale_f32 v9, s[4:5], v13, v13, v4
	v_rcp_f32_e32 v11, v9
	v_div_scale_f32 v17, vcc, v4, v13, v4
	v_fma_f32 v18, -v9, v11, 1.0
	v_fmac_f32_e32 v11, v18, v11
	v_mul_f32_e32 v18, v17, v11
	v_fma_f32 v19, -v9, v18, v17
	v_fmac_f32_e32 v18, v19, v11
	v_fma_f32 v9, -v9, v18, v17
	v_div_fmas_f32 v9, v9, v11, v18
	v_div_fixup_f32 v4, v9, v13, v4
	v_min_f32_e32 v4, 0x43600000, v4
	v_max_f32_e32 v4, 0xc3600000, v4
	v_and_b32_e32 v9, 0x7fffffff, v4
	v_cmp_gt_u32_e32 vcc, s18, v9
	s_and_saveexec_b64 s[4:5], vcc
	s_cbranch_execz .LBB7_118
; %bb.113:                              ;   in Loop: Header=BB7_81 Depth=1
	v_cmp_lt_u32_e32 vcc, s19, v9
	s_mov_b64 s[6:7], 0
                                        ; implicit-def: $vgpr9
	s_and_saveexec_b64 s[8:9], vcc
	s_xor_b64 s[8:9], exec, s[8:9]
	s_cbranch_execnz .LBB7_188
; %bb.114:                              ;   in Loop: Header=BB7_81 Depth=1
	s_or_saveexec_b64 s[8:9], s[8:9]
                                        ; implicit-def: $sgpr10
	s_xor_b64 exec, exec, s[8:9]
	s_cbranch_execnz .LBB7_189
.LBB7_115:                              ;   in Loop: Header=BB7_81 Depth=1
	s_or_b64 exec, exec, s[8:9]
	v_mov_b32_e32 v10, s10
	s_and_saveexec_b64 s[8:9], s[6:7]
.LBB7_116:                              ;   in Loop: Header=BB7_81 Depth=1
	v_lshrrev_b32_e32 v4, 24, v4
	v_and_or_b32 v10, v4, s22, v9
.LBB7_117:                              ;   in Loop: Header=BB7_81 Depth=1
	s_or_b64 exec, exec, s[8:9]
.LBB7_118:                              ;   in Loop: Header=BB7_81 Depth=1
	s_or_b64 exec, exec, s[4:5]
	v_fma_mixlo_f16 v4, v12, v6, 0
	v_mul_f16_e32 v4, v5, v4
	v_cvt_f32_f16_e32 v6, v4
	v_mov_b32_e32 v4, 0x80
	v_div_scale_f32 v9, s[4:5], v13, v13, v6
	v_rcp_f32_e32 v11, v9
	v_div_scale_f32 v17, vcc, v6, v13, v6
	v_fma_f32 v18, -v9, v11, 1.0
	v_fmac_f32_e32 v11, v18, v11
	v_mul_f32_e32 v18, v17, v11
	v_fma_f32 v19, -v9, v18, v17
	v_fmac_f32_e32 v18, v19, v11
	v_fma_f32 v9, -v9, v18, v17
	v_div_fmas_f32 v9, v9, v11, v18
	v_div_fixup_f32 v6, v9, v13, v6
	v_min_f32_e32 v6, 0x43600000, v6
	v_max_f32_e32 v9, 0xc3600000, v6
	v_and_b32_e32 v11, 0x7fffffff, v9
	v_cmp_gt_u32_e32 vcc, s18, v11
	v_mov_b32_e32 v6, 0x80
	s_and_saveexec_b64 s[4:5], vcc
	s_cbranch_execz .LBB7_124
; %bb.119:                              ;   in Loop: Header=BB7_81 Depth=1
	v_cmp_lt_u32_e32 vcc, s19, v11
	s_mov_b64 s[6:7], 0
                                        ; implicit-def: $vgpr11
	s_and_saveexec_b64 s[8:9], vcc
	s_xor_b64 s[8:9], exec, s[8:9]
	s_cbranch_execnz .LBB7_190
; %bb.120:                              ;   in Loop: Header=BB7_81 Depth=1
	s_or_saveexec_b64 s[8:9], s[8:9]
                                        ; implicit-def: $sgpr10
	s_xor_b64 exec, exec, s[8:9]
	s_cbranch_execnz .LBB7_191
.LBB7_121:                              ;   in Loop: Header=BB7_81 Depth=1
	s_or_b64 exec, exec, s[8:9]
	v_mov_b32_e32 v6, s10
	s_and_saveexec_b64 s[8:9], s[6:7]
.LBB7_122:                              ;   in Loop: Header=BB7_81 Depth=1
	v_lshrrev_b32_e32 v6, 24, v9
	v_and_or_b32 v6, v6, s22, v11
.LBB7_123:                              ;   in Loop: Header=BB7_81 Depth=1
	s_or_b64 exec, exec, s[8:9]
.LBB7_124:                              ;   in Loop: Header=BB7_81 Depth=1
	s_or_b64 exec, exec, s[4:5]
	v_fma_mixlo_f16 v7, v12, v7, 0
	v_mul_f16_sdwa v5, v5, v7 dst_sel:DWORD dst_unused:UNUSED_PAD src0_sel:WORD_1 src1_sel:DWORD
	v_cvt_f32_f16_e32 v5, v5
	v_div_scale_f32 v7, s[4:5], v13, v13, v5
	v_rcp_f32_e32 v9, v7
	v_div_scale_f32 v11, vcc, v5, v13, v5
	v_fma_f32 v17, -v7, v9, 1.0
	v_fmac_f32_e32 v9, v17, v9
	v_mul_f32_e32 v17, v11, v9
	v_fma_f32 v18, -v7, v17, v11
	v_fmac_f32_e32 v17, v18, v9
	v_fma_f32 v7, -v7, v17, v11
	v_div_fmas_f32 v7, v7, v9, v17
	v_div_fixup_f32 v5, v7, v13, v5
	v_min_f32_e32 v5, 0x43600000, v5
	v_max_f32_e32 v5, 0xc3600000, v5
	v_and_b32_e32 v7, 0x7fffffff, v5
	v_cmp_gt_u32_e32 vcc, s18, v7
	s_and_saveexec_b64 s[4:5], vcc
	s_cbranch_execz .LBB7_130
; %bb.125:                              ;   in Loop: Header=BB7_81 Depth=1
	v_cmp_lt_u32_e32 vcc, s19, v7
	s_mov_b64 s[6:7], 0
                                        ; implicit-def: $vgpr7
	s_and_saveexec_b64 s[8:9], vcc
	s_xor_b64 s[8:9], exec, s[8:9]
	s_cbranch_execnz .LBB7_192
; %bb.126:                              ;   in Loop: Header=BB7_81 Depth=1
	s_or_saveexec_b64 s[8:9], s[8:9]
                                        ; implicit-def: $sgpr10
	s_xor_b64 exec, exec, s[8:9]
	s_cbranch_execnz .LBB7_193
.LBB7_127:                              ;   in Loop: Header=BB7_81 Depth=1
	s_or_b64 exec, exec, s[8:9]
	v_mov_b32_e32 v4, s10
	s_and_saveexec_b64 s[8:9], s[6:7]
.LBB7_128:                              ;   in Loop: Header=BB7_81 Depth=1
	v_lshrrev_b32_e32 v4, 24, v5
	v_and_or_b32 v4, v4, s22, v7
.LBB7_129:                              ;   in Loop: Header=BB7_81 Depth=1
	s_or_b64 exec, exec, s[8:9]
.LBB7_130:                              ;   in Loop: Header=BB7_81 Depth=1
	s_or_b64 exec, exec, s[4:5]
	v_lshlrev_b64 v[18:19], 2, v[2:3]
	v_mov_b32_e32 v3, s15
	v_add_co_u32_e32 v18, vcc, s14, v18
	v_addc_co_u32_e32 v19, vcc, v3, v19, vcc
	v_lshlrev_b32_e32 v3, 16, v6
	v_perm_b32 v3, v4, v3, s23
	v_lshlrev_b32_e32 v4, 8, v10
	v_and_b32_e32 v4, 0xff00, v4
	v_and_b32_e32 v5, 0xff, v8
	v_or3_b32 v3, v3, v4, v5
	v_add_u32_e32 v4, s17, v0
	v_cmp_gt_u32_e32 vcc, s51, v4
	s_mov_b64 s[6:7], -1
	global_store_dword v[18:19], v3, off
	s_and_saveexec_b64 s[4:5], vcc
	s_cbranch_execz .LBB7_79
; %bb.131:                              ;   in Loop: Header=BB7_81 Depth=1
	v_mov_b32_e32 v5, v1
	v_lshlrev_b64 v[6:7], 3, v[4:5]
	v_mov_b32_e32 v3, s48
	v_add_co_u32_e32 v8, vcc, s33, v6
	v_addc_co_u32_e32 v9, vcc, v3, v7, vcc
	v_mov_b32_e32 v3, s50
	v_add_co_u32_e32 v18, vcc, s49, v6
	v_addc_co_u32_e32 v19, vcc, v3, v7, vcc
	global_load_dwordx2 v[8:9], v[8:9], off
	v_mov_b32_e32 v3, s31
	global_load_dwordx2 v[10:11], v[18:19], off
	v_add_co_u32_e32 v6, vcc, s30, v6
	v_addc_co_u32_e32 v7, vcc, v3, v7, vcc
	global_load_dwordx2 v[6:7], v[6:7], off
	v_mov_b32_e32 v3, 0x80
	s_waitcnt vmcnt(2)
	v_cvt_f32_f16_e32 v22, v8
	v_cvt_f32_f16_sdwa v23, v8 dst_sel:DWORD dst_unused:UNUSED_PAD src0_sel:WORD_1
	s_waitcnt vmcnt(1)
	v_cvt_f32_f16_e32 v24, v10
	v_cvt_f32_f16_sdwa v25, v10 dst_sel:DWORD dst_unused:UNUSED_PAD src0_sel:WORD_1
	v_cvt_f32_f16_e32 v20, v9
	v_cvt_f32_f16_sdwa v21, v9 dst_sel:DWORD dst_unused:UNUSED_PAD src0_sel:WORD_1
	;; [unrolled: 2-line block ×3, first 2 shown]
	v_pk_add_f32 v[10:11], v[22:23], v[24:25]
	v_cvt_f16_f32_e32 v23, v10
	v_fma_mixlo_f16 v10, v12, v10, 0
	v_pk_add_f32 v[8:9], v[20:21], v[8:9]
	s_waitcnt vmcnt(0)
	v_mul_f16_e32 v10, v6, v10
	v_cvt_f16_f32_e32 v17, v9
	v_cvt_f16_f32_e32 v20, v8
	v_cvt_f32_f16_e32 v10, v10
	v_cvt_f16_f32_e32 v22, v11
	v_pack_b32_f16 v21, v20, v17
	v_div_scale_f32 v17, s[6:7], v13, v13, v10
	v_pack_b32_f16 v20, v23, v22
	v_rcp_f32_e32 v22, v17
	global_store_dwordx2 v[18:19], v[20:21], off
	v_div_scale_f32 v18, vcc, v10, v13, v10
	v_fma_f32 v19, -v17, v22, 1.0
	v_fmac_f32_e32 v22, v19, v22
	v_mul_f32_e32 v19, v18, v22
	v_fma_f32 v20, -v17, v19, v18
	v_fmac_f32_e32 v19, v20, v22
	v_fma_f32 v17, -v17, v19, v18
	v_div_fmas_f32 v17, v17, v22, v19
	v_div_fixup_f32 v10, v17, v13, v10
	v_min_f32_e32 v10, 0x43600000, v10
	v_max_f32_e32 v17, 0xc3600000, v10
	v_and_b32_e32 v18, 0x7fffffff, v17
	v_cmp_gt_u32_e32 vcc, s18, v18
	v_mov_b32_e32 v10, 0x80
	s_and_saveexec_b64 s[6:7], vcc
	s_cbranch_execz .LBB7_137
; %bb.132:                              ;   in Loop: Header=BB7_81 Depth=1
	v_cmp_lt_u32_e32 vcc, s19, v18
	s_mov_b64 s[8:9], 0
                                        ; implicit-def: $vgpr18
	s_and_saveexec_b64 s[10:11], vcc
	s_xor_b64 s[10:11], exec, s[10:11]
	s_cbranch_execnz .LBB7_194
; %bb.133:                              ;   in Loop: Header=BB7_81 Depth=1
	s_or_saveexec_b64 s[10:11], s[10:11]
                                        ; implicit-def: $sgpr12
	s_xor_b64 exec, exec, s[10:11]
	s_cbranch_execnz .LBB7_195
.LBB7_134:                              ;   in Loop: Header=BB7_81 Depth=1
	s_or_b64 exec, exec, s[10:11]
	v_mov_b32_e32 v10, s12
	s_and_saveexec_b64 s[10:11], s[8:9]
.LBB7_135:                              ;   in Loop: Header=BB7_81 Depth=1
	v_lshrrev_b32_e32 v10, 24, v17
	v_and_or_b32 v10, v10, s22, v18
.LBB7_136:                              ;   in Loop: Header=BB7_81 Depth=1
	s_or_b64 exec, exec, s[10:11]
.LBB7_137:                              ;   in Loop: Header=BB7_81 Depth=1
	s_or_b64 exec, exec, s[6:7]
	v_fma_mixlo_f16 v11, v12, v11, 0
	v_mul_f16_sdwa v6, v6, v11 dst_sel:DWORD dst_unused:UNUSED_PAD src0_sel:WORD_1 src1_sel:DWORD
	v_cvt_f32_f16_e32 v6, v6
	v_div_scale_f32 v11, s[6:7], v13, v13, v6
	v_rcp_f32_e32 v17, v11
	v_div_scale_f32 v18, vcc, v6, v13, v6
	v_fma_f32 v19, -v11, v17, 1.0
	v_fmac_f32_e32 v17, v19, v17
	v_mul_f32_e32 v19, v18, v17
	v_fma_f32 v20, -v11, v19, v18
	v_fmac_f32_e32 v19, v20, v17
	v_fma_f32 v11, -v11, v19, v18
	v_div_fmas_f32 v11, v11, v17, v19
	v_div_fixup_f32 v6, v11, v13, v6
	v_min_f32_e32 v6, 0x43600000, v6
	v_max_f32_e32 v6, 0xc3600000, v6
	v_and_b32_e32 v11, 0x7fffffff, v6
	v_cmp_gt_u32_e32 vcc, s18, v11
	s_and_saveexec_b64 s[6:7], vcc
	s_cbranch_execz .LBB7_143
; %bb.138:                              ;   in Loop: Header=BB7_81 Depth=1
	v_cmp_lt_u32_e32 vcc, s19, v11
	s_mov_b64 s[8:9], 0
                                        ; implicit-def: $vgpr11
	s_and_saveexec_b64 s[10:11], vcc
	s_xor_b64 s[10:11], exec, s[10:11]
	s_cbranch_execnz .LBB7_196
; %bb.139:                              ;   in Loop: Header=BB7_81 Depth=1
	s_or_saveexec_b64 s[10:11], s[10:11]
                                        ; implicit-def: $sgpr12
	s_xor_b64 exec, exec, s[10:11]
	s_cbranch_execnz .LBB7_197
.LBB7_140:                              ;   in Loop: Header=BB7_81 Depth=1
	s_or_b64 exec, exec, s[10:11]
	v_mov_b32_e32 v3, s12
	s_and_saveexec_b64 s[10:11], s[8:9]
.LBB7_141:                              ;   in Loop: Header=BB7_81 Depth=1
	v_lshrrev_b32_e32 v3, 24, v6
	v_and_or_b32 v3, v3, s22, v11
.LBB7_142:                              ;   in Loop: Header=BB7_81 Depth=1
	s_or_b64 exec, exec, s[10:11]
.LBB7_143:                              ;   in Loop: Header=BB7_81 Depth=1
	s_or_b64 exec, exec, s[6:7]
	v_fma_mixlo_f16 v6, v12, v8, 0
	v_mul_f16_e32 v6, v7, v6
	v_cvt_f32_f16_e32 v8, v6
	v_mov_b32_e32 v6, 0x80
	v_div_scale_f32 v11, s[6:7], v13, v13, v8
	v_rcp_f32_e32 v17, v11
	v_div_scale_f32 v18, vcc, v8, v13, v8
	v_fma_f32 v19, -v11, v17, 1.0
	v_fmac_f32_e32 v17, v19, v17
	v_mul_f32_e32 v19, v18, v17
	v_fma_f32 v20, -v11, v19, v18
	v_fmac_f32_e32 v19, v20, v17
	v_fma_f32 v11, -v11, v19, v18
	v_div_fmas_f32 v11, v11, v17, v19
	v_div_fixup_f32 v8, v11, v13, v8
	v_min_f32_e32 v8, 0x43600000, v8
	v_max_f32_e32 v11, 0xc3600000, v8
	v_and_b32_e32 v17, 0x7fffffff, v11
	v_cmp_gt_u32_e32 vcc, s18, v17
	v_mov_b32_e32 v8, 0x80
	s_and_saveexec_b64 s[6:7], vcc
	s_cbranch_execz .LBB7_149
; %bb.144:                              ;   in Loop: Header=BB7_81 Depth=1
	v_cmp_lt_u32_e32 vcc, s19, v17
	s_mov_b64 s[8:9], 0
                                        ; implicit-def: $vgpr17
	s_and_saveexec_b64 s[10:11], vcc
	s_xor_b64 s[10:11], exec, s[10:11]
	s_cbranch_execnz .LBB7_198
; %bb.145:                              ;   in Loop: Header=BB7_81 Depth=1
	s_or_saveexec_b64 s[10:11], s[10:11]
                                        ; implicit-def: $sgpr12
	s_xor_b64 exec, exec, s[10:11]
	s_cbranch_execnz .LBB7_199
.LBB7_146:                              ;   in Loop: Header=BB7_81 Depth=1
	s_or_b64 exec, exec, s[10:11]
	v_mov_b32_e32 v8, s12
	s_and_saveexec_b64 s[10:11], s[8:9]
.LBB7_147:                              ;   in Loop: Header=BB7_81 Depth=1
	v_lshrrev_b32_e32 v8, 24, v11
	v_and_or_b32 v8, v8, s22, v17
.LBB7_148:                              ;   in Loop: Header=BB7_81 Depth=1
	s_or_b64 exec, exec, s[10:11]
.LBB7_149:                              ;   in Loop: Header=BB7_81 Depth=1
	s_or_b64 exec, exec, s[6:7]
	v_fma_mixlo_f16 v9, v12, v9, 0
	v_mul_f16_sdwa v7, v7, v9 dst_sel:DWORD dst_unused:UNUSED_PAD src0_sel:WORD_1 src1_sel:DWORD
	v_cvt_f32_f16_e32 v7, v7
	v_div_scale_f32 v9, s[6:7], v13, v13, v7
	v_rcp_f32_e32 v11, v9
	v_div_scale_f32 v17, vcc, v7, v13, v7
	v_fma_f32 v18, -v9, v11, 1.0
	v_fmac_f32_e32 v11, v18, v11
	v_mul_f32_e32 v18, v17, v11
	v_fma_f32 v19, -v9, v18, v17
	v_fmac_f32_e32 v18, v19, v11
	v_fma_f32 v9, -v9, v18, v17
	v_div_fmas_f32 v9, v9, v11, v18
	v_div_fixup_f32 v7, v9, v13, v7
	v_min_f32_e32 v7, 0x43600000, v7
	v_max_f32_e32 v7, 0xc3600000, v7
	v_and_b32_e32 v9, 0x7fffffff, v7
	v_cmp_gt_u32_e32 vcc, s18, v9
	s_and_saveexec_b64 s[6:7], vcc
	s_cbranch_execz .LBB7_155
; %bb.150:                              ;   in Loop: Header=BB7_81 Depth=1
	v_cmp_lt_u32_e32 vcc, s19, v9
	s_mov_b64 s[8:9], 0
                                        ; implicit-def: $vgpr9
	s_and_saveexec_b64 s[10:11], vcc
	s_xor_b64 s[10:11], exec, s[10:11]
	s_cbranch_execnz .LBB7_200
; %bb.151:                              ;   in Loop: Header=BB7_81 Depth=1
	s_or_saveexec_b64 s[10:11], s[10:11]
                                        ; implicit-def: $sgpr12
	s_xor_b64 exec, exec, s[10:11]
	s_cbranch_execnz .LBB7_201
.LBB7_152:                              ;   in Loop: Header=BB7_81 Depth=1
	s_or_b64 exec, exec, s[10:11]
	v_mov_b32_e32 v6, s12
	s_and_saveexec_b64 s[10:11], s[8:9]
.LBB7_153:                              ;   in Loop: Header=BB7_81 Depth=1
	v_lshrrev_b32_e32 v6, 24, v7
	v_and_or_b32 v6, v6, s22, v9
.LBB7_154:                              ;   in Loop: Header=BB7_81 Depth=1
	s_or_b64 exec, exec, s[10:11]
.LBB7_155:                              ;   in Loop: Header=BB7_81 Depth=1
	s_or_b64 exec, exec, s[6:7]
	v_lshlrev_b64 v[4:5], 2, v[4:5]
	v_mov_b32_e32 v7, s15
	v_add_co_u32_e32 v4, vcc, s14, v4
	v_addc_co_u32_e32 v5, vcc, v7, v5, vcc
	v_lshlrev_b32_e32 v7, 16, v8
	v_lshlrev_b32_e32 v3, 8, v3
	v_perm_b32 v6, v6, v7, s23
	v_and_b32_e32 v3, 0xff00, v3
	v_and_b32_e32 v7, 0xff, v10
	v_add_u32_e32 v0, s16, v0
	v_or3_b32 v3, v6, v3, v7
	v_cmp_gt_u32_e32 vcc, s51, v0
	s_mov_b64 s[8:9], -1
	global_store_dword v[4:5], v3, off
	s_and_saveexec_b64 s[6:7], vcc
	s_cbranch_execz .LBB7_78
; %bb.156:                              ;   in Loop: Header=BB7_81 Depth=1
	v_lshlrev_b64 v[4:5], 3, v[0:1]
	v_mov_b32_e32 v3, s48
	v_add_co_u32_e32 v6, vcc, s33, v4
	v_addc_co_u32_e32 v7, vcc, v3, v5, vcc
	v_mov_b32_e32 v3, s50
	v_add_co_u32_e32 v10, vcc, s49, v4
	v_addc_co_u32_e32 v11, vcc, v3, v5, vcc
	global_load_dwordx2 v[6:7], v[6:7], off
	v_mov_b32_e32 v3, s31
	global_load_dwordx2 v[8:9], v[10:11], off
	v_add_co_u32_e32 v4, vcc, s30, v4
	v_addc_co_u32_e32 v5, vcc, v3, v5, vcc
	global_load_dwordx2 v[4:5], v[4:5], off
	v_mov_b32_e32 v3, 0x80
	s_waitcnt vmcnt(2)
	v_cvt_f32_f16_e32 v20, v6
	v_cvt_f32_f16_sdwa v21, v6 dst_sel:DWORD dst_unused:UNUSED_PAD src0_sel:WORD_1
	s_waitcnt vmcnt(1)
	v_cvt_f32_f16_e32 v22, v8
	v_cvt_f32_f16_sdwa v23, v8 dst_sel:DWORD dst_unused:UNUSED_PAD src0_sel:WORD_1
	v_cvt_f32_f16_e32 v18, v7
	v_cvt_f32_f16_sdwa v19, v7 dst_sel:DWORD dst_unused:UNUSED_PAD src0_sel:WORD_1
	;; [unrolled: 2-line block ×3, first 2 shown]
	v_pk_add_f32 v[8:9], v[20:21], v[22:23]
	v_cvt_f16_f32_e32 v21, v8
	v_fma_mixlo_f16 v8, v12, v8, 0
	v_pk_add_f32 v[6:7], v[18:19], v[6:7]
	s_waitcnt vmcnt(0)
	v_mul_f16_e32 v8, v4, v8
	v_cvt_f16_f32_e32 v17, v7
	v_cvt_f16_f32_e32 v18, v6
	v_cvt_f32_f16_e32 v8, v8
	v_cvt_f16_f32_e32 v20, v9
	v_pack_b32_f16 v19, v18, v17
	v_div_scale_f32 v17, s[8:9], v13, v13, v8
	v_pack_b32_f16 v18, v21, v20
	v_rcp_f32_e32 v20, v17
	global_store_dwordx2 v[10:11], v[18:19], off
	v_div_scale_f32 v10, vcc, v8, v13, v8
	v_fma_f32 v11, -v17, v20, 1.0
	v_fmac_f32_e32 v20, v11, v20
	v_mul_f32_e32 v11, v10, v20
	v_fma_f32 v18, -v17, v11, v10
	v_fmac_f32_e32 v11, v18, v20
	v_fma_f32 v10, -v17, v11, v10
	v_div_fmas_f32 v10, v10, v20, v11
	v_div_fixup_f32 v8, v10, v13, v8
	v_min_f32_e32 v8, 0x43600000, v8
	v_max_f32_e32 v10, 0xc3600000, v8
	v_and_b32_e32 v11, 0x7fffffff, v10
	v_cmp_gt_u32_e32 vcc, s18, v11
	v_mov_b32_e32 v8, 0x80
	s_and_saveexec_b64 s[8:9], vcc
	s_cbranch_execz .LBB7_162
; %bb.157:                              ;   in Loop: Header=BB7_81 Depth=1
	v_cmp_lt_u32_e32 vcc, s19, v11
	s_mov_b64 s[10:11], 0
                                        ; implicit-def: $vgpr11
	s_and_saveexec_b64 s[12:13], vcc
	s_xor_b64 s[12:13], exec, s[12:13]
	s_cbranch_execnz .LBB7_202
; %bb.158:                              ;   in Loop: Header=BB7_81 Depth=1
	s_or_saveexec_b64 s[12:13], s[12:13]
                                        ; implicit-def: $sgpr24
	s_xor_b64 exec, exec, s[12:13]
	s_cbranch_execnz .LBB7_203
.LBB7_159:                              ;   in Loop: Header=BB7_81 Depth=1
	s_or_b64 exec, exec, s[12:13]
	v_mov_b32_e32 v8, s24
	s_and_saveexec_b64 s[12:13], s[10:11]
.LBB7_160:                              ;   in Loop: Header=BB7_81 Depth=1
	v_lshrrev_b32_e32 v8, 24, v10
	v_and_or_b32 v8, v8, s22, v11
.LBB7_161:                              ;   in Loop: Header=BB7_81 Depth=1
	s_or_b64 exec, exec, s[12:13]
.LBB7_162:                              ;   in Loop: Header=BB7_81 Depth=1
	s_or_b64 exec, exec, s[8:9]
	v_fma_mixlo_f16 v9, v12, v9, 0
	v_mul_f16_sdwa v4, v4, v9 dst_sel:DWORD dst_unused:UNUSED_PAD src0_sel:WORD_1 src1_sel:DWORD
	v_cvt_f32_f16_e32 v4, v4
	v_div_scale_f32 v9, s[8:9], v13, v13, v4
	v_rcp_f32_e32 v10, v9
	v_div_scale_f32 v11, vcc, v4, v13, v4
	v_fma_f32 v17, -v9, v10, 1.0
	v_fmac_f32_e32 v10, v17, v10
	v_mul_f32_e32 v17, v11, v10
	v_fma_f32 v18, -v9, v17, v11
	v_fmac_f32_e32 v17, v18, v10
	v_fma_f32 v9, -v9, v17, v11
	v_div_fmas_f32 v9, v9, v10, v17
	v_div_fixup_f32 v4, v9, v13, v4
	v_min_f32_e32 v4, 0x43600000, v4
	v_max_f32_e32 v4, 0xc3600000, v4
	v_and_b32_e32 v9, 0x7fffffff, v4
	v_cmp_gt_u32_e32 vcc, s18, v9
	s_and_saveexec_b64 s[8:9], vcc
	s_cbranch_execz .LBB7_168
; %bb.163:                              ;   in Loop: Header=BB7_81 Depth=1
	v_cmp_lt_u32_e32 vcc, s19, v9
	s_mov_b64 s[10:11], 0
                                        ; implicit-def: $vgpr9
	s_and_saveexec_b64 s[12:13], vcc
	s_xor_b64 s[12:13], exec, s[12:13]
	s_cbranch_execnz .LBB7_204
; %bb.164:                              ;   in Loop: Header=BB7_81 Depth=1
	s_or_saveexec_b64 s[12:13], s[12:13]
                                        ; implicit-def: $sgpr24
	s_xor_b64 exec, exec, s[12:13]
	s_cbranch_execnz .LBB7_205
.LBB7_165:                              ;   in Loop: Header=BB7_81 Depth=1
	s_or_b64 exec, exec, s[12:13]
	v_mov_b32_e32 v3, s24
	s_and_saveexec_b64 s[12:13], s[10:11]
.LBB7_166:                              ;   in Loop: Header=BB7_81 Depth=1
	v_lshrrev_b32_e32 v3, 24, v4
	v_and_or_b32 v3, v3, s22, v9
.LBB7_167:                              ;   in Loop: Header=BB7_81 Depth=1
	s_or_b64 exec, exec, s[12:13]
.LBB7_168:                              ;   in Loop: Header=BB7_81 Depth=1
	s_or_b64 exec, exec, s[8:9]
	v_fma_mixlo_f16 v4, v12, v6, 0
	v_mul_f16_e32 v4, v5, v4
	v_cvt_f32_f16_e32 v6, v4
	v_mov_b32_e32 v4, 0x80
	v_div_scale_f32 v9, s[8:9], v13, v13, v6
	v_rcp_f32_e32 v10, v9
	v_div_scale_f32 v11, vcc, v6, v13, v6
	v_fma_f32 v17, -v9, v10, 1.0
	v_fmac_f32_e32 v10, v17, v10
	v_mul_f32_e32 v17, v11, v10
	v_fma_f32 v18, -v9, v17, v11
	v_fmac_f32_e32 v17, v18, v10
	v_fma_f32 v9, -v9, v17, v11
	v_div_fmas_f32 v9, v9, v10, v17
	v_div_fixup_f32 v6, v9, v13, v6
	v_min_f32_e32 v6, 0x43600000, v6
	v_max_f32_e32 v9, 0xc3600000, v6
	v_and_b32_e32 v10, 0x7fffffff, v9
	v_cmp_gt_u32_e32 vcc, s18, v10
	v_mov_b32_e32 v6, 0x80
	s_and_saveexec_b64 s[8:9], vcc
	s_cbranch_execz .LBB7_174
; %bb.169:                              ;   in Loop: Header=BB7_81 Depth=1
	v_cmp_lt_u32_e32 vcc, s19, v10
	s_mov_b64 s[10:11], 0
                                        ; implicit-def: $vgpr10
	s_and_saveexec_b64 s[12:13], vcc
	s_xor_b64 s[12:13], exec, s[12:13]
	s_cbranch_execnz .LBB7_206
; %bb.170:                              ;   in Loop: Header=BB7_81 Depth=1
	s_or_saveexec_b64 s[12:13], s[12:13]
                                        ; implicit-def: $sgpr24
	s_xor_b64 exec, exec, s[12:13]
	s_cbranch_execnz .LBB7_207
.LBB7_171:                              ;   in Loop: Header=BB7_81 Depth=1
	s_or_b64 exec, exec, s[12:13]
	v_mov_b32_e32 v6, s24
	s_and_saveexec_b64 s[12:13], s[10:11]
.LBB7_172:                              ;   in Loop: Header=BB7_81 Depth=1
	v_lshrrev_b32_e32 v6, 24, v9
	v_and_or_b32 v6, v6, s22, v10
.LBB7_173:                              ;   in Loop: Header=BB7_81 Depth=1
	s_or_b64 exec, exec, s[12:13]
.LBB7_174:                              ;   in Loop: Header=BB7_81 Depth=1
	s_or_b64 exec, exec, s[8:9]
	v_fma_mixlo_f16 v7, v12, v7, 0
	v_mul_f16_sdwa v5, v5, v7 dst_sel:DWORD dst_unused:UNUSED_PAD src0_sel:WORD_1 src1_sel:DWORD
	v_cvt_f32_f16_e32 v5, v5
	v_div_scale_f32 v7, s[8:9], v13, v13, v5
	v_rcp_f32_e32 v9, v7
	v_div_scale_f32 v10, vcc, v5, v13, v5
	v_fma_f32 v11, -v7, v9, 1.0
	v_fmac_f32_e32 v9, v11, v9
	v_mul_f32_e32 v11, v10, v9
	v_fma_f32 v17, -v7, v11, v10
	v_fmac_f32_e32 v11, v17, v9
	v_fma_f32 v7, -v7, v11, v10
	v_div_fmas_f32 v7, v7, v9, v11
	v_div_fixup_f32 v5, v7, v13, v5
	v_min_f32_e32 v5, 0x43600000, v5
	v_max_f32_e32 v5, 0xc3600000, v5
	v_and_b32_e32 v7, 0x7fffffff, v5
	v_cmp_gt_u32_e32 vcc, s18, v7
	s_and_saveexec_b64 s[8:9], vcc
	s_cbranch_execz .LBB7_77
; %bb.175:                              ;   in Loop: Header=BB7_81 Depth=1
	v_cmp_lt_u32_e32 vcc, s19, v7
	s_mov_b64 s[10:11], 0
                                        ; implicit-def: $vgpr7
	s_and_saveexec_b64 s[12:13], vcc
	s_xor_b64 s[12:13], exec, s[12:13]
	s_cbranch_execnz .LBB7_208
; %bb.176:                              ;   in Loop: Header=BB7_81 Depth=1
	s_or_saveexec_b64 s[12:13], s[12:13]
                                        ; implicit-def: $sgpr24
	s_xor_b64 exec, exec, s[12:13]
	s_cbranch_execnz .LBB7_209
.LBB7_177:                              ;   in Loop: Header=BB7_81 Depth=1
	s_or_b64 exec, exec, s[12:13]
	v_mov_b32_e32 v4, s24
	s_and_saveexec_b64 s[12:13], s[10:11]
	s_cbranch_execz .LBB7_76
	s_branch .LBB7_210
.LBB7_178:                              ;   in Loop: Header=BB7_81 Depth=1
	v_bfe_u32 v6, v9, 20, 1
	v_add3_u32 v6, v9, v6, s20
	s_mov_b64 s[4:5], exec
	v_lshrrev_b32_e32 v10, 20, v6
	s_or_saveexec_b64 s[6:7], s[6:7]
                                        ; implicit-def: $sgpr8
	s_xor_b64 exec, exec, s[6:7]
	s_cbranch_execz .LBB7_84
.LBB7_179:                              ;   in Loop: Header=BB7_81 Depth=1
	v_add_f32_e64 v6, |v9|, s21
	v_and_b32_e32 v10, 0xff, v6
	v_cmp_ne_u32_e32 vcc, 0, v10
	s_andn2_b64 s[4:5], s[4:5], exec
	s_and_b64 s[10:11], vcc, exec
	s_mov_b32 s8, 0
	s_or_b64 s[4:5], s[4:5], s[10:11]
	s_or_b64 exec, exec, s[6:7]
	v_mov_b32_e32 v6, s8
	s_and_saveexec_b64 s[6:7], s[4:5]
	s_cbranch_execnz .LBB7_85
	s_branch .LBB7_86
.LBB7_180:                              ;   in Loop: Header=BB7_81 Depth=1
	v_bfe_u32 v7, v2, 20, 1
	v_add3_u32 v7, v2, v7, s20
	s_mov_b64 s[4:5], exec
	v_lshrrev_b32_e32 v7, 20, v7
	s_or_saveexec_b64 s[6:7], s[6:7]
                                        ; implicit-def: $sgpr8
	s_xor_b64 exec, exec, s[6:7]
	s_cbranch_execz .LBB7_90
.LBB7_181:                              ;   in Loop: Header=BB7_81 Depth=1
	v_add_f32_e64 v7, |v2|, s21
	v_and_b32_e32 v7, 0xff, v7
	v_cmp_ne_u32_e32 vcc, 0, v7
	s_andn2_b64 s[4:5], s[4:5], exec
	s_and_b64 s[10:11], vcc, exec
	s_mov_b32 s8, 0
	s_or_b64 s[4:5], s[4:5], s[10:11]
	s_or_b64 exec, exec, s[6:7]
	v_mov_b32_e32 v8, s8
	s_and_saveexec_b64 s[6:7], s[4:5]
	s_cbranch_execnz .LBB7_91
	s_branch .LBB7_92
.LBB7_182:                              ;   in Loop: Header=BB7_81 Depth=1
	v_bfe_u32 v4, v7, 20, 1
	v_add3_u32 v4, v7, v4, s20
	s_mov_b64 s[4:5], exec
	v_lshrrev_b32_e32 v9, 20, v4
	s_or_saveexec_b64 s[6:7], s[6:7]
                                        ; implicit-def: $sgpr8
	s_xor_b64 exec, exec, s[6:7]
	s_cbranch_execz .LBB7_96
.LBB7_183:                              ;   in Loop: Header=BB7_81 Depth=1
	v_add_f32_e64 v4, |v7|, s21
	v_and_b32_e32 v9, 0xff, v4
	v_cmp_ne_u32_e32 vcc, 0, v9
	s_andn2_b64 s[4:5], s[4:5], exec
	s_and_b64 s[10:11], vcc, exec
	s_mov_b32 s8, 0
	s_or_b64 s[4:5], s[4:5], s[10:11]
	s_or_b64 exec, exec, s[6:7]
	v_mov_b32_e32 v4, s8
	s_and_saveexec_b64 s[6:7], s[4:5]
	s_cbranch_execnz .LBB7_97
	s_branch .LBB7_98
.LBB7_184:                              ;   in Loop: Header=BB7_81 Depth=1
	v_bfe_u32 v2, v3, 20, 1
	v_add3_u32 v2, v3, v2, s20
	s_mov_b64 s[4:5], exec
	v_lshrrev_b32_e32 v5, 20, v2
	s_or_saveexec_b64 s[6:7], s[6:7]
                                        ; implicit-def: $sgpr8
	s_xor_b64 exec, exec, s[6:7]
	s_cbranch_execz .LBB7_102
.LBB7_185:                              ;   in Loop: Header=BB7_81 Depth=1
	v_add_f32_e64 v2, |v3|, s21
	v_and_b32_e32 v5, 0xff, v2
	v_cmp_ne_u32_e32 vcc, 0, v5
	s_andn2_b64 s[4:5], s[4:5], exec
	s_and_b64 s[10:11], vcc, exec
	s_mov_b32 s8, 0
	s_or_b64 s[4:5], s[4:5], s[10:11]
	s_or_b64 exec, exec, s[6:7]
	v_mov_b32_e32 v2, s8
	s_and_saveexec_b64 s[6:7], s[4:5]
	s_cbranch_execnz .LBB7_103
	s_branch .LBB7_104
.LBB7_186:                              ;   in Loop: Header=BB7_81 Depth=1
	v_bfe_u32 v8, v11, 20, 1
	v_add3_u32 v8, v11, v8, s20
	s_mov_b64 s[6:7], exec
	v_lshrrev_b32_e32 v17, 20, v8
	s_or_saveexec_b64 s[8:9], s[8:9]
                                        ; implicit-def: $sgpr10
	s_xor_b64 exec, exec, s[8:9]
	s_cbranch_execz .LBB7_109
.LBB7_187:                              ;   in Loop: Header=BB7_81 Depth=1
	v_add_f32_e64 v8, |v11|, s21
	v_and_b32_e32 v17, 0xff, v8
	v_cmp_ne_u32_e32 vcc, 0, v17
	s_andn2_b64 s[6:7], s[6:7], exec
	s_and_b64 s[12:13], vcc, exec
	s_mov_b32 s10, 0
	s_or_b64 s[6:7], s[6:7], s[12:13]
	s_or_b64 exec, exec, s[8:9]
	v_mov_b32_e32 v8, s10
	s_and_saveexec_b64 s[8:9], s[6:7]
	s_cbranch_execnz .LBB7_110
	s_branch .LBB7_111
.LBB7_188:                              ;   in Loop: Header=BB7_81 Depth=1
	v_bfe_u32 v9, v4, 20, 1
	v_add3_u32 v9, v4, v9, s20
	s_mov_b64 s[6:7], exec
	v_lshrrev_b32_e32 v9, 20, v9
	s_or_saveexec_b64 s[8:9], s[8:9]
                                        ; implicit-def: $sgpr10
	s_xor_b64 exec, exec, s[8:9]
	s_cbranch_execz .LBB7_115
.LBB7_189:                              ;   in Loop: Header=BB7_81 Depth=1
	v_add_f32_e64 v9, |v4|, s21
	v_and_b32_e32 v9, 0xff, v9
	v_cmp_ne_u32_e32 vcc, 0, v9
	s_andn2_b64 s[6:7], s[6:7], exec
	s_and_b64 s[12:13], vcc, exec
	s_mov_b32 s10, 0
	s_or_b64 s[6:7], s[6:7], s[12:13]
	s_or_b64 exec, exec, s[8:9]
	v_mov_b32_e32 v10, s10
	s_and_saveexec_b64 s[8:9], s[6:7]
	s_cbranch_execnz .LBB7_116
	s_branch .LBB7_117
.LBB7_190:                              ;   in Loop: Header=BB7_81 Depth=1
	v_bfe_u32 v6, v9, 20, 1
	v_add3_u32 v6, v9, v6, s20
	s_mov_b64 s[6:7], exec
	v_lshrrev_b32_e32 v11, 20, v6
	s_or_saveexec_b64 s[8:9], s[8:9]
                                        ; implicit-def: $sgpr10
	s_xor_b64 exec, exec, s[8:9]
	s_cbranch_execz .LBB7_121
.LBB7_191:                              ;   in Loop: Header=BB7_81 Depth=1
	v_add_f32_e64 v6, |v9|, s21
	v_and_b32_e32 v11, 0xff, v6
	v_cmp_ne_u32_e32 vcc, 0, v11
	s_andn2_b64 s[6:7], s[6:7], exec
	s_and_b64 s[12:13], vcc, exec
	s_mov_b32 s10, 0
	s_or_b64 s[6:7], s[6:7], s[12:13]
	s_or_b64 exec, exec, s[8:9]
	v_mov_b32_e32 v6, s10
	s_and_saveexec_b64 s[8:9], s[6:7]
	s_cbranch_execnz .LBB7_122
	s_branch .LBB7_123
.LBB7_192:                              ;   in Loop: Header=BB7_81 Depth=1
	v_bfe_u32 v4, v5, 20, 1
	v_add3_u32 v4, v5, v4, s20
	s_mov_b64 s[6:7], exec
	v_lshrrev_b32_e32 v7, 20, v4
	s_or_saveexec_b64 s[8:9], s[8:9]
                                        ; implicit-def: $sgpr10
	s_xor_b64 exec, exec, s[8:9]
	s_cbranch_execz .LBB7_127
.LBB7_193:                              ;   in Loop: Header=BB7_81 Depth=1
	v_add_f32_e64 v4, |v5|, s21
	v_and_b32_e32 v7, 0xff, v4
	v_cmp_ne_u32_e32 vcc, 0, v7
	s_andn2_b64 s[6:7], s[6:7], exec
	s_and_b64 s[12:13], vcc, exec
	s_mov_b32 s10, 0
	s_or_b64 s[6:7], s[6:7], s[12:13]
	s_or_b64 exec, exec, s[8:9]
	v_mov_b32_e32 v4, s10
	s_and_saveexec_b64 s[8:9], s[6:7]
	s_cbranch_execnz .LBB7_128
	s_branch .LBB7_129
.LBB7_194:                              ;   in Loop: Header=BB7_81 Depth=1
	v_bfe_u32 v10, v17, 20, 1
	v_add3_u32 v10, v17, v10, s20
	s_mov_b64 s[8:9], exec
	v_lshrrev_b32_e32 v18, 20, v10
	s_or_saveexec_b64 s[10:11], s[10:11]
                                        ; implicit-def: $sgpr12
	s_xor_b64 exec, exec, s[10:11]
	s_cbranch_execz .LBB7_134
.LBB7_195:                              ;   in Loop: Header=BB7_81 Depth=1
	v_add_f32_e64 v10, |v17|, s21
	v_and_b32_e32 v18, 0xff, v10
	v_cmp_ne_u32_e32 vcc, 0, v18
	s_andn2_b64 s[8:9], s[8:9], exec
	s_and_b64 s[24:25], vcc, exec
	s_mov_b32 s12, 0
	s_or_b64 s[8:9], s[8:9], s[24:25]
	s_or_b64 exec, exec, s[10:11]
	v_mov_b32_e32 v10, s12
	s_and_saveexec_b64 s[10:11], s[8:9]
	s_cbranch_execnz .LBB7_135
	s_branch .LBB7_136
.LBB7_196:                              ;   in Loop: Header=BB7_81 Depth=1
	v_bfe_u32 v3, v6, 20, 1
	v_add3_u32 v3, v6, v3, s20
	s_mov_b64 s[8:9], exec
	v_lshrrev_b32_e32 v11, 20, v3
	s_or_saveexec_b64 s[10:11], s[10:11]
                                        ; implicit-def: $sgpr12
	s_xor_b64 exec, exec, s[10:11]
	s_cbranch_execz .LBB7_140
.LBB7_197:                              ;   in Loop: Header=BB7_81 Depth=1
	v_add_f32_e64 v3, |v6|, s21
	v_and_b32_e32 v11, 0xff, v3
	v_cmp_ne_u32_e32 vcc, 0, v11
	s_andn2_b64 s[8:9], s[8:9], exec
	s_and_b64 s[24:25], vcc, exec
	s_mov_b32 s12, 0
	s_or_b64 s[8:9], s[8:9], s[24:25]
	s_or_b64 exec, exec, s[10:11]
	v_mov_b32_e32 v3, s12
	s_and_saveexec_b64 s[10:11], s[8:9]
	s_cbranch_execnz .LBB7_141
	s_branch .LBB7_142
.LBB7_198:                              ;   in Loop: Header=BB7_81 Depth=1
	v_bfe_u32 v8, v11, 20, 1
	v_add3_u32 v8, v11, v8, s20
	s_mov_b64 s[8:9], exec
	v_lshrrev_b32_e32 v17, 20, v8
	s_or_saveexec_b64 s[10:11], s[10:11]
                                        ; implicit-def: $sgpr12
	s_xor_b64 exec, exec, s[10:11]
	s_cbranch_execz .LBB7_146
.LBB7_199:                              ;   in Loop: Header=BB7_81 Depth=1
	v_add_f32_e64 v8, |v11|, s21
	v_and_b32_e32 v17, 0xff, v8
	v_cmp_ne_u32_e32 vcc, 0, v17
	s_andn2_b64 s[8:9], s[8:9], exec
	s_and_b64 s[24:25], vcc, exec
	s_mov_b32 s12, 0
	s_or_b64 s[8:9], s[8:9], s[24:25]
	s_or_b64 exec, exec, s[10:11]
	v_mov_b32_e32 v8, s12
	s_and_saveexec_b64 s[10:11], s[8:9]
	s_cbranch_execnz .LBB7_147
	s_branch .LBB7_148
.LBB7_200:                              ;   in Loop: Header=BB7_81 Depth=1
	v_bfe_u32 v6, v7, 20, 1
	v_add3_u32 v6, v7, v6, s20
	s_mov_b64 s[8:9], exec
	v_lshrrev_b32_e32 v9, 20, v6
	s_or_saveexec_b64 s[10:11], s[10:11]
                                        ; implicit-def: $sgpr12
	s_xor_b64 exec, exec, s[10:11]
	s_cbranch_execz .LBB7_152
.LBB7_201:                              ;   in Loop: Header=BB7_81 Depth=1
	v_add_f32_e64 v6, |v7|, s21
	v_and_b32_e32 v9, 0xff, v6
	v_cmp_ne_u32_e32 vcc, 0, v9
	s_andn2_b64 s[8:9], s[8:9], exec
	s_and_b64 s[24:25], vcc, exec
	s_mov_b32 s12, 0
	s_or_b64 s[8:9], s[8:9], s[24:25]
	s_or_b64 exec, exec, s[10:11]
	v_mov_b32_e32 v6, s12
	s_and_saveexec_b64 s[10:11], s[8:9]
	s_cbranch_execnz .LBB7_153
	s_branch .LBB7_154
.LBB7_202:                              ;   in Loop: Header=BB7_81 Depth=1
	v_bfe_u32 v8, v10, 20, 1
	v_add3_u32 v8, v10, v8, s20
	s_mov_b64 s[10:11], exec
	v_lshrrev_b32_e32 v11, 20, v8
	s_or_saveexec_b64 s[12:13], s[12:13]
                                        ; implicit-def: $sgpr24
	s_xor_b64 exec, exec, s[12:13]
	s_cbranch_execz .LBB7_159
.LBB7_203:                              ;   in Loop: Header=BB7_81 Depth=1
	v_add_f32_e64 v8, |v10|, s21
	v_and_b32_e32 v11, 0xff, v8
	v_cmp_ne_u32_e32 vcc, 0, v11
	s_andn2_b64 s[10:11], s[10:11], exec
	s_and_b64 s[26:27], vcc, exec
	s_mov_b32 s24, 0
	s_or_b64 s[10:11], s[10:11], s[26:27]
	s_or_b64 exec, exec, s[12:13]
	v_mov_b32_e32 v8, s24
	s_and_saveexec_b64 s[12:13], s[10:11]
	s_cbranch_execnz .LBB7_160
	s_branch .LBB7_161
.LBB7_204:                              ;   in Loop: Header=BB7_81 Depth=1
	v_bfe_u32 v3, v4, 20, 1
	v_add3_u32 v3, v4, v3, s20
	s_mov_b64 s[10:11], exec
	v_lshrrev_b32_e32 v9, 20, v3
	s_or_saveexec_b64 s[12:13], s[12:13]
                                        ; implicit-def: $sgpr24
	s_xor_b64 exec, exec, s[12:13]
	s_cbranch_execz .LBB7_165
.LBB7_205:                              ;   in Loop: Header=BB7_81 Depth=1
	v_add_f32_e64 v3, |v4|, s21
	v_and_b32_e32 v9, 0xff, v3
	v_cmp_ne_u32_e32 vcc, 0, v9
	s_andn2_b64 s[10:11], s[10:11], exec
	s_and_b64 s[26:27], vcc, exec
	s_mov_b32 s24, 0
	s_or_b64 s[10:11], s[10:11], s[26:27]
	s_or_b64 exec, exec, s[12:13]
	v_mov_b32_e32 v3, s24
	s_and_saveexec_b64 s[12:13], s[10:11]
	s_cbranch_execnz .LBB7_166
	s_branch .LBB7_167
.LBB7_206:                              ;   in Loop: Header=BB7_81 Depth=1
	v_bfe_u32 v6, v9, 20, 1
	v_add3_u32 v6, v9, v6, s20
	s_mov_b64 s[10:11], exec
	v_lshrrev_b32_e32 v10, 20, v6
	s_or_saveexec_b64 s[12:13], s[12:13]
                                        ; implicit-def: $sgpr24
	s_xor_b64 exec, exec, s[12:13]
	s_cbranch_execz .LBB7_171
.LBB7_207:                              ;   in Loop: Header=BB7_81 Depth=1
	v_add_f32_e64 v6, |v9|, s21
	v_and_b32_e32 v10, 0xff, v6
	v_cmp_ne_u32_e32 vcc, 0, v10
	s_andn2_b64 s[10:11], s[10:11], exec
	s_and_b64 s[26:27], vcc, exec
	s_mov_b32 s24, 0
	s_or_b64 s[10:11], s[10:11], s[26:27]
	s_or_b64 exec, exec, s[12:13]
	v_mov_b32_e32 v6, s24
	s_and_saveexec_b64 s[12:13], s[10:11]
	s_cbranch_execnz .LBB7_172
	s_branch .LBB7_173
.LBB7_208:                              ;   in Loop: Header=BB7_81 Depth=1
	v_bfe_u32 v4, v5, 20, 1
	v_add3_u32 v4, v5, v4, s20
	s_mov_b64 s[10:11], exec
	v_lshrrev_b32_e32 v7, 20, v4
	s_or_saveexec_b64 s[12:13], s[12:13]
                                        ; implicit-def: $sgpr24
	s_xor_b64 exec, exec, s[12:13]
	s_cbranch_execz .LBB7_177
.LBB7_209:                              ;   in Loop: Header=BB7_81 Depth=1
	v_add_f32_e64 v4, |v5|, s21
	v_and_b32_e32 v7, 0xff, v4
	v_cmp_ne_u32_e32 vcc, 0, v7
	s_andn2_b64 s[10:11], s[10:11], exec
	s_and_b64 s[26:27], vcc, exec
	s_mov_b32 s24, 0
	s_or_b64 s[10:11], s[10:11], s[26:27]
	s_or_b64 exec, exec, s[12:13]
	v_mov_b32_e32 v4, s24
	s_and_saveexec_b64 s[12:13], s[10:11]
	s_cbranch_execz .LBB7_76
.LBB7_210:                              ;   in Loop: Header=BB7_81 Depth=1
	v_lshrrev_b32_e32 v4, 24, v5
	v_and_or_b32 v4, v4, s22, v7
	s_branch .LBB7_76
.LBB7_211:
	s_endpgm
	.section	.rodata,"a",@progbits
	.p2align	6, 0x0
	.amdhsa_kernel _ZN4vllm39rms_norm_dynamic_per_token_quant_kernelIN3c104HalfENS1_15Float8_e4m3fnuzELb1EEEvPT0_PfPKT_S9_PKffiiPS7_
		.amdhsa_group_segment_fixed_size 272
		.amdhsa_private_segment_fixed_size 0
		.amdhsa_kernarg_size 320
		.amdhsa_user_sgpr_count 6
		.amdhsa_user_sgpr_private_segment_buffer 1
		.amdhsa_user_sgpr_dispatch_ptr 0
		.amdhsa_user_sgpr_queue_ptr 0
		.amdhsa_user_sgpr_kernarg_segment_ptr 1
		.amdhsa_user_sgpr_dispatch_id 0
		.amdhsa_user_sgpr_flat_scratch_init 0
		.amdhsa_user_sgpr_kernarg_preload_length 0
		.amdhsa_user_sgpr_kernarg_preload_offset 0
		.amdhsa_user_sgpr_private_segment_size 0
		.amdhsa_uses_dynamic_stack 0
		.amdhsa_system_sgpr_private_segment_wavefront_offset 0
		.amdhsa_system_sgpr_workgroup_id_x 1
		.amdhsa_system_sgpr_workgroup_id_y 0
		.amdhsa_system_sgpr_workgroup_id_z 0
		.amdhsa_system_sgpr_workgroup_info 0
		.amdhsa_system_vgpr_workitem_id 0
		.amdhsa_next_free_vgpr 32
		.amdhsa_next_free_sgpr 56
		.amdhsa_accum_offset 32
		.amdhsa_reserve_vcc 1
		.amdhsa_reserve_flat_scratch 0
		.amdhsa_float_round_mode_32 0
		.amdhsa_float_round_mode_16_64 0
		.amdhsa_float_denorm_mode_32 3
		.amdhsa_float_denorm_mode_16_64 3
		.amdhsa_dx10_clamp 1
		.amdhsa_ieee_mode 1
		.amdhsa_fp16_overflow 0
		.amdhsa_tg_split 0
		.amdhsa_exception_fp_ieee_invalid_op 0
		.amdhsa_exception_fp_denorm_src 0
		.amdhsa_exception_fp_ieee_div_zero 0
		.amdhsa_exception_fp_ieee_overflow 0
		.amdhsa_exception_fp_ieee_underflow 0
		.amdhsa_exception_fp_ieee_inexact 0
		.amdhsa_exception_int_div_zero 0
	.end_amdhsa_kernel
	.section	.text._ZN4vllm39rms_norm_dynamic_per_token_quant_kernelIN3c104HalfENS1_15Float8_e4m3fnuzELb1EEEvPT0_PfPKT_S9_PKffiiPS7_,"axG",@progbits,_ZN4vllm39rms_norm_dynamic_per_token_quant_kernelIN3c104HalfENS1_15Float8_e4m3fnuzELb1EEEvPT0_PfPKT_S9_PKffiiPS7_,comdat
.Lfunc_end7:
	.size	_ZN4vllm39rms_norm_dynamic_per_token_quant_kernelIN3c104HalfENS1_15Float8_e4m3fnuzELb1EEEvPT0_PfPKT_S9_PKffiiPS7_, .Lfunc_end7-_ZN4vllm39rms_norm_dynamic_per_token_quant_kernelIN3c104HalfENS1_15Float8_e4m3fnuzELb1EEEvPT0_PfPKT_S9_PKffiiPS7_
                                        ; -- End function
	.section	.AMDGPU.csdata,"",@progbits
; Kernel info:
; codeLenInByte = 12552
; NumSgprs: 60
; NumVgprs: 32
; NumAgprs: 0
; TotalNumVgprs: 32
; ScratchSize: 0
; MemoryBound: 0
; FloatMode: 240
; IeeeMode: 1
; LDSByteSize: 272 bytes/workgroup (compile time only)
; SGPRBlocks: 7
; VGPRBlocks: 3
; NumSGPRsForWavesPerEU: 60
; NumVGPRsForWavesPerEU: 32
; AccumOffset: 32
; Occupancy: 8
; WaveLimiterHint : 0
; COMPUTE_PGM_RSRC2:SCRATCH_EN: 0
; COMPUTE_PGM_RSRC2:USER_SGPR: 6
; COMPUTE_PGM_RSRC2:TRAP_HANDLER: 0
; COMPUTE_PGM_RSRC2:TGID_X_EN: 1
; COMPUTE_PGM_RSRC2:TGID_Y_EN: 0
; COMPUTE_PGM_RSRC2:TGID_Z_EN: 0
; COMPUTE_PGM_RSRC2:TIDIG_COMP_CNT: 0
; COMPUTE_PGM_RSRC3_GFX90A:ACCUM_OFFSET: 7
; COMPUTE_PGM_RSRC3_GFX90A:TG_SPLIT: 0
	.section	.text._ZN4vllm39rms_norm_dynamic_per_token_quant_kernelIN3c104HalfEaLb1EEEvPT0_PfPKT_S8_PKffiiPS6_,"axG",@progbits,_ZN4vllm39rms_norm_dynamic_per_token_quant_kernelIN3c104HalfEaLb1EEEvPT0_PfPKT_S8_PKffiiPS6_,comdat
	.protected	_ZN4vllm39rms_norm_dynamic_per_token_quant_kernelIN3c104HalfEaLb1EEEvPT0_PfPKT_S8_PKffiiPS6_ ; -- Begin function _ZN4vllm39rms_norm_dynamic_per_token_quant_kernelIN3c104HalfEaLb1EEEvPT0_PfPKT_S8_PKffiiPS6_
	.globl	_ZN4vllm39rms_norm_dynamic_per_token_quant_kernelIN3c104HalfEaLb1EEEvPT0_PfPKT_S8_PKffiiPS6_
	.p2align	8
	.type	_ZN4vllm39rms_norm_dynamic_per_token_quant_kernelIN3c104HalfEaLb1EEEvPT0_PfPKT_S8_PKffiiPS6_,@function
_ZN4vllm39rms_norm_dynamic_per_token_quant_kernelIN3c104HalfEaLb1EEEvPT0_PfPKT_S8_PKffiiPS6_: ; @_ZN4vllm39rms_norm_dynamic_per_token_quant_kernelIN3c104HalfEaLb1EEEvPT0_PfPKT_S8_PKffiiPS6_
; %bb.0:
	s_load_dwordx4 s[36:39], s[4:5], 0x28
	s_load_dwordx2 s[22:23], s[4:5], 0x20
	s_load_dwordx8 s[24:31], s[4:5], 0x0
	s_load_dwordx2 s[40:41], s[4:5], 0x38
	s_waitcnt lgkmcnt(0)
	s_or_b32 s0, s38, s37
	s_and_b32 s0, s0, 3
	s_cmp_lg_u32 s0, 0
	s_cbranch_scc0 .LBB8_31
; %bb.1:
	v_cmp_gt_u32_e64 s[0:1], s37, v0
	v_cmp_le_u32_e64 s[2:3], s37, v0
                                        ; implicit-def: $sgpr7
                                        ; implicit-def: $sgpr10_sgpr11
	s_and_saveexec_b64 s[8:9], s[2:3]
	s_xor_b64 s[8:9], exec, s[8:9]
; %bb.2:
	s_add_u32 s10, s4, 64
	s_addc_u32 s11, s5, 0
	s_mov_b32 s7, 0
; %bb.3:
	s_or_saveexec_b64 s[8:9], s[8:9]
	v_mov_b32_e32 v4, s7
	v_pk_mov_b32 v[2:3], s[10:11], s[10:11] op_sel:[0,1]
	v_mov_b32_e32 v1, s6
	s_xor_b64 exec, exec, s[8:9]
	s_cbranch_execz .LBB8_7
; %bb.4:
	s_ashr_i32 s7, s37, 31
	s_mul_hi_u32 s10, s37, s6
	s_mul_i32 s7, s7, s6
	s_add_i32 s11, s10, s7
	s_ashr_i32 s7, s38, 31
	s_mul_hi_u32 s12, s38, s6
	s_mul_i32 s7, s7, s6
	s_add_i32 s13, s12, s7
	s_mul_i32 s12, s38, s6
	s_lshl_b64 s[12:13], s[12:13], 1
	s_mul_i32 s10, s37, s6
	s_add_u32 s7, s28, s12
	s_load_dword s12, s[4:5], 0x4c
	s_addc_u32 s16, s29, s13
	s_lshl_b64 s[10:11], s[10:11], 1
	s_add_u32 s14, s40, s10
	s_addc_u32 s17, s41, s11
	s_add_u32 s10, s4, 64
	s_addc_u32 s11, s5, 0
	s_waitcnt lgkmcnt(0)
	s_and_b32 s15, s12, 0xffff
	s_mov_b64 s[12:13], 0
	v_mov_b32_e32 v3, 0
	v_mov_b32_e32 v1, s16
	v_mov_b32_e32 v5, s17
	v_mov_b32_e32 v4, 0
	v_mov_b32_e32 v2, v0
.LBB8_5:                                ; =>This Inner Loop Header: Depth=1
	v_lshlrev_b64 v[6:7], 1, v[2:3]
	v_add_co_u32_e32 v8, vcc, s7, v6
	v_addc_co_u32_e32 v9, vcc, v1, v7, vcc
	v_add_co_u32_e32 v6, vcc, s14, v6
	v_addc_co_u32_e32 v7, vcc, v5, v7, vcc
	global_load_ushort v10, v[8:9], off
	global_load_ushort v11, v[6:7], off
	v_add_u32_e32 v2, s15, v2
	v_cmp_le_u32_e32 vcc, s37, v2
	s_or_b64 s[12:13], vcc, s[12:13]
	s_waitcnt vmcnt(1)
	v_cvt_f32_f16_e32 v6, v10
	s_waitcnt vmcnt(0)
	v_cvt_f32_f16_e32 v7, v11
	v_add_f32_e32 v6, v6, v7
	v_fmac_f32_e32 v4, v6, v6
	s_andn2_b64 exec, exec, s[12:13]
	s_cbranch_execnz .LBB8_5
; %bb.6:
	s_or_b64 exec, exec, s[12:13]
	v_pk_mov_b32 v[2:3], s[10:11], s[10:11] op_sel:[0,1]
	v_mov_b32_e32 v1, s6
.LBB8_7:
	s_or_b64 exec, exec, s[8:9]
	global_load_dword v5, v[2:3], off
	s_waitcnt vmcnt(0)
	v_cmp_lt_u32_e32 vcc, v1, v5
	v_cndmask_b32_e64 v1, 18, 12, vcc
	v_add_co_u32_e32 v2, vcc, v2, v1
	v_addc_co_u32_e32 v3, vcc, 0, v3, vcc
	global_load_ushort v2, v[2:3], off
	v_mbcnt_lo_u32_b32 v1, -1, 0
	v_mbcnt_hi_u32_b32 v1, -1, v1
	v_and_b32_e32 v3, 63, v1
	v_cmp_ne_u32_e32 vcc, 63, v3
	v_addc_co_u32_e32 v6, vcc, 0, v1, vcc
	v_lshlrev_b32_e32 v14, 2, v6
	ds_bpermute_b32 v6, v14, v4
	v_cmp_gt_u32_e32 vcc, 62, v3
	v_cndmask_b32_e64 v12, 0, 1, vcc
	v_and_b32_e32 v5, 0x3c0, v0
	v_lshlrev_b32_e32 v12, 1, v12
	v_add_u32_e32 v7, 1, v1
	v_add_lshl_u32 v13, v12, v1, 2
	s_waitcnt lgkmcnt(0)
	v_add_f32_e32 v6, v4, v6
	v_add_u32_e32 v8, 2, v1
	v_add_u32_e32 v10, 4, v1
	;; [unrolled: 1-line block ×5, first 2 shown]
	v_cmp_eq_u32_e64 s[8:9], 0, v1
	s_waitcnt vmcnt(0)
	v_sub_u32_e64 v12, v2, v5 clamp
	v_cmp_lt_u32_e32 vcc, v7, v12
	v_cndmask_b32_e32 v4, v4, v6, vcc
	ds_bpermute_b32 v6, v13, v4
	v_cmp_gt_u32_e32 vcc, 60, v3
	v_cndmask_b32_e64 v15, 0, 1, vcc
	v_lshlrev_b32_e32 v15, 2, v15
	v_cmp_lt_u32_e32 vcc, v8, v12
	s_waitcnt lgkmcnt(0)
	v_add_f32_e32 v6, v4, v6
	v_add_lshl_u32 v15, v15, v1, 2
	v_cndmask_b32_e32 v4, v4, v6, vcc
	ds_bpermute_b32 v6, v15, v4
	v_cmp_gt_u32_e32 vcc, 56, v3
	v_cndmask_b32_e64 v16, 0, 1, vcc
	v_lshlrev_b32_e32 v16, 3, v16
	v_cmp_lt_u32_e32 vcc, v10, v12
	s_waitcnt lgkmcnt(0)
	v_add_f32_e32 v6, v4, v6
	v_add_lshl_u32 v16, v16, v1, 2
	;; [unrolled: 9-line block ×3, first 2 shown]
	v_cndmask_b32_e32 v4, v4, v6, vcc
	ds_bpermute_b32 v6, v18, v4
	v_cmp_gt_u32_e32 vcc, 32, v3
	v_cndmask_b32_e64 v3, 0, 1, vcc
	v_lshlrev_b32_e32 v3, 5, v3
	v_add_lshl_u32 v17, v3, v1, 2
	s_waitcnt lgkmcnt(0)
	v_add_f32_e32 v3, v4, v6
	v_cmp_lt_u32_e32 vcc, v9, v12
	v_cndmask_b32_e32 v3, v4, v3, vcc
	ds_bpermute_b32 v4, v17, v3
	v_cmp_lt_u32_e32 vcc, v19, v12
	s_waitcnt lgkmcnt(0)
	v_add_f32_e32 v4, v3, v4
	v_cndmask_b32_e32 v3, v3, v4, vcc
	s_and_saveexec_b64 s[10:11], s[8:9]
	s_cbranch_execz .LBB8_9
; %bb.8:
	v_lshrrev_b32_e32 v4, 4, v0
	v_and_b32_e32 v4, 60, v4
	ds_write_b32 v4, v3 offset:128
.LBB8_9:
	s_or_b64 exec, exec, s[10:11]
	v_cmp_gt_u32_e64 s[10:11], 16, v0
	v_lshlrev_b32_e32 v12, 2, v1
	v_and_b32_e32 v6, 15, v1
	s_waitcnt lgkmcnt(0)
	s_barrier
	s_and_saveexec_b64 s[14:15], s[10:11]
	s_cbranch_execz .LBB8_11
; %bb.10:
	ds_read_b32 v3, v12 offset:128
	v_cmp_ne_u32_e32 vcc, 15, v6
	v_addc_co_u32_e32 v4, vcc, 0, v1, vcc
	v_lshlrev_b32_e32 v4, 2, v4
	s_waitcnt lgkmcnt(0)
	ds_bpermute_b32 v4, v4, v3
	v_add_u32_e32 v2, 63, v2
	v_add_u32_e32 v20, 1, v6
	v_lshrrev_b32_e32 v2, 6, v2
	v_cmp_gt_u32_e64 s[12:13], 14, v6
	v_cmp_lt_u32_e32 vcc, v20, v2
	v_cndmask_b32_e64 v20, 0, 1, s[12:13]
	s_waitcnt lgkmcnt(0)
	v_add_f32_e32 v4, v3, v4
	v_lshlrev_b32_e32 v20, 1, v20
	v_cndmask_b32_e32 v4, v3, v4, vcc
	v_add_lshl_u32 v20, v20, v1, 2
	ds_bpermute_b32 v20, v20, v4
	v_add_u32_e32 v21, 2, v6
	v_cmp_lt_u32_e64 s[12:13], v21, v2
	v_add_u32_e32 v21, 4, v6
	s_waitcnt lgkmcnt(0)
	v_add_f32_e32 v20, v4, v20
	v_cndmask_b32_e64 v4, v4, v20, s[12:13]
	v_cmp_gt_u32_e64 s[12:13], 12, v6
	v_cndmask_b32_e64 v20, 0, 1, s[12:13]
	v_lshlrev_b32_e32 v20, 2, v20
	v_add_lshl_u32 v20, v20, v1, 2
	ds_bpermute_b32 v20, v20, v4
	v_cmp_lt_u32_e64 s[12:13], v21, v2
	v_add_u32_e32 v21, 8, v6
	s_waitcnt lgkmcnt(0)
	v_add_f32_e32 v20, v4, v20
	v_cndmask_b32_e64 v4, v4, v20, s[12:13]
	v_cmp_gt_u32_e64 s[12:13], 8, v6
	v_cndmask_b32_e64 v20, 0, 1, s[12:13]
	v_lshlrev_b32_e32 v20, 3, v20
	v_add_lshl_u32 v20, v20, v1, 2
	ds_bpermute_b32 v20, v20, v4
	v_cmp_lt_u32_e64 s[12:13], v21, v2
	s_waitcnt lgkmcnt(0)
	v_add_f32_e32 v20, v4, v20
	v_cndmask_b32_e64 v2, v4, v20, s[12:13]
	v_cndmask_b32_e32 v3, v3, v2, vcc
.LBB8_11:
	s_or_b64 exec, exec, s[14:15]
	s_mov_b32 s7, 0
	v_cmp_eq_u32_e64 s[12:13], 0, v0
	s_and_saveexec_b64 s[14:15], s[12:13]
	s_cbranch_execz .LBB8_13
; %bb.12:
	v_cvt_f32_i32_e32 v2, s37
	v_div_scale_f32 v4, s[16:17], v2, v2, v3
	v_rcp_f32_e32 v20, v4
	v_div_scale_f32 v21, vcc, v3, v2, v3
	s_mov_b32 s16, 0x800000
	v_fma_f32 v22, -v4, v20, 1.0
	v_fmac_f32_e32 v20, v22, v20
	v_mul_f32_e32 v22, v21, v20
	v_fma_f32 v23, -v4, v22, v21
	v_fmac_f32_e32 v22, v23, v20
	v_fma_f32 v4, -v4, v22, v21
	v_div_fmas_f32 v4, v4, v20, v22
	v_div_fixup_f32 v2, v4, v2, v3
	v_add_f32_e32 v2, s36, v2
	v_mul_f32_e32 v3, 0x4b800000, v2
	v_cmp_gt_f32_e32 vcc, s16, v2
	v_cndmask_b32_e32 v2, v2, v3, vcc
	v_rsq_f32_e32 v2, v2
	v_mul_f32_e32 v3, 0x45800000, v2
	v_cndmask_b32_e32 v2, v2, v3, vcc
	v_mov_b32_e32 v3, 0
	ds_write_b32 v3, v2 offset:264
.LBB8_13:
	s_or_b64 exec, exec, s[14:15]
	v_mov_b32_e32 v2, 0
	s_waitcnt lgkmcnt(0)
	s_barrier
	ds_read_b32 v4, v2 offset:264
	s_waitcnt lgkmcnt(0)
	s_barrier
	s_waitcnt lgkmcnt(0)
                                        ; implicit-def: $sgpr16
                                        ; implicit-def: $sgpr14_sgpr15
	s_and_saveexec_b64 s[18:19], s[2:3]
	s_xor_b64 s[2:3], exec, s[18:19]
; %bb.14:
	s_add_u32 s14, s4, 64
	s_addc_u32 s15, s5, 0
	s_mov_b32 s16, 0
; %bb.15:
	s_or_saveexec_b64 s[2:3], s[2:3]
	v_mov_b32_e32 v20, s16
	v_pk_mov_b32 v[2:3], s[14:15], s[14:15] op_sel:[0,1]
	s_mul_hi_u32 s39, s37, s6
	s_mul_i32 s34, s37, s6
	s_mul_hi_u32 s33, s38, s6
	s_mul_i32 s42, s38, s6
	s_xor_b64 exec, exec, s[2:3]
	s_cbranch_execz .LBB8_19
; %bb.16:
	s_ashr_i32 s14, s37, 31
	s_mul_i32 s14, s14, s6
	s_add_i32 s35, s39, s14
	s_ashr_i32 s14, s38, 31
	s_mul_i32 s14, s14, s6
	s_add_i32 s43, s33, s14
	s_lshl_b64 s[14:15], s[42:43], 1
	s_add_u32 s18, s28, s14
	s_load_dword s16, s[4:5], 0x4c
	s_addc_u32 s21, s29, s15
	s_lshl_b64 s[14:15], s[34:35], 1
	s_add_u32 s19, s40, s14
	s_addc_u32 s35, s41, s15
	s_add_u32 s14, s4, 64
	s_addc_u32 s15, s5, 0
	s_waitcnt lgkmcnt(0)
	s_and_b32 s20, s16, 0xffff
	s_mov_b64 s[16:17], 0
	v_mov_b32_e32 v3, 0
	v_mov_b32_e32 v21, s21
	v_mov_b32_e32 v22, s35
	v_mov_b32_e32 v23, s31
	v_mov_b32_e32 v20, 0
	v_mov_b32_e32 v2, v0
.LBB8_17:                               ; =>This Inner Loop Header: Depth=1
	v_lshlrev_b64 v[24:25], 1, v[2:3]
	v_add_co_u32_e32 v26, vcc, s18, v24
	v_addc_co_u32_e32 v27, vcc, v21, v25, vcc
	v_add_co_u32_e32 v28, vcc, s19, v24
	v_addc_co_u32_e32 v29, vcc, v22, v25, vcc
	global_load_ushort v30, v[26:27], off
	global_load_ushort v31, v[28:29], off
	v_add_co_u32_e32 v24, vcc, s30, v24
	v_addc_co_u32_e32 v25, vcc, v23, v25, vcc
	global_load_ushort v24, v[24:25], off
	v_add_u32_e32 v2, s20, v2
	v_max_f32_e32 v20, v20, v20
	v_cmp_le_u32_e32 vcc, s37, v2
	s_or_b64 s[16:17], vcc, s[16:17]
	s_waitcnt vmcnt(2)
	v_cvt_f32_f16_e32 v25, v30
	s_waitcnt vmcnt(1)
	v_cvt_f32_f16_e32 v26, v31
	v_add_f32_e32 v25, v25, v26
	v_fma_mixlo_f16 v25, v4, v25, 0
	s_waitcnt vmcnt(0)
	v_mul_f16_e32 v24, v24, v25
	v_cvt_f32_f16_e64 v24, |v24|
	v_max_f32_e32 v20, v20, v24
	s_andn2_b64 exec, exec, s[16:17]
	s_cbranch_execnz .LBB8_17
; %bb.18:
	s_or_b64 exec, exec, s[16:17]
	v_pk_mov_b32 v[2:3], s[14:15], s[14:15] op_sel:[0,1]
.LBB8_19:
	s_or_b64 exec, exec, s[2:3]
	global_load_dword v21, v[2:3], off
	s_waitcnt vmcnt(0)
	v_cmp_lt_u32_e32 vcc, s6, v21
	v_cndmask_b32_e64 v21, 18, 12, vcc
	v_add_co_u32_e32 v2, vcc, v2, v21
	v_addc_co_u32_e32 v3, vcc, 0, v3, vcc
	global_load_ushort v2, v[2:3], off
	ds_bpermute_b32 v3, v14, v20
	s_waitcnt lgkmcnt(0)
	v_cmp_lt_f32_e32 vcc, v20, v3
	v_cndmask_b32_e32 v3, v20, v3, vcc
	s_waitcnt vmcnt(0)
	v_sub_u32_e64 v5, v2, v5 clamp
	v_cmp_lt_u32_e32 vcc, v7, v5
	v_cndmask_b32_e32 v3, v20, v3, vcc
	ds_bpermute_b32 v7, v13, v3
	v_cmp_lt_u32_e64 s[18:19], v19, v5
	s_waitcnt lgkmcnt(0)
	v_cmp_lt_f32_e64 s[2:3], v3, v7
	v_cndmask_b32_e64 v7, v3, v7, s[2:3]
	v_cmp_lt_u32_e64 s[2:3], v8, v5
	v_cndmask_b32_e64 v3, v3, v7, s[2:3]
	ds_bpermute_b32 v7, v15, v3
	s_or_b64 s[2:3], vcc, s[2:3]
	s_waitcnt lgkmcnt(0)
	v_cmp_lt_f32_e64 s[14:15], v3, v7
	v_cndmask_b32_e64 v7, v3, v7, s[14:15]
	v_cmp_lt_u32_e64 s[14:15], v10, v5
	v_cndmask_b32_e64 v3, v3, v7, s[14:15]
	ds_bpermute_b32 v7, v16, v3
	s_or_b64 s[2:3], s[14:15], s[2:3]
	s_waitcnt lgkmcnt(0)
	v_cmp_lt_f32_e64 s[16:17], v3, v7
	v_cndmask_b32_e64 v7, v3, v7, s[16:17]
	v_cmp_lt_u32_e64 s[16:17], v11, v5
	v_cndmask_b32_e64 v3, v3, v7, s[16:17]
	ds_bpermute_b32 v7, v18, v3
	s_or_b64 s[2:3], s[16:17], s[2:3]
	;; [unrolled: 7-line block ×3, first 2 shown]
	s_waitcnt lgkmcnt(0)
	v_cmp_lt_f32_e32 vcc, v3, v5
	s_and_b64 vcc, s[18:19], vcc
	v_cndmask_b32_e32 v3, v3, v5, vcc
	s_or_b64 vcc, s[18:19], s[2:3]
	v_cndmask_b32_e32 v3, v20, v3, vcc
	s_and_saveexec_b64 s[2:3], s[8:9]
	s_cbranch_execz .LBB8_21
; %bb.20:
	v_lshrrev_b32_e32 v5, 4, v0
	v_and_b32_e32 v5, 60, v5
	ds_write_b32 v5, v3 offset:192
.LBB8_21:
	s_or_b64 exec, exec, s[2:3]
	s_waitcnt lgkmcnt(0)
	s_barrier
	s_and_saveexec_b64 s[14:15], s[10:11]
	s_cbranch_execz .LBB8_23
; %bb.22:
	ds_read_b32 v3, v12 offset:192
	v_cmp_ne_u32_e32 vcc, 15, v6
	v_addc_co_u32_e32 v5, vcc, 0, v1, vcc
	v_lshlrev_b32_e32 v5, 2, v5
	s_waitcnt lgkmcnt(0)
	ds_bpermute_b32 v5, v5, v3
	v_add_u32_e32 v2, 63, v2
	v_add_u32_e32 v7, 1, v6
	v_lshrrev_b32_e32 v2, 6, v2
	v_cmp_gt_u32_e64 s[2:3], 14, v6
	s_waitcnt lgkmcnt(0)
	v_cmp_lt_f32_e32 vcc, v3, v5
	v_cndmask_b32_e32 v5, v3, v5, vcc
	v_cmp_lt_u32_e32 vcc, v7, v2
	v_cndmask_b32_e64 v7, 0, 1, s[2:3]
	v_lshlrev_b32_e32 v7, 1, v7
	v_cndmask_b32_e32 v5, v3, v5, vcc
	v_add_lshl_u32 v7, v7, v1, 2
	ds_bpermute_b32 v7, v7, v5
	v_add_u32_e32 v8, 2, v6
	s_waitcnt lgkmcnt(0)
	v_cmp_lt_f32_e64 s[2:3], v5, v7
	v_cndmask_b32_e64 v7, v5, v7, s[2:3]
	v_cmp_lt_u32_e64 s[2:3], v8, v2
	v_cndmask_b32_e64 v5, v5, v7, s[2:3]
	v_cmp_gt_u32_e64 s[2:3], 12, v6
	v_cndmask_b32_e64 v7, 0, 1, s[2:3]
	v_lshlrev_b32_e32 v7, 2, v7
	v_add_lshl_u32 v7, v7, v1, 2
	ds_bpermute_b32 v7, v7, v5
	v_add_u32_e32 v8, 4, v6
	s_waitcnt lgkmcnt(0)
	v_cmp_lt_f32_e64 s[2:3], v5, v7
	v_cndmask_b32_e64 v7, v5, v7, s[2:3]
	v_cmp_lt_u32_e64 s[2:3], v8, v2
	v_cndmask_b32_e64 v5, v5, v7, s[2:3]
	v_cmp_gt_u32_e64 s[2:3], 8, v6
	v_cndmask_b32_e64 v7, 0, 1, s[2:3]
	v_lshlrev_b32_e32 v7, 3, v7
	v_add_lshl_u32 v1, v7, v1, 2
	ds_bpermute_b32 v1, v1, v5
	v_add_u32_e32 v6, 8, v6
	v_cmp_lt_u32_e64 s[2:3], v6, v2
	s_waitcnt lgkmcnt(0)
	v_cmp_lt_f32_e64 s[8:9], v5, v1
	s_and_b64 s[2:3], s[2:3], s[8:9]
	v_cndmask_b32_e64 v1, v5, v1, s[2:3]
	v_cndmask_b32_e32 v3, v3, v1, vcc
.LBB8_23:
	s_or_b64 exec, exec, s[14:15]
	s_and_saveexec_b64 s[2:3], s[12:13]
	s_cbranch_execz .LBB8_27
; %bb.24:
	s_cmp_eq_u64 s[22:23], 0
	s_cbranch_scc1 .LBB8_26
; %bb.25:
	s_load_dword s8, s[22:23], 0x0
	v_max_f32_e32 v1, v3, v3
	s_waitcnt lgkmcnt(0)
	v_max_f32_e64 v2, s8, s8
	v_min_f32_e32 v3, v1, v2
.LBB8_26:
	s_mov_b32 s10, 0x42fe0000
	v_div_scale_f32 v1, s[8:9], s10, s10, v3
	v_rcp_f32_e32 v2, v1
	v_div_scale_f32 v5, vcc, v3, s10, v3
	s_lshl_b64 s[8:9], s[6:7], 2
	v_fma_f32 v6, -v1, v2, 1.0
	v_fmac_f32_e32 v2, v6, v2
	v_mul_f32_e32 v6, v5, v2
	v_fma_f32 v7, -v1, v6, v5
	v_fmac_f32_e32 v6, v7, v2
	v_fma_f32 v1, -v1, v6, v5
	v_div_fmas_f32 v1, v1, v2, v6
	v_div_fixup_f32 v1, v1, s10, v3
	s_add_u32 s8, s26, s8
	v_max_f32_e32 v1, 0x34000000, v1
	v_mov_b32_e32 v2, 0
	s_addc_u32 s9, s27, s9
	ds_write_b32 v2, v1 offset:268
	global_store_dword v2, v1, s[8:9]
.LBB8_27:
	s_or_b64 exec, exec, s[2:3]
	s_waitcnt lgkmcnt(0)
	s_barrier
	s_and_saveexec_b64 s[2:3], s[0:1]
	s_cbranch_execz .LBB8_30
; %bb.28:
	v_mov_b32_e32 v3, 0
	ds_read_b32 v1, v3 offset:268
	s_ashr_i32 s0, s37, 31
	s_mul_i32 s7, s0, s6
	s_load_dword s8, s[4:5], 0x4c
	s_add_i32 s9, s39, s7
	s_waitcnt lgkmcnt(0)
	v_div_scale_f32 v2, s[0:1], v1, v1, 1.0
	v_rcp_f32_e32 v5, v2
	v_div_scale_f32 v6, vcc, 1.0, v1, 1.0
	s_ashr_i32 s0, s38, 31
	v_fma_f32 v7, -v2, v5, 1.0
	v_fmac_f32_e32 v5, v7, v5
	v_mul_f32_e32 v7, v6, v5
	s_mul_i32 s0, s0, s6
	v_fma_f32 v8, -v2, v7, v6
	s_add_i32 s43, s33, s0
	v_fmac_f32_e32 v7, v8, v5
	s_lshl_b64 s[0:1], s[42:43], 1
	v_fma_f32 v2, -v2, v7, v6
	s_add_u32 s7, s28, s0
	v_div_fmas_f32 v2, v2, v5, v7
	s_addc_u32 s10, s29, s1
	v_div_fixup_f32 v1, v2, v1, 1.0
	s_and_b32 s8, s8, 0xffff
	s_mov_b64 s[0:1], 0
	v_mov_b32_e32 v5, s10
	v_mov_b32_e32 v6, s9
	v_mov_b32_e32 v7, s41
	v_mov_b32_e32 v8, s31
	s_mov_b32 s9, 0x42fe0000
	v_mov_b32_e32 v9, 0x42fe0000
	s_mov_b32 s10, 0xc3000000
	v_mov_b32_e32 v10, 0xc3000000
	v_mov_b32_e32 v11, s25
	;; [unrolled: 1-line block ×3, first 2 shown]
.LBB8_29:                               ; =>This Inner Loop Header: Depth=1
	v_add_co_u32_e32 v14, vcc, s34, v2
	v_lshlrev_b64 v[12:13], 1, v[2:3]
	v_addc_co_u32_e32 v15, vcc, 0, v6, vcc
	v_add_co_u32_e32 v16, vcc, s7, v12
	v_addc_co_u32_e32 v17, vcc, v5, v13, vcc
	v_lshlrev_b64 v[18:19], 1, v[14:15]
	global_load_ushort v20, v[16:17], off
	v_add_co_u32_e32 v16, vcc, s40, v18
	v_addc_co_u32_e32 v17, vcc, v7, v19, vcc
	global_load_ushort v18, v[16:17], off
	v_add_co_u32_e32 v12, vcc, s30, v12
	v_addc_co_u32_e32 v13, vcc, v8, v13, vcc
	;; [unrolled: 3-line block ×3, first 2 shown]
	v_add_u32_e32 v2, s8, v2
	s_waitcnt vmcnt(2)
	v_cvt_f32_f16_e32 v14, v20
	s_waitcnt vmcnt(1)
	v_cvt_f32_f16_e32 v18, v18
	v_add_f32_e32 v14, v14, v18
	v_fma_mixlo_f16 v15, v4, v14, 0
	s_waitcnt vmcnt(0)
	v_mul_f16_e32 v15, v19, v15
	v_cvt_f32_f16_e32 v15, v15
	v_cvt_f16_f32_e32 v14, v14
	v_mul_f32_e32 v15, v1, v15
	v_rndne_f32_e32 v15, v15
	v_cmp_nlt_f32_e32 vcc, s9, v15
	v_cndmask_b32_e32 v18, v9, v15, vcc
	v_cmp_ngt_f32_e32 vcc, s10, v15
	v_cndmask_b32_e32 v15, v10, v18, vcc
	v_cvt_i32_f32_e32 v15, v15
	v_cmp_le_u32_e32 vcc, s37, v2
	s_or_b64 s[0:1], vcc, s[0:1]
	global_store_short v[16:17], v14, off
	global_store_byte v[12:13], v15, off
	s_andn2_b64 exec, exec, s[0:1]
	s_cbranch_execnz .LBB8_29
.LBB8_30:
	s_or_b64 exec, exec, s[2:3]
	s_branch .LBB8_75
.LBB8_31:
	s_cbranch_execz .LBB8_75
; %bb.32:
	s_ashr_i32 s0, s38, 31
	s_mul_hi_u32 s1, s38, s6
	s_mul_i32 s0, s0, s6
	s_ashr_i32 s2, s37, 31
	s_add_i32 s1, s1, s0
	s_mul_i32 s0, s38, s6
	s_mul_hi_u32 s3, s37, s6
	s_mul_i32 s2, s2, s6
	s_add_i32 s35, s3, s2
	s_lshl_b64 s[0:1], s[0:1], 1
	s_mul_i32 s34, s37, s6
	s_add_u32 s33, s28, s0
	s_addc_u32 s48, s29, s1
	s_lshl_b64 s[0:1], s[34:35], 1
	s_load_dword s18, s[4:5], 0x40
	s_add_u32 s49, s40, s0
	s_addc_u32 s50, s41, s1
	s_ashr_i32 s51, s37, 2
	s_add_u32 s19, s4, 64
	s_mov_b32 s7, 0
	v_cmp_gt_u32_e64 s[0:1], s51, v0
	s_addc_u32 s20, s5, 0
	v_mov_b32_e32 v8, 0
	s_and_saveexec_b64 s[2:3], s[0:1]
	s_cbranch_execz .LBB8_42
; %bb.33:
	s_waitcnt lgkmcnt(0)
	s_cmp_lt_u32 s6, s18
	s_cselect_b32 s4, 12, 18
	s_add_u32 s4, s19, s4
	s_addc_u32 s5, s20, 0
	v_mov_b32_e32 v3, 0
	global_load_ushort v1, v3, s[4:5]
	s_mov_b64 s[4:5], 0
	v_mov_b32_e32 v9, s48
	v_mov_b32_e32 v10, s50
	;; [unrolled: 1-line block ×4, first 2 shown]
                                        ; implicit-def: $sgpr8_sgpr9
	s_waitcnt vmcnt(0)
	v_mul_lo_u32 v11, v1, 3
	v_lshlrev_b32_e32 v12, 1, v1
	s_branch .LBB8_37
.LBB8_34:                               ;   in Loop: Header=BB8_37 Depth=1
	s_or_b64 exec, exec, s[14:15]
	s_orn2_b64 s[14:15], s[16:17], exec
.LBB8_35:                               ;   in Loop: Header=BB8_37 Depth=1
	s_or_b64 exec, exec, s[12:13]
	s_andn2_b64 s[8:9], s[8:9], exec
	s_and_b64 s[12:13], s[14:15], exec
	s_or_b64 s[8:9], s[8:9], s[12:13]
.LBB8_36:                               ;   in Loop: Header=BB8_37 Depth=1
	s_or_b64 exec, exec, s[10:11]
	s_and_b64 s[10:11], exec, s[8:9]
	s_or_b64 s[4:5], s[10:11], s[4:5]
	s_andn2_b64 exec, exec, s[4:5]
	s_cbranch_execz .LBB8_41
.LBB8_37:                               ; =>This Inner Loop Header: Depth=1
	v_lshlrev_b64 v[4:5], 3, v[2:3]
	v_add_co_u32_e32 v6, vcc, s33, v4
	v_addc_co_u32_e32 v7, vcc, v9, v5, vcc
	v_add_co_u32_e32 v4, vcc, s49, v4
	v_addc_co_u32_e32 v5, vcc, v10, v5, vcc
	global_load_dwordx2 v[6:7], v[6:7], off
	s_or_b64 s[8:9], s[8:9], exec
	global_load_dwordx2 v[4:5], v[4:5], off
	s_waitcnt vmcnt(1)
	v_cvt_f32_f16_e32 v14, v6
	v_cvt_f32_f16_sdwa v15, v6 dst_sel:DWORD dst_unused:UNUSED_PAD src0_sel:WORD_1
	s_waitcnt vmcnt(0)
	v_cvt_f32_f16_e32 v16, v4
	v_cvt_f32_f16_sdwa v17, v4 dst_sel:DWORD dst_unused:UNUSED_PAD src0_sel:WORD_1
	v_cvt_f32_f16_e32 v6, v7
	v_cvt_f32_f16_sdwa v7, v7 dst_sel:DWORD dst_unused:UNUSED_PAD src0_sel:WORD_1
	;; [unrolled: 2-line block ×3, first 2 shown]
	v_pk_add_f32 v[14:15], v[14:15], v[16:17]
	v_pk_mul_f32 v[14:15], v[14:15], v[14:15]
	v_add_f32_e32 v5, v8, v14
	v_pk_add_f32 v[6:7], v[6:7], v[18:19]
	v_pk_mul_f32 v[6:7], v[6:7], v[6:7]
	v_add_f32_e32 v5, v5, v15
	v_add_u32_e32 v4, v2, v1
	v_add_f32_e32 v5, v5, v6
	v_cmp_gt_u32_e32 vcc, s51, v4
	v_add_f32_e32 v8, v5, v7
	s_and_saveexec_b64 s[10:11], vcc
	s_cbranch_execz .LBB8_36
; %bb.38:                               ;   in Loop: Header=BB8_37 Depth=1
	v_mov_b32_e32 v5, v3
	v_lshlrev_b64 v[6:7], 3, v[4:5]
	v_add_co_u32_e32 v14, vcc, s33, v6
	v_addc_co_u32_e32 v15, vcc, v9, v7, vcc
	v_add_co_u32_e32 v6, vcc, s49, v6
	v_addc_co_u32_e32 v7, vcc, v10, v7, vcc
	global_load_dwordx2 v[14:15], v[14:15], off
	s_mov_b64 s[14:15], -1
	global_load_dwordx2 v[6:7], v[6:7], off
	s_waitcnt vmcnt(1)
	v_cvt_f32_f16_e32 v16, v14
	v_cvt_f32_f16_sdwa v17, v14 dst_sel:DWORD dst_unused:UNUSED_PAD src0_sel:WORD_1
	s_waitcnt vmcnt(0)
	v_cvt_f32_f16_e32 v18, v6
	v_cvt_f32_f16_sdwa v19, v6 dst_sel:DWORD dst_unused:UNUSED_PAD src0_sel:WORD_1
	v_cvt_f32_f16_e32 v14, v15
	v_cvt_f32_f16_sdwa v15, v15 dst_sel:DWORD dst_unused:UNUSED_PAD src0_sel:WORD_1
	;; [unrolled: 2-line block ×3, first 2 shown]
	v_pk_add_f32 v[16:17], v[16:17], v[18:19]
	v_pk_mul_f32 v[16:17], v[16:17], v[16:17]
	v_add_f32_e32 v5, v8, v16
	v_pk_add_f32 v[14:15], v[14:15], v[20:21]
	v_pk_mul_f32 v[14:15], v[14:15], v[14:15]
	v_add_f32_e32 v5, v5, v17
	v_add_u32_e32 v6, v12, v2
	v_add_f32_e32 v5, v5, v14
	v_cmp_gt_u32_e32 vcc, s51, v6
	v_add_f32_e32 v8, v5, v15
	s_and_saveexec_b64 s[12:13], vcc
	s_cbranch_execz .LBB8_35
; %bb.39:                               ;   in Loop: Header=BB8_37 Depth=1
	v_mov_b32_e32 v7, v3
	v_lshlrev_b64 v[6:7], 3, v[6:7]
	v_mov_b32_e32 v5, s48
	v_add_co_u32_e32 v14, vcc, s33, v6
	v_addc_co_u32_e32 v15, vcc, v5, v7, vcc
	v_mov_b32_e32 v5, s50
	v_add_co_u32_e32 v6, vcc, s49, v6
	v_addc_co_u32_e32 v7, vcc, v5, v7, vcc
	global_load_dwordx2 v[14:15], v[14:15], off
	v_add_u32_e32 v2, v11, v2
	global_load_dwordx2 v[6:7], v[6:7], off
	v_cmp_gt_u32_e32 vcc, s51, v2
	s_mov_b64 s[16:17], -1
	s_waitcnt vmcnt(1)
	v_cvt_f32_f16_e32 v16, v14
	v_cvt_f32_f16_sdwa v17, v14 dst_sel:DWORD dst_unused:UNUSED_PAD src0_sel:WORD_1
	s_waitcnt vmcnt(0)
	v_cvt_f32_f16_e32 v18, v6
	v_cvt_f32_f16_sdwa v19, v6 dst_sel:DWORD dst_unused:UNUSED_PAD src0_sel:WORD_1
	v_cvt_f32_f16_e32 v14, v15
	v_cvt_f32_f16_sdwa v15, v15 dst_sel:DWORD dst_unused:UNUSED_PAD src0_sel:WORD_1
	;; [unrolled: 2-line block ×3, first 2 shown]
	v_pk_add_f32 v[16:17], v[16:17], v[18:19]
	v_pk_add_f32 v[6:7], v[14:15], v[6:7]
	v_pk_mul_f32 v[14:15], v[16:17], v[16:17]
	v_add_f32_e32 v5, v8, v14
	v_pk_mul_f32 v[6:7], v[6:7], v[6:7]
	v_add_f32_e32 v5, v5, v15
	v_add_f32_e32 v5, v5, v6
	;; [unrolled: 1-line block ×3, first 2 shown]
	s_and_saveexec_b64 s[14:15], vcc
	s_xor_b64 s[14:15], exec, s[14:15]
	s_cbranch_execz .LBB8_34
; %bb.40:                               ;   in Loop: Header=BB8_37 Depth=1
	v_lshlrev_b64 v[6:7], 3, v[2:3]
	v_mov_b32_e32 v2, s48
	v_add_co_u32_e32 v14, vcc, s33, v6
	v_addc_co_u32_e32 v15, vcc, v2, v7, vcc
	v_mov_b32_e32 v2, s50
	v_add_co_u32_e32 v6, vcc, s49, v6
	v_addc_co_u32_e32 v7, vcc, v2, v7, vcc
	global_load_dwordx2 v[14:15], v[14:15], off
	v_add_u32_e32 v2, v1, v1
	global_load_dwordx2 v[6:7], v[6:7], off
	v_add_u32_e32 v2, v2, v1
	v_add_u32_e32 v2, v2, v4
	v_cmp_le_u32_e32 vcc, s51, v2
	s_orn2_b64 s[16:17], vcc, exec
	s_waitcnt vmcnt(1)
	v_cvt_f32_f16_e32 v16, v14
	v_cvt_f32_f16_sdwa v17, v14 dst_sel:DWORD dst_unused:UNUSED_PAD src0_sel:WORD_1
	s_waitcnt vmcnt(0)
	v_cvt_f32_f16_e32 v18, v6
	v_cvt_f32_f16_sdwa v19, v6 dst_sel:DWORD dst_unused:UNUSED_PAD src0_sel:WORD_1
	v_cvt_f32_f16_e32 v14, v15
	v_cvt_f32_f16_sdwa v15, v15 dst_sel:DWORD dst_unused:UNUSED_PAD src0_sel:WORD_1
	;; [unrolled: 2-line block ×3, first 2 shown]
	v_pk_add_f32 v[4:5], v[16:17], v[18:19]
	v_pk_mul_f32 v[4:5], v[4:5], v[4:5]
	v_add_f32_e32 v4, v8, v4
	v_pk_add_f32 v[6:7], v[14:15], v[6:7]
	v_pk_mul_f32 v[6:7], v[6:7], v[6:7]
	v_add_f32_e32 v4, v4, v5
	v_add_f32_e32 v4, v4, v6
	;; [unrolled: 1-line block ×3, first 2 shown]
	s_branch .LBB8_34
.LBB8_41:
	s_or_b64 exec, exec, s[4:5]
.LBB8_42:
	s_or_b64 exec, exec, s[2:3]
	s_waitcnt lgkmcnt(0)
	s_cmp_lt_u32 s6, s18
	s_cselect_b32 s2, 12, 18
	s_add_u32 s2, s19, s2
	s_addc_u32 s3, s20, 0
	v_mov_b32_e32 v1, 0
	global_load_ushort v2, v1, s[2:3]
	v_mbcnt_lo_u32_b32 v1, -1, 0
	v_mbcnt_hi_u32_b32 v1, -1, v1
	v_and_b32_e32 v4, 63, v1
	v_cmp_ne_u32_e32 vcc, 63, v4
	v_addc_co_u32_e32 v9, vcc, 0, v1, vcc
	v_lshlrev_b32_e32 v9, 2, v9
	ds_bpermute_b32 v11, v9, v8
	v_and_b32_e32 v3, 0x3c0, v0
	v_cmp_gt_u32_e32 vcc, 62, v4
	v_add_u32_e32 v5, 1, v1
	v_cndmask_b32_e64 v10, 0, 1, vcc
	v_lshlrev_b32_e32 v10, 1, v10
	s_waitcnt lgkmcnt(0)
	v_add_f32_e32 v11, v8, v11
	v_add_lshl_u32 v10, v10, v1, 2
	v_cmp_gt_u32_e32 vcc, 60, v4
	v_add_u32_e32 v6, 2, v1
	v_add_u32_e32 v7, 4, v1
	;; [unrolled: 1-line block ×4, first 2 shown]
	v_cmp_eq_u32_e64 s[14:15], 0, v1
	s_waitcnt vmcnt(0)
	v_sub_u32_e64 v3, v2, v3 clamp
	v_cmp_lt_u32_e64 s[2:3], v5, v3
	v_cndmask_b32_e64 v5, v8, v11, s[2:3]
	ds_bpermute_b32 v8, v10, v5
	v_cndmask_b32_e64 v11, 0, 1, vcc
	v_lshlrev_b32_e32 v11, 2, v11
	v_cmp_lt_u32_e64 s[4:5], v6, v3
	v_add_lshl_u32 v11, v11, v1, 2
	s_waitcnt lgkmcnt(0)
	v_add_f32_e32 v8, v5, v8
	v_cndmask_b32_e64 v5, v5, v8, s[4:5]
	ds_bpermute_b32 v6, v11, v5
	v_cmp_gt_u32_e32 vcc, 56, v4
	v_cndmask_b32_e64 v8, 0, 1, vcc
	v_lshlrev_b32_e32 v8, 3, v8
	v_cmp_lt_u32_e64 s[8:9], v7, v3
	s_waitcnt lgkmcnt(0)
	v_add_f32_e32 v6, v5, v6
	v_add_lshl_u32 v12, v8, v1, 2
	v_cndmask_b32_e64 v5, v5, v6, s[8:9]
	ds_bpermute_b32 v6, v12, v5
	v_cmp_gt_u32_e32 vcc, 48, v4
	v_cndmask_b32_e64 v7, 0, 1, vcc
	v_lshlrev_b32_e32 v7, 4, v7
	v_cmp_lt_u32_e64 s[10:11], v14, v3
	s_waitcnt lgkmcnt(0)
	v_add_f32_e32 v6, v5, v6
	v_add_lshl_u32 v13, v7, v1, 2
	v_cndmask_b32_e64 v5, v5, v6, s[10:11]
	ds_bpermute_b32 v6, v13, v5
	v_cmp_gt_u32_e32 vcc, 32, v4
	v_cndmask_b32_e64 v4, 0, 1, vcc
	v_lshlrev_b32_e32 v4, 5, v4
	v_add_lshl_u32 v14, v4, v1, 2
	s_waitcnt lgkmcnt(0)
	v_add_f32_e32 v4, v5, v6
	v_cmp_lt_u32_e64 s[12:13], v15, v3
	v_cndmask_b32_e64 v4, v5, v4, s[12:13]
	ds_bpermute_b32 v5, v14, v4
	v_add_u32_e32 v6, 32, v1
	v_readfirstlane_b32 s52, v2
	v_cmp_lt_u32_e64 s[20:21], v6, v3
	s_waitcnt lgkmcnt(0)
	v_add_f32_e32 v2, v4, v5
	v_cndmask_b32_e64 v2, v4, v2, s[20:21]
	s_and_saveexec_b64 s[16:17], s[14:15]
	s_cbranch_execz .LBB8_44
; %bb.43:
	v_lshrrev_b32_e32 v3, 4, v0
	v_and_b32_e32 v3, 60, v3
	ds_write_b32 v3, v2
.LBB8_44:
	s_or_b64 exec, exec, s[16:17]
	v_cmp_gt_u32_e64 s[16:17], 16, v0
	s_waitcnt lgkmcnt(0)
	s_barrier
	s_and_saveexec_b64 s[28:29], s[16:17]
	s_cbranch_execz .LBB8_46
; %bb.45:
	v_lshlrev_b32_e32 v2, 2, v1
	ds_read_b32 v2, v2
	v_and_b32_e32 v3, 15, v1
	v_cmp_ne_u32_e32 vcc, 15, v3
	v_addc_co_u32_e32 v4, vcc, 0, v1, vcc
	v_lshlrev_b32_e32 v4, 2, v4
	s_waitcnt lgkmcnt(0)
	ds_bpermute_b32 v4, v4, v2
	s_add_i32 s18, s52, 63
	s_lshr_b32 s38, s18, 6
	v_add_u32_e32 v5, 1, v3
	v_cmp_gt_u32_e64 s[18:19], 14, v3
	v_cmp_gt_u32_e32 vcc, s38, v5
	v_cndmask_b32_e64 v5, 0, 1, s[18:19]
	s_waitcnt lgkmcnt(0)
	v_add_f32_e32 v4, v2, v4
	v_lshlrev_b32_e32 v5, 1, v5
	v_cndmask_b32_e32 v4, v2, v4, vcc
	v_add_lshl_u32 v5, v5, v1, 2
	ds_bpermute_b32 v5, v5, v4
	v_add_u32_e32 v6, 2, v3
	v_cmp_gt_u32_e64 s[18:19], s38, v6
	v_add_u32_e32 v6, 4, v3
	s_waitcnt lgkmcnt(0)
	v_add_f32_e32 v5, v4, v5
	v_cndmask_b32_e64 v4, v4, v5, s[18:19]
	v_cmp_gt_u32_e64 s[18:19], 12, v3
	v_cndmask_b32_e64 v5, 0, 1, s[18:19]
	v_lshlrev_b32_e32 v5, 2, v5
	v_add_lshl_u32 v5, v5, v1, 2
	ds_bpermute_b32 v5, v5, v4
	v_cmp_gt_u32_e64 s[18:19], s38, v6
	s_waitcnt lgkmcnt(0)
	v_add_f32_e32 v5, v4, v5
	v_cndmask_b32_e64 v4, v4, v5, s[18:19]
	v_cmp_gt_u32_e64 s[18:19], 8, v3
	v_cndmask_b32_e64 v5, 0, 1, s[18:19]
	v_lshlrev_b32_e32 v5, 3, v5
	v_add_lshl_u32 v5, v5, v1, 2
	ds_bpermute_b32 v5, v5, v4
	v_add_u32_e32 v3, 8, v3
	v_cmp_gt_u32_e64 s[18:19], s38, v3
	s_waitcnt lgkmcnt(0)
	v_add_f32_e32 v5, v4, v5
	v_cndmask_b32_e64 v3, v4, v5, s[18:19]
	v_cndmask_b32_e32 v2, v2, v3, vcc
.LBB8_46:
	s_or_b64 exec, exec, s[28:29]
	v_cmp_eq_u32_e64 s[18:19], 0, v0
	s_and_saveexec_b64 s[28:29], s[18:19]
	s_cbranch_execz .LBB8_48
; %bb.47:
	v_cvt_f32_i32_e32 v3, s37
	s_mov_b32 s37, 0x800000
	v_div_scale_f32 v4, s[38:39], v3, v3, v2
	v_rcp_f32_e32 v5, v4
	v_div_scale_f32 v6, vcc, v2, v3, v2
	v_fma_f32 v7, -v4, v5, 1.0
	v_fmac_f32_e32 v5, v7, v5
	v_mul_f32_e32 v7, v6, v5
	v_fma_f32 v8, -v4, v7, v6
	v_fmac_f32_e32 v7, v8, v5
	v_fma_f32 v4, -v4, v7, v6
	v_div_fmas_f32 v4, v4, v5, v7
	v_div_fixup_f32 v2, v4, v3, v2
	v_add_f32_e32 v2, s36, v2
	v_mul_f32_e32 v3, 0x4b800000, v2
	v_cmp_gt_f32_e32 vcc, s37, v2
	v_cndmask_b32_e32 v2, v2, v3, vcc
	v_rsq_f32_e32 v2, v2
	v_mul_f32_e32 v3, 0x45800000, v2
	v_cndmask_b32_e32 v2, v2, v3, vcc
	v_mov_b32_e32 v3, 0
	ds_write_b32 v3, v2 offset:256
.LBB8_48:
	s_or_b64 exec, exec, s[28:29]
	v_mov_b32_e32 v15, 0
	s_waitcnt lgkmcnt(0)
	s_barrier
	ds_read_b32 v8, v15 offset:256
	s_and_saveexec_b64 s[28:29], s[0:1]
	s_cbranch_execz .LBB8_58
; %bb.49:
	v_mov_b32_e32 v3, 0
	s_add_i32 s55, s52, s52
	s_mul_i32 s53, s52, 3
	s_lshl_b32 s54, s52, 1
	s_mov_b64 s[36:37], 0
	v_mov_b32_e32 v16, s48
	v_mov_b32_e32 v17, s31
	;; [unrolled: 1-line block ×3, first 2 shown]
	s_add_i32 s55, s55, s52
	v_mov_b32_e32 v2, v0
	v_mov_b32_e32 v15, v3
                                        ; implicit-def: $sgpr38_sgpr39
	s_branch .LBB8_53
.LBB8_50:                               ;   in Loop: Header=BB8_53 Depth=1
	s_or_b64 exec, exec, s[44:45]
	s_orn2_b64 s[44:45], s[46:47], exec
.LBB8_51:                               ;   in Loop: Header=BB8_53 Depth=1
	s_or_b64 exec, exec, s[42:43]
	s_andn2_b64 s[38:39], s[38:39], exec
	s_and_b64 s[42:43], s[44:45], exec
	s_or_b64 s[38:39], s[38:39], s[42:43]
.LBB8_52:                               ;   in Loop: Header=BB8_53 Depth=1
	s_or_b64 exec, exec, s[40:41]
	s_and_b64 s[40:41], exec, s[38:39]
	s_or_b64 s[36:37], s[40:41], s[36:37]
	s_andn2_b64 exec, exec, s[36:37]
	s_cbranch_execz .LBB8_57
.LBB8_53:                               ; =>This Inner Loop Header: Depth=1
	v_lshlrev_b64 v[4:5], 3, v[2:3]
	v_add_co_u32_e32 v6, vcc, s33, v4
	v_addc_co_u32_e32 v7, vcc, v16, v5, vcc
	v_add_co_u32_e32 v20, vcc, s49, v4
	v_addc_co_u32_e32 v21, vcc, v18, v5, vcc
	global_load_dwordx2 v[6:7], v[6:7], off
	v_add_co_u32_e32 v4, vcc, s30, v4
	global_load_dwordx2 v[20:21], v[20:21], off
	v_addc_co_u32_e32 v5, vcc, v17, v5, vcc
	global_load_dwordx2 v[4:5], v[4:5], off
	s_or_b64 s[38:39], s[38:39], exec
	s_waitcnt vmcnt(2)
	v_cvt_f32_f16_e32 v19, v6
	v_cvt_f32_f16_sdwa v6, v6 dst_sel:DWORD dst_unused:UNUSED_PAD src0_sel:WORD_1
	v_cvt_f32_f16_e32 v22, v7
	s_waitcnt vmcnt(1)
	v_cvt_f32_f16_e32 v23, v20
	v_cvt_f32_f16_sdwa v20, v20 dst_sel:DWORD dst_unused:UNUSED_PAD src0_sel:WORD_1
	v_cvt_f32_f16_sdwa v7, v7 dst_sel:DWORD dst_unused:UNUSED_PAD src0_sel:WORD_1
	v_cvt_f32_f16_e32 v24, v21
	v_cvt_f32_f16_sdwa v21, v21 dst_sel:DWORD dst_unused:UNUSED_PAD src0_sel:WORD_1
	v_add_f32_e32 v19, v19, v23
	v_add_f32_e32 v6, v6, v20
	;; [unrolled: 1-line block ×4, first 2 shown]
	s_waitcnt lgkmcnt(0)
	v_fma_mixlo_f16 v19, v8, v19, 0
	v_fma_mixlo_f16 v6, v8, v6, 0
	;; [unrolled: 1-line block ×4, first 2 shown]
	s_waitcnt vmcnt(0)
	v_mul_f16_e32 v19, v4, v19
	v_mul_f16_sdwa v4, v4, v6 dst_sel:DWORD dst_unused:UNUSED_PAD src0_sel:WORD_1 src1_sel:DWORD
	v_mul_f16_e32 v6, v5, v20
	v_mul_f16_sdwa v5, v5, v7 dst_sel:DWORD dst_unused:UNUSED_PAD src0_sel:WORD_1 src1_sel:DWORD
	v_cvt_f32_f16_e64 v7, |v19|
	v_cvt_f32_f16_e64 v19, |v4|
	;; [unrolled: 1-line block ×4, first 2 shown]
	v_add_u32_e32 v4, s52, v2
	v_max3_f32 v7, v15, v7, v19
	v_cmp_gt_u32_e32 vcc, s51, v4
	v_max3_f32 v15, v7, v6, v5
	s_and_saveexec_b64 s[40:41], vcc
	s_cbranch_execz .LBB8_52
; %bb.54:                               ;   in Loop: Header=BB8_53 Depth=1
	v_mov_b32_e32 v5, v3
	v_lshlrev_b64 v[6:7], 3, v[4:5]
	v_add_co_u32_e32 v20, vcc, s33, v6
	v_addc_co_u32_e32 v21, vcc, v16, v7, vcc
	v_add_co_u32_e32 v22, vcc, s49, v6
	v_addc_co_u32_e32 v23, vcc, v18, v7, vcc
	global_load_dwordx2 v[20:21], v[20:21], off
	v_add_co_u32_e32 v6, vcc, s30, v6
	global_load_dwordx2 v[22:23], v[22:23], off
	v_addc_co_u32_e32 v7, vcc, v17, v7, vcc
	global_load_dwordx2 v[6:7], v[6:7], off
	s_mov_b64 s[44:45], -1
	s_waitcnt vmcnt(2)
	v_cvt_f32_f16_e32 v5, v20
	v_cvt_f32_f16_sdwa v19, v20 dst_sel:DWORD dst_unused:UNUSED_PAD src0_sel:WORD_1
	v_cvt_f32_f16_e32 v20, v21
	s_waitcnt vmcnt(1)
	v_cvt_f32_f16_e32 v24, v22
	v_cvt_f32_f16_sdwa v22, v22 dst_sel:DWORD dst_unused:UNUSED_PAD src0_sel:WORD_1
	v_cvt_f32_f16_sdwa v21, v21 dst_sel:DWORD dst_unused:UNUSED_PAD src0_sel:WORD_1
	v_cvt_f32_f16_e32 v25, v23
	v_cvt_f32_f16_sdwa v23, v23 dst_sel:DWORD dst_unused:UNUSED_PAD src0_sel:WORD_1
	v_add_f32_e32 v5, v5, v24
	v_add_f32_e32 v19, v19, v22
	;; [unrolled: 1-line block ×4, first 2 shown]
	v_fma_mixlo_f16 v5, v8, v5, 0
	v_fma_mixlo_f16 v19, v8, v19, 0
	v_fma_mixlo_f16 v20, v8, v20, 0
	v_fma_mixlo_f16 v21, v8, v21, 0
	s_waitcnt vmcnt(0)
	v_mul_f16_e32 v5, v6, v5
	v_mul_f16_sdwa v6, v6, v19 dst_sel:DWORD dst_unused:UNUSED_PAD src0_sel:WORD_1 src1_sel:DWORD
	v_mul_f16_e32 v19, v7, v20
	v_mul_f16_sdwa v7, v7, v21 dst_sel:DWORD dst_unused:UNUSED_PAD src0_sel:WORD_1 src1_sel:DWORD
	v_cvt_f32_f16_e64 v5, |v5|
	v_cvt_f32_f16_e64 v20, |v6|
	;; [unrolled: 1-line block ×4, first 2 shown]
	v_add_u32_e32 v6, s54, v2
	v_max3_f32 v5, v15, v5, v20
	v_cmp_gt_u32_e32 vcc, s51, v6
	v_max3_f32 v15, v5, v19, v7
	s_and_saveexec_b64 s[42:43], vcc
	s_cbranch_execz .LBB8_51
; %bb.55:                               ;   in Loop: Header=BB8_53 Depth=1
	v_mov_b32_e32 v7, v3
	v_lshlrev_b64 v[6:7], 3, v[6:7]
	v_add_co_u32_e32 v20, vcc, s33, v6
	v_addc_co_u32_e32 v21, vcc, v16, v7, vcc
	v_add_co_u32_e32 v22, vcc, s49, v6
	v_addc_co_u32_e32 v23, vcc, v18, v7, vcc
	global_load_dwordx2 v[20:21], v[20:21], off
	v_add_co_u32_e32 v6, vcc, s30, v6
	global_load_dwordx2 v[22:23], v[22:23], off
	v_addc_co_u32_e32 v7, vcc, v17, v7, vcc
	global_load_dwordx2 v[6:7], v[6:7], off
	v_add_u32_e32 v2, s53, v2
	v_cmp_gt_u32_e32 vcc, s51, v2
	s_mov_b64 s[46:47], -1
	s_waitcnt vmcnt(2)
	v_cvt_f32_f16_e32 v5, v20
	v_cvt_f32_f16_sdwa v19, v20 dst_sel:DWORD dst_unused:UNUSED_PAD src0_sel:WORD_1
	v_cvt_f32_f16_e32 v20, v21
	s_waitcnt vmcnt(1)
	v_cvt_f32_f16_e32 v24, v22
	v_cvt_f32_f16_sdwa v22, v22 dst_sel:DWORD dst_unused:UNUSED_PAD src0_sel:WORD_1
	v_cvt_f32_f16_sdwa v21, v21 dst_sel:DWORD dst_unused:UNUSED_PAD src0_sel:WORD_1
	v_cvt_f32_f16_e32 v25, v23
	v_cvt_f32_f16_sdwa v23, v23 dst_sel:DWORD dst_unused:UNUSED_PAD src0_sel:WORD_1
	v_add_f32_e32 v5, v5, v24
	v_add_f32_e32 v19, v19, v22
	;; [unrolled: 1-line block ×4, first 2 shown]
	v_fma_mixlo_f16 v5, v8, v5, 0
	v_fma_mixlo_f16 v19, v8, v19, 0
	;; [unrolled: 1-line block ×4, first 2 shown]
	s_waitcnt vmcnt(0)
	v_mul_f16_e32 v5, v6, v5
	v_mul_f16_sdwa v6, v6, v19 dst_sel:DWORD dst_unused:UNUSED_PAD src0_sel:WORD_1 src1_sel:DWORD
	v_mul_f16_e32 v19, v7, v20
	v_mul_f16_sdwa v7, v7, v21 dst_sel:DWORD dst_unused:UNUSED_PAD src0_sel:WORD_1 src1_sel:DWORD
	v_cvt_f32_f16_e64 v5, |v5|
	v_cvt_f32_f16_e64 v6, |v6|
	;; [unrolled: 1-line block ×4, first 2 shown]
	v_max3_f32 v5, v15, v5, v6
	v_max3_f32 v15, v5, v19, v7
	s_and_saveexec_b64 s[44:45], vcc
	s_xor_b64 s[44:45], exec, s[44:45]
	s_cbranch_execz .LBB8_50
; %bb.56:                               ;   in Loop: Header=BB8_53 Depth=1
	v_lshlrev_b64 v[6:7], 3, v[2:3]
	v_mov_b32_e32 v2, s48
	v_add_co_u32_e32 v20, vcc, s33, v6
	v_addc_co_u32_e32 v21, vcc, v2, v7, vcc
	v_mov_b32_e32 v2, s50
	v_add_co_u32_e32 v22, vcc, s49, v6
	v_addc_co_u32_e32 v23, vcc, v2, v7, vcc
	global_load_dwordx2 v[20:21], v[20:21], off
	v_mov_b32_e32 v2, s31
	global_load_dwordx2 v[22:23], v[22:23], off
	v_add_co_u32_e32 v6, vcc, s30, v6
	v_addc_co_u32_e32 v7, vcc, v2, v7, vcc
	global_load_dwordx2 v[6:7], v[6:7], off
	s_waitcnt vmcnt(2)
	v_cvt_f32_f16_e32 v2, v20
	v_cvt_f32_f16_sdwa v5, v20 dst_sel:DWORD dst_unused:UNUSED_PAD src0_sel:WORD_1
	v_cvt_f32_f16_e32 v19, v21
	v_cvt_f32_f16_sdwa v20, v21 dst_sel:DWORD dst_unused:UNUSED_PAD src0_sel:WORD_1
	s_waitcnt vmcnt(1)
	v_cvt_f32_f16_e32 v21, v22
	v_cvt_f32_f16_sdwa v22, v22 dst_sel:DWORD dst_unused:UNUSED_PAD src0_sel:WORD_1
	v_cvt_f32_f16_e32 v24, v23
	v_cvt_f32_f16_sdwa v23, v23 dst_sel:DWORD dst_unused:UNUSED_PAD src0_sel:WORD_1
	v_add_f32_e32 v2, v2, v21
	v_add_f32_e32 v5, v5, v22
	;; [unrolled: 1-line block ×4, first 2 shown]
	v_fma_mixlo_f16 v2, v8, v2, 0
	v_fma_mixlo_f16 v5, v8, v5, 0
	v_fma_mixlo_f16 v19, v8, v19, 0
	v_fma_mixlo_f16 v20, v8, v20, 0
	s_waitcnt vmcnt(0)
	v_mul_f16_e32 v2, v6, v2
	v_mul_f16_sdwa v5, v6, v5 dst_sel:DWORD dst_unused:UNUSED_PAD src0_sel:WORD_1 src1_sel:DWORD
	v_mul_f16_e32 v6, v7, v19
	v_mul_f16_sdwa v7, v7, v20 dst_sel:DWORD dst_unused:UNUSED_PAD src0_sel:WORD_1 src1_sel:DWORD
	v_cvt_f32_f16_e64 v19, |v2|
	v_cvt_f32_f16_e64 v5, |v5|
	;; [unrolled: 1-line block ×4, first 2 shown]
	v_add_u32_e32 v2, s55, v4
	v_cmp_le_u32_e32 vcc, s51, v2
	v_max3_f32 v4, v15, v19, v5
	v_max3_f32 v15, v4, v6, v7
	s_orn2_b64 s[46:47], vcc, exec
	s_branch .LBB8_50
.LBB8_57:
	s_or_b64 exec, exec, s[36:37]
.LBB8_58:
	s_or_b64 exec, exec, s[28:29]
	ds_bpermute_b32 v2, v9, v15
	s_waitcnt lgkmcnt(0)
	v_cmp_lt_f32_e32 vcc, v15, v2
	v_cndmask_b32_e32 v2, v15, v2, vcc
	v_cndmask_b32_e64 v2, v15, v2, s[2:3]
	ds_bpermute_b32 v3, v10, v2
	s_or_b64 s[2:3], s[2:3], s[4:5]
	s_or_b64 s[2:3], s[8:9], s[2:3]
	;; [unrolled: 1-line block ×4, first 2 shown]
	s_waitcnt lgkmcnt(0)
	v_cmp_lt_f32_e32 vcc, v2, v3
	v_cndmask_b32_e32 v3, v2, v3, vcc
	v_cndmask_b32_e64 v2, v2, v3, s[4:5]
	ds_bpermute_b32 v3, v11, v2
	s_waitcnt lgkmcnt(0)
	v_cmp_lt_f32_e32 vcc, v2, v3
	v_cndmask_b32_e32 v3, v2, v3, vcc
	v_cndmask_b32_e64 v2, v2, v3, s[8:9]
	ds_bpermute_b32 v3, v12, v2
	;; [unrolled: 5-line block ×4, first 2 shown]
	s_waitcnt lgkmcnt(0)
	v_cmp_lt_f32_e32 vcc, v2, v3
	s_and_b64 vcc, s[20:21], vcc
	v_cndmask_b32_e32 v2, v2, v3, vcc
	s_or_b64 vcc, s[20:21], s[2:3]
	v_cndmask_b32_e32 v2, v15, v2, vcc
	s_and_saveexec_b64 s[2:3], s[14:15]
	s_cbranch_execz .LBB8_60
; %bb.59:
	v_lshrrev_b32_e32 v3, 4, v0
	v_and_b32_e32 v3, 60, v3
	ds_write_b32 v3, v2 offset:64
.LBB8_60:
	s_or_b64 exec, exec, s[2:3]
	s_waitcnt lgkmcnt(0)
	s_barrier
	s_and_saveexec_b64 s[8:9], s[16:17]
	s_cbranch_execz .LBB8_62
; %bb.61:
	v_lshlrev_b32_e32 v2, 2, v1
	ds_read_b32 v2, v2 offset:64
	v_and_b32_e32 v3, 15, v1
	v_cmp_ne_u32_e32 vcc, 15, v3
	v_addc_co_u32_e32 v4, vcc, 0, v1, vcc
	v_lshlrev_b32_e32 v4, 2, v4
	s_waitcnt lgkmcnt(0)
	ds_bpermute_b32 v4, v4, v2
	s_add_i32 s2, s52, 63
	s_lshr_b32 s4, s2, 6
	v_add_u32_e32 v5, 1, v3
	v_cmp_gt_u32_e64 s[2:3], 14, v3
	s_waitcnt lgkmcnt(0)
	v_cmp_lt_f32_e32 vcc, v2, v4
	v_cndmask_b32_e32 v4, v2, v4, vcc
	v_cmp_gt_u32_e32 vcc, s4, v5
	v_cndmask_b32_e64 v5, 0, 1, s[2:3]
	v_lshlrev_b32_e32 v5, 1, v5
	v_cndmask_b32_e32 v4, v2, v4, vcc
	v_add_lshl_u32 v5, v5, v1, 2
	ds_bpermute_b32 v5, v5, v4
	v_add_u32_e32 v6, 2, v3
	s_waitcnt lgkmcnt(0)
	v_cmp_lt_f32_e64 s[2:3], v4, v5
	v_cndmask_b32_e64 v5, v4, v5, s[2:3]
	v_cmp_gt_u32_e64 s[2:3], s4, v6
	v_cndmask_b32_e64 v4, v4, v5, s[2:3]
	v_cmp_gt_u32_e64 s[2:3], 12, v3
	v_cndmask_b32_e64 v5, 0, 1, s[2:3]
	v_lshlrev_b32_e32 v5, 2, v5
	v_add_lshl_u32 v5, v5, v1, 2
	ds_bpermute_b32 v5, v5, v4
	v_add_u32_e32 v6, 4, v3
	s_waitcnt lgkmcnt(0)
	v_cmp_lt_f32_e64 s[2:3], v4, v5
	v_cndmask_b32_e64 v5, v4, v5, s[2:3]
	v_cmp_gt_u32_e64 s[2:3], s4, v6
	v_cndmask_b32_e64 v4, v4, v5, s[2:3]
	v_cmp_gt_u32_e64 s[2:3], 8, v3
	v_cndmask_b32_e64 v5, 0, 1, s[2:3]
	v_lshlrev_b32_e32 v5, 3, v5
	v_add_lshl_u32 v1, v5, v1, 2
	ds_bpermute_b32 v1, v1, v4
	v_add_u32_e32 v3, 8, v3
	v_cmp_gt_u32_e64 s[2:3], s4, v3
	s_waitcnt lgkmcnt(0)
	v_cmp_lt_f32_e64 s[4:5], v4, v1
	s_and_b64 s[2:3], s[2:3], s[4:5]
	v_cndmask_b32_e64 v1, v4, v1, s[2:3]
	v_cndmask_b32_e32 v2, v2, v1, vcc
.LBB8_62:
	s_or_b64 exec, exec, s[8:9]
	s_and_saveexec_b64 s[2:3], s[18:19]
	s_cbranch_execz .LBB8_66
; %bb.63:
	s_cmp_eq_u64 s[22:23], 0
	s_cbranch_scc1 .LBB8_65
; %bb.64:
	s_load_dword s4, s[22:23], 0x0
	v_max_f32_e32 v1, v2, v2
	s_waitcnt lgkmcnt(0)
	v_max_f32_e64 v2, s4, s4
	v_min_f32_e32 v2, v1, v2
.LBB8_65:
	s_mov_b32 s8, 0x42fe0000
	v_div_scale_f32 v1, s[4:5], s8, s8, v2
	v_rcp_f32_e32 v3, v1
	v_div_scale_f32 v4, vcc, v2, s8, v2
	s_lshl_b64 s[4:5], s[6:7], 2
	v_fma_f32 v5, -v1, v3, 1.0
	v_fmac_f32_e32 v3, v5, v3
	v_mul_f32_e32 v5, v4, v3
	v_fma_f32 v6, -v1, v5, v4
	v_fmac_f32_e32 v5, v6, v3
	v_fma_f32 v1, -v1, v5, v4
	v_div_fmas_f32 v1, v1, v3, v5
	v_div_fixup_f32 v1, v1, s8, v2
	s_add_u32 s4, s26, s4
	v_max_f32_e32 v1, 0x34000000, v1
	v_mov_b32_e32 v2, 0
	s_addc_u32 s5, s27, s5
	ds_write_b32 v2, v1 offset:260
	global_store_dword v2, v1, s[4:5]
.LBB8_66:
	s_or_b64 exec, exec, s[2:3]
	s_waitcnt lgkmcnt(0)
	s_barrier
	s_and_saveexec_b64 s[2:3], s[0:1]
	s_cbranch_execz .LBB8_75
; %bb.67:
	v_mov_b32_e32 v1, 0
	ds_read_b32 v2, v1 offset:260
	s_add_u32 s12, s24, s34
	s_addc_u32 s14, s25, s35
	s_add_i32 s18, s52, s52
	s_mul_i32 s13, s52, 3
	s_waitcnt lgkmcnt(0)
	v_div_scale_f32 v3, s[0:1], v2, v2, 1.0
	v_rcp_f32_e32 v4, v3
	v_div_scale_f32 v5, vcc, 1.0, v2, 1.0
	s_lshl_b32 s15, s52, 1
	v_fma_f32 v6, -v3, v4, 1.0
	v_fmac_f32_e32 v4, v6, v4
	v_mul_f32_e32 v6, v5, v4
	v_fma_f32 v7, -v3, v6, v5
	v_fmac_f32_e32 v6, v7, v4
	v_fma_f32 v3, -v3, v6, v5
	v_div_fmas_f32 v3, v3, v4, v6
	v_div_fixup_f32 v6, v3, v2, 1.0
	s_mov_b64 s[2:3], 0
	v_mov_b32_e32 v7, s48
	v_mov_b32_e32 v9, s31
	;; [unrolled: 1-line block ×3, first 2 shown]
	s_mov_b32 s16, 0x42fe0000
	v_mov_b32_e32 v11, 0x42fe0000
	s_mov_b32 s17, 0xc3000000
	v_mov_b32_e32 v12, 0xc3000000
	v_mov_b32_e32 v13, s14
	s_add_i32 s18, s18, s52
	v_mov_b32_e32 v14, 8
                                        ; implicit-def: $sgpr4_sgpr5
	s_branch .LBB8_71
.LBB8_68:                               ;   in Loop: Header=BB8_71 Depth=1
	s_or_b64 exec, exec, s[10:11]
	s_orn2_b64 s[0:1], s[0:1], exec
.LBB8_69:                               ;   in Loop: Header=BB8_71 Depth=1
	s_or_b64 exec, exec, s[8:9]
	s_andn2_b64 s[4:5], s[4:5], exec
	s_and_b64 s[0:1], s[0:1], exec
	s_or_b64 s[4:5], s[4:5], s[0:1]
.LBB8_70:                               ;   in Loop: Header=BB8_71 Depth=1
	s_or_b64 exec, exec, s[6:7]
	s_and_b64 s[0:1], exec, s[4:5]
	s_or_b64 s[2:3], s[0:1], s[2:3]
	s_andn2_b64 exec, exec, s[2:3]
	s_cbranch_execz .LBB8_75
.LBB8_71:                               ; =>This Inner Loop Header: Depth=1
	v_lshlrev_b64 v[2:3], 3, v[0:1]
	v_add_co_u32_e32 v4, vcc, s33, v2
	v_addc_co_u32_e32 v5, vcc, v7, v3, vcc
	v_add_co_u32_e32 v16, vcc, s49, v2
	v_addc_co_u32_e32 v17, vcc, v10, v3, vcc
	global_load_dwordx2 v[4:5], v[4:5], off
	v_add_co_u32_e32 v2, vcc, s30, v2
	global_load_dwordx2 v[18:19], v[16:17], off
	v_addc_co_u32_e32 v3, vcc, v9, v3, vcc
	global_load_dwordx2 v[20:21], v[2:3], off
	v_lshlrev_b64 v[22:23], 2, v[0:1]
	v_add_u32_e32 v2, s52, v0
	s_or_b64 s[4:5], s[4:5], exec
	s_waitcnt vmcnt(2)
	v_cvt_f32_f16_e32 v26, v4
	v_cvt_f32_f16_sdwa v27, v4 dst_sel:DWORD dst_unused:UNUSED_PAD src0_sel:WORD_1
	v_cvt_f32_f16_e32 v24, v5
	s_waitcnt vmcnt(1)
	v_cvt_f32_f16_e32 v28, v18
	v_cvt_f32_f16_sdwa v29, v18 dst_sel:DWORD dst_unused:UNUSED_PAD src0_sel:WORD_1
	v_cvt_f32_f16_sdwa v25, v5 dst_sel:DWORD dst_unused:UNUSED_PAD src0_sel:WORD_1
	v_cvt_f32_f16_e32 v4, v19
	v_cvt_f32_f16_sdwa v5, v19 dst_sel:DWORD dst_unused:UNUSED_PAD src0_sel:WORD_1
	v_add_co_u32_e32 v18, vcc, s12, v22
	v_addc_co_u32_e32 v19, vcc, v13, v23, vcc
	v_pk_add_f32 v[22:23], v[26:27], v[28:29]
	v_pk_add_f32 v[4:5], v[24:25], v[4:5]
	v_cvt_f16_f32_e32 v25, v22
	v_fma_mixlo_f16 v22, v8, v22, 0
	v_cvt_f16_f32_e32 v3, v5
	v_cvt_f16_f32_e32 v15, v4
	;; [unrolled: 1-line block ×3, first 2 shown]
	v_fma_mixlo_f16 v23, v8, v23, 0
	v_fma_mixlo_f16 v4, v8, v4, 0
	v_fma_mixlo_f16 v5, v8, v5, 0
	s_waitcnt vmcnt(0)
	v_mul_f16_e32 v22, v20, v22
	v_mul_f16_sdwa v20, v20, v23 dst_sel:DWORD dst_unused:UNUSED_PAD src0_sel:WORD_1 src1_sel:DWORD
	v_mul_f16_e32 v4, v21, v4
	v_mul_f16_sdwa v5, v21, v5 dst_sel:DWORD dst_unused:UNUSED_PAD src0_sel:WORD_1 src1_sel:DWORD
	v_cvt_f32_f16_e32 v21, v22
	v_cvt_f32_f16_e32 v20, v20
	;; [unrolled: 1-line block ×4, first 2 shown]
	v_pack_b32_f16 v5, v15, v3
	v_pack_b32_f16 v4, v25, v24
	v_mul_f32_e32 v3, v6, v21
	global_store_dwordx2 v[16:17], v[4:5], off
	v_mul_f32_e32 v4, v6, v20
	v_rndne_f32_e32 v3, v3
	v_mul_f32_e32 v5, v6, v22
	v_rndne_f32_e32 v4, v4
	v_cmp_nlt_f32_e64 s[0:1], s16, v3
	v_mul_f32_e32 v15, v6, v23
	v_rndne_f32_e32 v5, v5
	v_cndmask_b32_e64 v16, v11, v3, s[0:1]
	v_cmp_nlt_f32_e64 s[0:1], s16, v4
	v_rndne_f32_e32 v15, v15
	v_cndmask_b32_e64 v17, v11, v4, s[0:1]
	v_cmp_nlt_f32_e64 s[0:1], s16, v5
	v_cndmask_b32_e64 v20, v11, v5, s[0:1]
	v_cmp_nlt_f32_e64 s[0:1], s16, v15
	v_cndmask_b32_e64 v21, v11, v15, s[0:1]
	v_cmp_ngt_f32_e64 s[0:1], s17, v3
	v_cndmask_b32_e64 v3, v12, v16, s[0:1]
	v_cmp_ngt_f32_e64 s[0:1], s17, v4
	;; [unrolled: 2-line block ×4, first 2 shown]
	v_cvt_i32_f32_e32 v5, v5
	v_cndmask_b32_e64 v15, v12, v21, s[0:1]
	v_cvt_i32_f32_e32 v4, v4
	v_cvt_i32_f32_e32 v3, v3
	;; [unrolled: 1-line block ×3, first 2 shown]
	v_and_b32_e32 v5, 0xff, v5
	v_lshlrev_b32_e32 v5, 16, v5
	v_lshlrev_b32_sdwa v4, v14, v4 dst_sel:DWORD dst_unused:UNUSED_PAD src0_sel:DWORD src1_sel:BYTE_0
	v_and_b32_e32 v3, 0xff, v3
	v_lshl_or_b32 v5, v15, 24, v5
	v_cmp_gt_u32_e32 vcc, s51, v2
	v_or3_b32 v3, v5, v4, v3
	global_store_dword v[18:19], v3, off
	s_and_saveexec_b64 s[6:7], vcc
	s_cbranch_execz .LBB8_70
; %bb.72:                               ;   in Loop: Header=BB8_71 Depth=1
	v_mov_b32_e32 v3, v1
	v_lshlrev_b64 v[4:5], 3, v[2:3]
	v_add_co_u32_e32 v16, vcc, s33, v4
	v_addc_co_u32_e32 v17, vcc, v7, v5, vcc
	v_add_co_u32_e32 v18, vcc, s49, v4
	v_addc_co_u32_e32 v19, vcc, v10, v5, vcc
	global_load_dwordx2 v[16:17], v[16:17], off
	v_add_co_u32_e32 v4, vcc, s30, v4
	global_load_dwordx2 v[20:21], v[18:19], off
	v_addc_co_u32_e32 v5, vcc, v9, v5, vcc
	global_load_dwordx2 v[22:23], v[4:5], off
	v_lshlrev_b64 v[24:25], 2, v[2:3]
	v_add_u32_e32 v4, s15, v0
	v_cmp_gt_u32_e32 vcc, s51, v4
	s_waitcnt vmcnt(2)
	v_cvt_f32_f16_e32 v28, v16
	v_cvt_f32_f16_sdwa v29, v16 dst_sel:DWORD dst_unused:UNUSED_PAD src0_sel:WORD_1
	v_cvt_f32_f16_e32 v26, v17
	s_waitcnt vmcnt(1)
	v_cvt_f32_f16_e32 v30, v20
	v_cvt_f32_f16_sdwa v31, v20 dst_sel:DWORD dst_unused:UNUSED_PAD src0_sel:WORD_1
	v_cvt_f32_f16_sdwa v27, v17 dst_sel:DWORD dst_unused:UNUSED_PAD src0_sel:WORD_1
	v_cvt_f32_f16_e32 v16, v21
	v_cvt_f32_f16_sdwa v17, v21 dst_sel:DWORD dst_unused:UNUSED_PAD src0_sel:WORD_1
	v_add_co_u32_e64 v20, s[0:1], s12, v24
	v_addc_co_u32_e64 v21, s[0:1], v13, v25, s[0:1]
	v_pk_add_f32 v[24:25], v[28:29], v[30:31]
	v_pk_add_f32 v[16:17], v[26:27], v[16:17]
	v_cvt_f16_f32_e32 v26, v24
	v_fma_mixlo_f16 v24, v8, v24, 0
	v_cvt_f16_f32_e32 v3, v17
	v_cvt_f16_f32_e32 v5, v16
	v_cvt_f16_f32_e32 v15, v25
	v_fma_mixlo_f16 v25, v8, v25, 0
	v_fma_mixlo_f16 v16, v8, v16, 0
	;; [unrolled: 1-line block ×3, first 2 shown]
	s_waitcnt vmcnt(0)
	v_mul_f16_e32 v24, v22, v24
	v_mul_f16_sdwa v22, v22, v25 dst_sel:DWORD dst_unused:UNUSED_PAD src0_sel:WORD_1 src1_sel:DWORD
	v_mul_f16_e32 v16, v23, v16
	v_mul_f16_sdwa v17, v23, v17 dst_sel:DWORD dst_unused:UNUSED_PAD src0_sel:WORD_1 src1_sel:DWORD
	v_cvt_f32_f16_e32 v23, v24
	v_cvt_f32_f16_e32 v22, v22
	;; [unrolled: 1-line block ×4, first 2 shown]
	v_pack_b32_f16 v17, v5, v3
	v_mul_f32_e32 v3, v6, v23
	v_mul_f32_e32 v5, v6, v22
	v_rndne_f32_e32 v3, v3
	v_pack_b32_f16 v16, v26, v15
	v_mul_f32_e32 v15, v6, v24
	v_rndne_f32_e32 v5, v5
	v_cmp_nlt_f32_e64 s[0:1], s16, v3
	global_store_dwordx2 v[18:19], v[16:17], off
	v_mul_f32_e32 v16, v6, v25
	v_rndne_f32_e32 v15, v15
	v_cndmask_b32_e64 v17, v11, v3, s[0:1]
	v_cmp_nlt_f32_e64 s[0:1], s16, v5
	v_rndne_f32_e32 v16, v16
	v_cndmask_b32_e64 v18, v11, v5, s[0:1]
	v_cmp_nlt_f32_e64 s[0:1], s16, v15
	v_cndmask_b32_e64 v19, v11, v15, s[0:1]
	v_cmp_nlt_f32_e64 s[0:1], s16, v16
	v_cndmask_b32_e64 v22, v11, v16, s[0:1]
	v_cmp_ngt_f32_e64 s[0:1], s17, v3
	v_cndmask_b32_e64 v3, v12, v17, s[0:1]
	v_cmp_ngt_f32_e64 s[0:1], s17, v5
	;; [unrolled: 2-line block ×4, first 2 shown]
	v_cvt_i32_f32_e32 v15, v15
	v_cndmask_b32_e64 v16, v12, v22, s[0:1]
	v_cvt_i32_f32_e32 v5, v5
	v_cvt_i32_f32_e32 v3, v3
	;; [unrolled: 1-line block ×3, first 2 shown]
	v_and_b32_e32 v15, 0xff, v15
	v_lshlrev_b32_e32 v15, 16, v15
	v_lshlrev_b32_sdwa v5, v14, v5 dst_sel:DWORD dst_unused:UNUSED_PAD src0_sel:DWORD src1_sel:BYTE_0
	v_and_b32_e32 v3, 0xff, v3
	v_lshl_or_b32 v15, v16, 24, v15
	v_or3_b32 v3, v15, v5, v3
	s_mov_b64 s[0:1], -1
	global_store_dword v[20:21], v3, off
	s_and_saveexec_b64 s[8:9], vcc
	s_cbranch_execz .LBB8_69
; %bb.73:                               ;   in Loop: Header=BB8_71 Depth=1
	v_mov_b32_e32 v5, v1
	v_lshlrev_b64 v[16:17], 3, v[4:5]
	v_mov_b32_e32 v3, s48
	v_add_co_u32_e32 v18, vcc, s33, v16
	v_addc_co_u32_e32 v19, vcc, v3, v17, vcc
	v_mov_b32_e32 v3, s50
	v_add_co_u32_e32 v20, vcc, s49, v16
	v_addc_co_u32_e32 v21, vcc, v3, v17, vcc
	global_load_dwordx2 v[18:19], v[18:19], off
	v_mov_b32_e32 v3, s31
	global_load_dwordx2 v[22:23], v[20:21], off
	v_add_co_u32_e32 v16, vcc, s30, v16
	v_addc_co_u32_e32 v17, vcc, v3, v17, vcc
	global_load_dwordx2 v[16:17], v[16:17], off
	v_lshlrev_b64 v[4:5], 2, v[4:5]
	v_mov_b32_e32 v3, s14
	v_add_co_u32_e64 v4, s[0:1], s12, v4
	v_addc_co_u32_e64 v5, s[0:1], v3, v5, s[0:1]
	v_add_u32_e32 v0, s13, v0
	v_cmp_gt_u32_e32 vcc, s51, v0
	s_waitcnt vmcnt(2)
	v_cvt_f32_f16_e32 v26, v18
	v_cvt_f32_f16_sdwa v27, v18 dst_sel:DWORD dst_unused:UNUSED_PAD src0_sel:WORD_1
	s_waitcnt vmcnt(1)
	v_cvt_f32_f16_e32 v28, v22
	v_cvt_f32_f16_sdwa v29, v22 dst_sel:DWORD dst_unused:UNUSED_PAD src0_sel:WORD_1
	v_cvt_f32_f16_e32 v24, v19
	v_cvt_f32_f16_sdwa v25, v19 dst_sel:DWORD dst_unused:UNUSED_PAD src0_sel:WORD_1
	v_cvt_f32_f16_e32 v18, v23
	v_cvt_f32_f16_sdwa v19, v23 dst_sel:DWORD dst_unused:UNUSED_PAD src0_sel:WORD_1
	v_pk_add_f32 v[22:23], v[26:27], v[28:29]
	v_pk_add_f32 v[18:19], v[24:25], v[18:19]
	v_cvt_f16_f32_e32 v25, v22
	v_fma_mixlo_f16 v22, v8, v22, 0
	v_cvt_f16_f32_e32 v3, v19
	v_cvt_f16_f32_e32 v15, v18
	;; [unrolled: 1-line block ×3, first 2 shown]
	v_fma_mixlo_f16 v23, v8, v23, 0
	v_fma_mixlo_f16 v18, v8, v18, 0
	;; [unrolled: 1-line block ×3, first 2 shown]
	s_waitcnt vmcnt(0)
	v_mul_f16_e32 v22, v16, v22
	v_mul_f16_sdwa v16, v16, v23 dst_sel:DWORD dst_unused:UNUSED_PAD src0_sel:WORD_1 src1_sel:DWORD
	v_mul_f16_e32 v18, v17, v18
	v_mul_f16_sdwa v17, v17, v19 dst_sel:DWORD dst_unused:UNUSED_PAD src0_sel:WORD_1 src1_sel:DWORD
	v_cvt_f32_f16_e32 v19, v22
	v_cvt_f32_f16_e32 v22, v16
	v_cvt_f32_f16_e32 v18, v18
	v_cvt_f32_f16_e32 v23, v17
	v_pack_b32_f16 v17, v15, v3
	v_mul_f32_e32 v3, v6, v19
	v_pack_b32_f16 v16, v25, v24
	v_mul_f32_e32 v15, v6, v22
	v_rndne_f32_e32 v3, v3
	global_store_dwordx2 v[20:21], v[16:17], off
	v_mul_f32_e32 v16, v6, v18
	v_rndne_f32_e32 v15, v15
	v_cmp_nlt_f32_e64 s[0:1], s16, v3
	v_mul_f32_e32 v17, v6, v23
	v_rndne_f32_e32 v16, v16
	v_cndmask_b32_e64 v18, v11, v3, s[0:1]
	v_cmp_nlt_f32_e64 s[0:1], s16, v15
	v_rndne_f32_e32 v17, v17
	v_cndmask_b32_e64 v19, v11, v15, s[0:1]
	v_cmp_nlt_f32_e64 s[0:1], s16, v16
	v_cndmask_b32_e64 v20, v11, v16, s[0:1]
	v_cmp_nlt_f32_e64 s[0:1], s16, v17
	v_cndmask_b32_e64 v21, v11, v17, s[0:1]
	v_cmp_ngt_f32_e64 s[0:1], s17, v3
	v_cndmask_b32_e64 v3, v12, v18, s[0:1]
	v_cmp_ngt_f32_e64 s[0:1], s17, v15
	;; [unrolled: 2-line block ×4, first 2 shown]
	v_cvt_i32_f32_e32 v16, v16
	v_cndmask_b32_e64 v17, v12, v21, s[0:1]
	v_cvt_i32_f32_e32 v15, v15
	v_cvt_i32_f32_e32 v3, v3
	;; [unrolled: 1-line block ×3, first 2 shown]
	v_and_b32_e32 v16, 0xff, v16
	v_lshlrev_b32_e32 v16, 16, v16
	v_lshlrev_b32_sdwa v15, v14, v15 dst_sel:DWORD dst_unused:UNUSED_PAD src0_sel:DWORD src1_sel:BYTE_0
	v_and_b32_e32 v3, 0xff, v3
	v_lshl_or_b32 v16, v17, 24, v16
	v_or3_b32 v3, v16, v15, v3
	s_mov_b64 s[0:1], -1
	global_store_dword v[4:5], v3, off
	s_and_saveexec_b64 s[10:11], vcc
	s_cbranch_execz .LBB8_68
; %bb.74:                               ;   in Loop: Header=BB8_71 Depth=1
	v_lshlrev_b64 v[4:5], 3, v[0:1]
	v_mov_b32_e32 v3, s48
	v_add_co_u32_e32 v16, vcc, s33, v4
	v_addc_co_u32_e32 v17, vcc, v3, v5, vcc
	v_mov_b32_e32 v3, s50
	v_add_co_u32_e32 v18, vcc, s49, v4
	v_addc_co_u32_e32 v19, vcc, v3, v5, vcc
	global_load_dwordx2 v[16:17], v[16:17], off
	v_mov_b32_e32 v3, s31
	global_load_dwordx2 v[20:21], v[18:19], off
	v_add_co_u32_e32 v4, vcc, s30, v4
	v_addc_co_u32_e32 v5, vcc, v3, v5, vcc
	global_load_dwordx2 v[4:5], v[4:5], off
	v_lshlrev_b64 v[22:23], 2, v[0:1]
	v_add_u32_e32 v0, s18, v2
	v_mov_b32_e32 v15, s14
	s_waitcnt vmcnt(2)
	v_cvt_f32_f16_e32 v24, v16
	v_cvt_f32_f16_sdwa v25, v16 dst_sel:DWORD dst_unused:UNUSED_PAD src0_sel:WORD_1
	s_waitcnt vmcnt(1)
	v_cvt_f32_f16_e32 v26, v20
	v_cvt_f32_f16_sdwa v27, v20 dst_sel:DWORD dst_unused:UNUSED_PAD src0_sel:WORD_1
	v_cvt_f32_f16_e32 v2, v17
	v_cvt_f32_f16_sdwa v3, v17 dst_sel:DWORD dst_unused:UNUSED_PAD src0_sel:WORD_1
	;; [unrolled: 2-line block ×3, first 2 shown]
	v_add_co_u32_e32 v20, vcc, s12, v22
	v_addc_co_u32_e32 v21, vcc, v15, v23, vcc
	v_pk_add_f32 v[22:23], v[24:25], v[26:27]
	v_pk_add_f32 v[2:3], v[2:3], v[16:17]
	v_cvt_f16_f32_e32 v24, v22
	v_fma_mixlo_f16 v22, v8, v22, 0
	v_cvt_f16_f32_e32 v15, v3
	v_cvt_f16_f32_e32 v16, v2
	;; [unrolled: 1-line block ×3, first 2 shown]
	v_fma_mixlo_f16 v23, v8, v23, 0
	v_fma_mixlo_f16 v2, v8, v2, 0
	;; [unrolled: 1-line block ×3, first 2 shown]
	s_waitcnt vmcnt(0)
	v_mul_f16_e32 v22, v4, v22
	v_mul_f16_sdwa v4, v4, v23 dst_sel:DWORD dst_unused:UNUSED_PAD src0_sel:WORD_1 src1_sel:DWORD
	v_mul_f16_e32 v2, v5, v2
	v_mul_f16_sdwa v3, v5, v3 dst_sel:DWORD dst_unused:UNUSED_PAD src0_sel:WORD_1 src1_sel:DWORD
	v_cvt_f32_f16_e32 v5, v22
	v_cvt_f32_f16_e32 v4, v4
	;; [unrolled: 1-line block ×4, first 2 shown]
	v_pack_b32_f16 v3, v16, v15
	v_pack_b32_f16 v2, v24, v17
	global_store_dwordx2 v[18:19], v[2:3], off
	v_mul_f32_e32 v2, v6, v5
	v_mul_f32_e32 v3, v6, v4
	v_rndne_f32_e32 v2, v2
	v_mul_f32_e32 v4, v6, v22
	v_rndne_f32_e32 v3, v3
	v_cmp_nlt_f32_e64 s[0:1], s16, v2
	v_mul_f32_e32 v5, v6, v23
	v_rndne_f32_e32 v4, v4
	v_cndmask_b32_e64 v15, v11, v2, s[0:1]
	v_cmp_nlt_f32_e64 s[0:1], s16, v3
	v_rndne_f32_e32 v5, v5
	v_cndmask_b32_e64 v16, v11, v3, s[0:1]
	v_cmp_nlt_f32_e64 s[0:1], s16, v4
	v_cndmask_b32_e64 v17, v11, v4, s[0:1]
	v_cmp_nlt_f32_e64 s[0:1], s16, v5
	v_cndmask_b32_e64 v18, v11, v5, s[0:1]
	v_cmp_ngt_f32_e64 s[0:1], s17, v2
	v_cndmask_b32_e64 v2, v12, v15, s[0:1]
	v_cmp_ngt_f32_e64 s[0:1], s17, v3
	;; [unrolled: 2-line block ×4, first 2 shown]
	v_cvt_i32_f32_e32 v4, v4
	v_cndmask_b32_e64 v5, v12, v18, s[0:1]
	v_cvt_i32_f32_e32 v3, v3
	v_cvt_i32_f32_e32 v2, v2
	;; [unrolled: 1-line block ×3, first 2 shown]
	v_and_b32_e32 v4, 0xff, v4
	v_lshlrev_b32_e32 v4, 16, v4
	v_cmp_le_u32_e32 vcc, s51, v0
	v_lshlrev_b32_sdwa v3, v14, v3 dst_sel:DWORD dst_unused:UNUSED_PAD src0_sel:DWORD src1_sel:BYTE_0
	v_and_b32_e32 v2, 0xff, v2
	v_lshl_or_b32 v4, v5, 24, v4
	v_or3_b32 v2, v4, v3, v2
	s_orn2_b64 s[0:1], vcc, exec
	global_store_dword v[20:21], v2, off
	s_branch .LBB8_68
.LBB8_75:
	s_endpgm
	.section	.rodata,"a",@progbits
	.p2align	6, 0x0
	.amdhsa_kernel _ZN4vllm39rms_norm_dynamic_per_token_quant_kernelIN3c104HalfEaLb1EEEvPT0_PfPKT_S8_PKffiiPS6_
		.amdhsa_group_segment_fixed_size 272
		.amdhsa_private_segment_fixed_size 0
		.amdhsa_kernarg_size 320
		.amdhsa_user_sgpr_count 6
		.amdhsa_user_sgpr_private_segment_buffer 1
		.amdhsa_user_sgpr_dispatch_ptr 0
		.amdhsa_user_sgpr_queue_ptr 0
		.amdhsa_user_sgpr_kernarg_segment_ptr 1
		.amdhsa_user_sgpr_dispatch_id 0
		.amdhsa_user_sgpr_flat_scratch_init 0
		.amdhsa_user_sgpr_kernarg_preload_length 0
		.amdhsa_user_sgpr_kernarg_preload_offset 0
		.amdhsa_user_sgpr_private_segment_size 0
		.amdhsa_uses_dynamic_stack 0
		.amdhsa_system_sgpr_private_segment_wavefront_offset 0
		.amdhsa_system_sgpr_workgroup_id_x 1
		.amdhsa_system_sgpr_workgroup_id_y 0
		.amdhsa_system_sgpr_workgroup_id_z 0
		.amdhsa_system_sgpr_workgroup_info 0
		.amdhsa_system_vgpr_workitem_id 0
		.amdhsa_next_free_vgpr 32
		.amdhsa_next_free_sgpr 56
		.amdhsa_accum_offset 32
		.amdhsa_reserve_vcc 1
		.amdhsa_reserve_flat_scratch 0
		.amdhsa_float_round_mode_32 0
		.amdhsa_float_round_mode_16_64 0
		.amdhsa_float_denorm_mode_32 3
		.amdhsa_float_denorm_mode_16_64 3
		.amdhsa_dx10_clamp 1
		.amdhsa_ieee_mode 1
		.amdhsa_fp16_overflow 0
		.amdhsa_tg_split 0
		.amdhsa_exception_fp_ieee_invalid_op 0
		.amdhsa_exception_fp_denorm_src 0
		.amdhsa_exception_fp_ieee_div_zero 0
		.amdhsa_exception_fp_ieee_overflow 0
		.amdhsa_exception_fp_ieee_underflow 0
		.amdhsa_exception_fp_ieee_inexact 0
		.amdhsa_exception_int_div_zero 0
	.end_amdhsa_kernel
	.section	.text._ZN4vllm39rms_norm_dynamic_per_token_quant_kernelIN3c104HalfEaLb1EEEvPT0_PfPKT_S8_PKffiiPS6_,"axG",@progbits,_ZN4vllm39rms_norm_dynamic_per_token_quant_kernelIN3c104HalfEaLb1EEEvPT0_PfPKT_S8_PKffiiPS6_,comdat
.Lfunc_end8:
	.size	_ZN4vllm39rms_norm_dynamic_per_token_quant_kernelIN3c104HalfEaLb1EEEvPT0_PfPKT_S8_PKffiiPS6_, .Lfunc_end8-_ZN4vllm39rms_norm_dynamic_per_token_quant_kernelIN3c104HalfEaLb1EEEvPT0_PfPKT_S8_PKffiiPS6_
                                        ; -- End function
	.section	.AMDGPU.csdata,"",@progbits
; Kernel info:
; codeLenInByte = 8800
; NumSgprs: 60
; NumVgprs: 32
; NumAgprs: 0
; TotalNumVgprs: 32
; ScratchSize: 0
; MemoryBound: 0
; FloatMode: 240
; IeeeMode: 1
; LDSByteSize: 272 bytes/workgroup (compile time only)
; SGPRBlocks: 7
; VGPRBlocks: 3
; NumSGPRsForWavesPerEU: 60
; NumVGPRsForWavesPerEU: 32
; AccumOffset: 32
; Occupancy: 8
; WaveLimiterHint : 0
; COMPUTE_PGM_RSRC2:SCRATCH_EN: 0
; COMPUTE_PGM_RSRC2:USER_SGPR: 6
; COMPUTE_PGM_RSRC2:TRAP_HANDLER: 0
; COMPUTE_PGM_RSRC2:TGID_X_EN: 1
; COMPUTE_PGM_RSRC2:TGID_Y_EN: 0
; COMPUTE_PGM_RSRC2:TGID_Z_EN: 0
; COMPUTE_PGM_RSRC2:TIDIG_COMP_CNT: 0
; COMPUTE_PGM_RSRC3_GFX90A:ACCUM_OFFSET: 7
; COMPUTE_PGM_RSRC3_GFX90A:TG_SPLIT: 0
	.section	.text._ZN4vllm39rms_norm_dynamic_per_token_quant_kernelIN3c104HalfENS1_13Float8_e4m3fnELb0EEEvPT0_PfPKT_S9_PKffiiPS7_,"axG",@progbits,_ZN4vllm39rms_norm_dynamic_per_token_quant_kernelIN3c104HalfENS1_13Float8_e4m3fnELb0EEEvPT0_PfPKT_S9_PKffiiPS7_,comdat
	.protected	_ZN4vllm39rms_norm_dynamic_per_token_quant_kernelIN3c104HalfENS1_13Float8_e4m3fnELb0EEEvPT0_PfPKT_S9_PKffiiPS7_ ; -- Begin function _ZN4vllm39rms_norm_dynamic_per_token_quant_kernelIN3c104HalfENS1_13Float8_e4m3fnELb0EEEvPT0_PfPKT_S9_PKffiiPS7_
	.globl	_ZN4vllm39rms_norm_dynamic_per_token_quant_kernelIN3c104HalfENS1_13Float8_e4m3fnELb0EEEvPT0_PfPKT_S9_PKffiiPS7_
	.p2align	8
	.type	_ZN4vllm39rms_norm_dynamic_per_token_quant_kernelIN3c104HalfENS1_13Float8_e4m3fnELb0EEEvPT0_PfPKT_S9_PKffiiPS7_,@function
_ZN4vllm39rms_norm_dynamic_per_token_quant_kernelIN3c104HalfENS1_13Float8_e4m3fnELb0EEEvPT0_PfPKT_S9_PKffiiPS7_: ; @_ZN4vllm39rms_norm_dynamic_per_token_quant_kernelIN3c104HalfENS1_13Float8_e4m3fnELb0EEEvPT0_PfPKT_S9_PKffiiPS7_
; %bb.0:
	s_load_dwordx4 s[36:39], s[4:5], 0x28
	s_load_dwordx2 s[22:23], s[4:5], 0x20
	s_load_dwordx8 s[24:31], s[4:5], 0x0
	s_waitcnt lgkmcnt(0)
	s_or_b32 s0, s38, s37
	s_and_b32 s0, s0, 3
	s_cmp_lg_u32 s0, 0
	s_cbranch_scc0 .LBB9_37
; %bb.1:
	v_cmp_gt_u32_e64 s[0:1], s37, v0
	v_cmp_le_u32_e64 s[2:3], s37, v0
                                        ; implicit-def: $sgpr7
                                        ; implicit-def: $sgpr10_sgpr11
	s_and_saveexec_b64 s[8:9], s[2:3]
	s_xor_b64 s[8:9], exec, s[8:9]
; %bb.2:
	s_add_u32 s10, s4, 64
	s_addc_u32 s11, s5, 0
	s_mov_b32 s7, 0
; %bb.3:
	s_or_saveexec_b64 s[8:9], s[8:9]
	v_mov_b32_e32 v4, s7
	v_pk_mov_b32 v[2:3], s[10:11], s[10:11] op_sel:[0,1]
	v_mov_b32_e32 v1, s6
	s_xor_b64 exec, exec, s[8:9]
	s_cbranch_execz .LBB9_7
; %bb.4:
	s_ashr_i32 s7, s38, 31
	s_mul_hi_u32 s10, s38, s6
	s_mul_i32 s7, s7, s6
	s_add_i32 s11, s10, s7
	s_mul_i32 s10, s38, s6
	s_load_dword s12, s[4:5], 0x4c
	s_lshl_b64 s[10:11], s[10:11], 1
	s_add_u32 s7, s28, s10
	s_addc_u32 s15, s29, s11
	s_add_u32 s10, s4, 64
	s_addc_u32 s11, s5, 0
	s_waitcnt lgkmcnt(0)
	s_and_b32 s14, s12, 0xffff
	s_mov_b64 s[12:13], 0
	v_mov_b32_e32 v3, 0
	v_mov_b32_e32 v1, s15
	;; [unrolled: 1-line block ×4, first 2 shown]
.LBB9_5:                                ; =>This Inner Loop Header: Depth=1
	v_lshlrev_b64 v[6:7], 1, v[2:3]
	v_add_co_u32_e32 v6, vcc, s7, v6
	v_addc_co_u32_e32 v7, vcc, v1, v7, vcc
	global_load_ushort v5, v[6:7], off
	v_add_u32_e32 v2, s14, v2
	v_cmp_le_u32_e32 vcc, s37, v2
	s_or_b64 s[12:13], vcc, s[12:13]
	s_waitcnt vmcnt(0)
	v_fma_mix_f32 v4, v5, v5, v4 op_sel_hi:[1,1,0]
	s_andn2_b64 exec, exec, s[12:13]
	s_cbranch_execnz .LBB9_5
; %bb.6:
	s_or_b64 exec, exec, s[12:13]
	v_pk_mov_b32 v[2:3], s[10:11], s[10:11] op_sel:[0,1]
	v_mov_b32_e32 v1, s6
.LBB9_7:
	s_or_b64 exec, exec, s[8:9]
	global_load_dword v5, v[2:3], off
	s_waitcnt vmcnt(0)
	v_cmp_lt_u32_e32 vcc, v1, v5
	v_cndmask_b32_e64 v1, 18, 12, vcc
	v_add_co_u32_e32 v2, vcc, v2, v1
	v_addc_co_u32_e32 v3, vcc, 0, v3, vcc
	global_load_ushort v2, v[2:3], off
	v_mbcnt_lo_u32_b32 v1, -1, 0
	v_mbcnt_hi_u32_b32 v1, -1, v1
	v_and_b32_e32 v3, 63, v1
	v_cmp_ne_u32_e32 vcc, 63, v3
	v_addc_co_u32_e32 v6, vcc, 0, v1, vcc
	v_lshlrev_b32_e32 v14, 2, v6
	ds_bpermute_b32 v6, v14, v4
	v_cmp_gt_u32_e32 vcc, 62, v3
	v_cndmask_b32_e64 v12, 0, 1, vcc
	v_and_b32_e32 v5, 0x3c0, v0
	v_lshlrev_b32_e32 v12, 1, v12
	v_add_u32_e32 v7, 1, v1
	v_add_lshl_u32 v13, v12, v1, 2
	s_waitcnt lgkmcnt(0)
	v_add_f32_e32 v6, v4, v6
	v_add_u32_e32 v8, 2, v1
	v_add_u32_e32 v10, 4, v1
	;; [unrolled: 1-line block ×5, first 2 shown]
	v_cmp_eq_u32_e64 s[8:9], 0, v1
	s_waitcnt vmcnt(0)
	v_sub_u32_e64 v12, v2, v5 clamp
	v_cmp_lt_u32_e32 vcc, v7, v12
	v_cndmask_b32_e32 v4, v4, v6, vcc
	ds_bpermute_b32 v6, v13, v4
	v_cmp_gt_u32_e32 vcc, 60, v3
	v_cndmask_b32_e64 v15, 0, 1, vcc
	v_lshlrev_b32_e32 v15, 2, v15
	v_cmp_lt_u32_e32 vcc, v8, v12
	s_waitcnt lgkmcnt(0)
	v_add_f32_e32 v6, v4, v6
	v_add_lshl_u32 v15, v15, v1, 2
	v_cndmask_b32_e32 v4, v4, v6, vcc
	ds_bpermute_b32 v6, v15, v4
	v_cmp_gt_u32_e32 vcc, 56, v3
	v_cndmask_b32_e64 v16, 0, 1, vcc
	v_lshlrev_b32_e32 v16, 3, v16
	v_cmp_lt_u32_e32 vcc, v10, v12
	s_waitcnt lgkmcnt(0)
	v_add_f32_e32 v6, v4, v6
	v_add_lshl_u32 v16, v16, v1, 2
	v_cndmask_b32_e32 v4, v4, v6, vcc
	ds_bpermute_b32 v6, v16, v4
	v_cmp_gt_u32_e32 vcc, 48, v3
	v_cndmask_b32_e64 v17, 0, 1, vcc
	v_lshlrev_b32_e32 v17, 4, v17
	v_cmp_lt_u32_e32 vcc, v11, v12
	s_waitcnt lgkmcnt(0)
	v_add_f32_e32 v6, v4, v6
	v_add_lshl_u32 v18, v17, v1, 2
	v_cndmask_b32_e32 v4, v4, v6, vcc
	ds_bpermute_b32 v6, v18, v4
	v_cmp_gt_u32_e32 vcc, 32, v3
	v_cndmask_b32_e64 v3, 0, 1, vcc
	v_lshlrev_b32_e32 v3, 5, v3
	v_add_lshl_u32 v17, v3, v1, 2
	s_waitcnt lgkmcnt(0)
	v_add_f32_e32 v3, v4, v6
	v_cmp_lt_u32_e32 vcc, v9, v12
	v_cndmask_b32_e32 v3, v4, v3, vcc
	ds_bpermute_b32 v4, v17, v3
	v_cmp_lt_u32_e32 vcc, v19, v12
	s_waitcnt lgkmcnt(0)
	v_add_f32_e32 v4, v3, v4
	v_cndmask_b32_e32 v3, v3, v4, vcc
	s_and_saveexec_b64 s[10:11], s[8:9]
	s_cbranch_execz .LBB9_9
; %bb.8:
	v_lshrrev_b32_e32 v4, 4, v0
	v_and_b32_e32 v4, 60, v4
	ds_write_b32 v4, v3 offset:128
.LBB9_9:
	s_or_b64 exec, exec, s[10:11]
	v_cmp_gt_u32_e64 s[10:11], 16, v0
	v_lshlrev_b32_e32 v12, 2, v1
	v_and_b32_e32 v6, 15, v1
	s_waitcnt lgkmcnt(0)
	s_barrier
	s_and_saveexec_b64 s[14:15], s[10:11]
	s_cbranch_execz .LBB9_11
; %bb.10:
	ds_read_b32 v3, v12 offset:128
	v_cmp_ne_u32_e32 vcc, 15, v6
	v_addc_co_u32_e32 v4, vcc, 0, v1, vcc
	v_lshlrev_b32_e32 v4, 2, v4
	s_waitcnt lgkmcnt(0)
	ds_bpermute_b32 v4, v4, v3
	v_add_u32_e32 v2, 63, v2
	v_add_u32_e32 v20, 1, v6
	v_lshrrev_b32_e32 v2, 6, v2
	v_cmp_gt_u32_e64 s[12:13], 14, v6
	v_cmp_lt_u32_e32 vcc, v20, v2
	v_cndmask_b32_e64 v20, 0, 1, s[12:13]
	s_waitcnt lgkmcnt(0)
	v_add_f32_e32 v4, v3, v4
	v_lshlrev_b32_e32 v20, 1, v20
	v_cndmask_b32_e32 v4, v3, v4, vcc
	v_add_lshl_u32 v20, v20, v1, 2
	ds_bpermute_b32 v20, v20, v4
	v_add_u32_e32 v21, 2, v6
	v_cmp_lt_u32_e64 s[12:13], v21, v2
	v_add_u32_e32 v21, 4, v6
	s_waitcnt lgkmcnt(0)
	v_add_f32_e32 v20, v4, v20
	v_cndmask_b32_e64 v4, v4, v20, s[12:13]
	v_cmp_gt_u32_e64 s[12:13], 12, v6
	v_cndmask_b32_e64 v20, 0, 1, s[12:13]
	v_lshlrev_b32_e32 v20, 2, v20
	v_add_lshl_u32 v20, v20, v1, 2
	ds_bpermute_b32 v20, v20, v4
	v_cmp_lt_u32_e64 s[12:13], v21, v2
	v_add_u32_e32 v21, 8, v6
	s_waitcnt lgkmcnt(0)
	v_add_f32_e32 v20, v4, v20
	v_cndmask_b32_e64 v4, v4, v20, s[12:13]
	v_cmp_gt_u32_e64 s[12:13], 8, v6
	v_cndmask_b32_e64 v20, 0, 1, s[12:13]
	v_lshlrev_b32_e32 v20, 3, v20
	v_add_lshl_u32 v20, v20, v1, 2
	ds_bpermute_b32 v20, v20, v4
	v_cmp_lt_u32_e64 s[12:13], v21, v2
	s_waitcnt lgkmcnt(0)
	v_add_f32_e32 v20, v4, v20
	v_cndmask_b32_e64 v2, v4, v20, s[12:13]
	v_cndmask_b32_e32 v3, v3, v2, vcc
.LBB9_11:
	s_or_b64 exec, exec, s[14:15]
	s_mov_b32 s7, 0
	v_cmp_eq_u32_e64 s[12:13], 0, v0
	s_and_saveexec_b64 s[14:15], s[12:13]
	s_cbranch_execz .LBB9_13
; %bb.12:
	v_cvt_f32_i32_e32 v2, s37
	v_div_scale_f32 v4, s[16:17], v2, v2, v3
	v_rcp_f32_e32 v20, v4
	v_div_scale_f32 v21, vcc, v3, v2, v3
	s_mov_b32 s16, 0x800000
	v_fma_f32 v22, -v4, v20, 1.0
	v_fmac_f32_e32 v20, v22, v20
	v_mul_f32_e32 v22, v21, v20
	v_fma_f32 v23, -v4, v22, v21
	v_fmac_f32_e32 v22, v23, v20
	v_fma_f32 v4, -v4, v22, v21
	v_div_fmas_f32 v4, v4, v20, v22
	v_div_fixup_f32 v2, v4, v2, v3
	v_add_f32_e32 v2, s36, v2
	v_mul_f32_e32 v3, 0x4b800000, v2
	v_cmp_gt_f32_e32 vcc, s16, v2
	v_cndmask_b32_e32 v2, v2, v3, vcc
	v_rsq_f32_e32 v2, v2
	v_mul_f32_e32 v3, 0x45800000, v2
	v_cndmask_b32_e32 v2, v2, v3, vcc
	v_mov_b32_e32 v3, 0
	ds_write_b32 v3, v2 offset:264
.LBB9_13:
	s_or_b64 exec, exec, s[14:15]
	v_mov_b32_e32 v2, 0
	s_waitcnt lgkmcnt(0)
	s_barrier
	ds_read_b32 v4, v2 offset:264
	s_waitcnt lgkmcnt(0)
	s_barrier
	s_waitcnt lgkmcnt(0)
                                        ; implicit-def: $sgpr16
                                        ; implicit-def: $sgpr14_sgpr15
	s_and_saveexec_b64 s[18:19], s[2:3]
	s_xor_b64 s[2:3], exec, s[18:19]
; %bb.14:
	s_add_u32 s14, s4, 64
	s_addc_u32 s15, s5, 0
	s_mov_b32 s16, 0
; %bb.15:
	s_or_saveexec_b64 s[2:3], s[2:3]
	v_mov_b32_e32 v20, s16
	v_pk_mov_b32 v[2:3], s[14:15], s[14:15] op_sel:[0,1]
	s_mul_hi_u32 s33, s38, s6
	s_mul_i32 s34, s38, s6
	s_xor_b64 exec, exec, s[2:3]
	s_cbranch_execz .LBB9_19
; %bb.16:
	s_ashr_i32 s14, s38, 31
	s_mul_i32 s14, s14, s6
	s_add_i32 s35, s33, s14
	s_load_dword s16, s[4:5], 0x4c
	s_lshl_b64 s[14:15], s[34:35], 1
	s_add_u32 s18, s28, s14
	s_addc_u32 s20, s29, s15
	s_add_u32 s14, s4, 64
	s_addc_u32 s15, s5, 0
	s_waitcnt lgkmcnt(0)
	s_and_b32 s19, s16, 0xffff
	s_mov_b64 s[16:17], 0
	v_mov_b32_e32 v3, 0
	v_mov_b32_e32 v21, s20
	;; [unrolled: 1-line block ×5, first 2 shown]
.LBB9_17:                               ; =>This Inner Loop Header: Depth=1
	v_lshlrev_b64 v[24:25], 1, v[2:3]
	v_add_co_u32_e32 v26, vcc, s18, v24
	v_addc_co_u32_e32 v27, vcc, v21, v25, vcc
	v_add_co_u32_e32 v24, vcc, s30, v24
	v_addc_co_u32_e32 v25, vcc, v22, v25, vcc
	global_load_ushort v23, v[26:27], off
	global_load_ushort v28, v[24:25], off
	v_add_u32_e32 v2, s19, v2
	v_max_f32_e32 v20, v20, v20
	v_cmp_le_u32_e32 vcc, s37, v2
	s_or_b64 s[16:17], vcc, s[16:17]
	s_waitcnt vmcnt(1)
	v_fma_mixlo_f16 v23, v4, v23, 0 op_sel_hi:[0,1,0]
	s_waitcnt vmcnt(0)
	v_mul_f16_e32 v23, v28, v23
	v_cvt_f32_f16_e64 v23, |v23|
	v_max_f32_e32 v20, v20, v23
	s_andn2_b64 exec, exec, s[16:17]
	s_cbranch_execnz .LBB9_17
; %bb.18:
	s_or_b64 exec, exec, s[16:17]
	v_pk_mov_b32 v[2:3], s[14:15], s[14:15] op_sel:[0,1]
.LBB9_19:
	s_or_b64 exec, exec, s[2:3]
	global_load_dword v21, v[2:3], off
	s_waitcnt vmcnt(0)
	v_cmp_lt_u32_e32 vcc, s6, v21
	v_cndmask_b32_e64 v21, 18, 12, vcc
	v_add_co_u32_e32 v2, vcc, v2, v21
	v_addc_co_u32_e32 v3, vcc, 0, v3, vcc
	global_load_ushort v2, v[2:3], off
	ds_bpermute_b32 v3, v14, v20
	s_waitcnt lgkmcnt(0)
	v_cmp_lt_f32_e32 vcc, v20, v3
	v_cndmask_b32_e32 v3, v20, v3, vcc
	s_waitcnt vmcnt(0)
	v_sub_u32_e64 v5, v2, v5 clamp
	v_cmp_lt_u32_e32 vcc, v7, v5
	v_cndmask_b32_e32 v3, v20, v3, vcc
	ds_bpermute_b32 v7, v13, v3
	v_cmp_lt_u32_e64 s[18:19], v19, v5
	s_waitcnt lgkmcnt(0)
	v_cmp_lt_f32_e64 s[2:3], v3, v7
	v_cndmask_b32_e64 v7, v3, v7, s[2:3]
	v_cmp_lt_u32_e64 s[2:3], v8, v5
	v_cndmask_b32_e64 v3, v3, v7, s[2:3]
	ds_bpermute_b32 v7, v15, v3
	s_or_b64 s[2:3], vcc, s[2:3]
	s_waitcnt lgkmcnt(0)
	v_cmp_lt_f32_e64 s[14:15], v3, v7
	v_cndmask_b32_e64 v7, v3, v7, s[14:15]
	v_cmp_lt_u32_e64 s[14:15], v10, v5
	v_cndmask_b32_e64 v3, v3, v7, s[14:15]
	ds_bpermute_b32 v7, v16, v3
	s_or_b64 s[2:3], s[14:15], s[2:3]
	s_waitcnt lgkmcnt(0)
	v_cmp_lt_f32_e64 s[16:17], v3, v7
	v_cndmask_b32_e64 v7, v3, v7, s[16:17]
	v_cmp_lt_u32_e64 s[16:17], v11, v5
	v_cndmask_b32_e64 v3, v3, v7, s[16:17]
	ds_bpermute_b32 v7, v18, v3
	s_or_b64 s[2:3], s[16:17], s[2:3]
	;; [unrolled: 7-line block ×3, first 2 shown]
	s_waitcnt lgkmcnt(0)
	v_cmp_lt_f32_e32 vcc, v3, v5
	s_and_b64 vcc, s[18:19], vcc
	v_cndmask_b32_e32 v3, v3, v5, vcc
	s_or_b64 vcc, s[18:19], s[2:3]
	v_cndmask_b32_e32 v3, v20, v3, vcc
	s_and_saveexec_b64 s[2:3], s[8:9]
	s_cbranch_execz .LBB9_21
; %bb.20:
	v_lshrrev_b32_e32 v5, 4, v0
	v_and_b32_e32 v5, 60, v5
	ds_write_b32 v5, v3 offset:192
.LBB9_21:
	s_or_b64 exec, exec, s[2:3]
	s_waitcnt lgkmcnt(0)
	s_barrier
	s_and_saveexec_b64 s[14:15], s[10:11]
	s_cbranch_execz .LBB9_23
; %bb.22:
	ds_read_b32 v3, v12 offset:192
	v_cmp_ne_u32_e32 vcc, 15, v6
	v_addc_co_u32_e32 v5, vcc, 0, v1, vcc
	v_lshlrev_b32_e32 v5, 2, v5
	s_waitcnt lgkmcnt(0)
	ds_bpermute_b32 v5, v5, v3
	v_add_u32_e32 v2, 63, v2
	v_add_u32_e32 v7, 1, v6
	v_lshrrev_b32_e32 v2, 6, v2
	v_cmp_gt_u32_e64 s[2:3], 14, v6
	s_waitcnt lgkmcnt(0)
	v_cmp_lt_f32_e32 vcc, v3, v5
	v_cndmask_b32_e32 v5, v3, v5, vcc
	v_cmp_lt_u32_e32 vcc, v7, v2
	v_cndmask_b32_e64 v7, 0, 1, s[2:3]
	v_lshlrev_b32_e32 v7, 1, v7
	v_cndmask_b32_e32 v5, v3, v5, vcc
	v_add_lshl_u32 v7, v7, v1, 2
	ds_bpermute_b32 v7, v7, v5
	v_add_u32_e32 v8, 2, v6
	s_waitcnt lgkmcnt(0)
	v_cmp_lt_f32_e64 s[2:3], v5, v7
	v_cndmask_b32_e64 v7, v5, v7, s[2:3]
	v_cmp_lt_u32_e64 s[2:3], v8, v2
	v_cndmask_b32_e64 v5, v5, v7, s[2:3]
	v_cmp_gt_u32_e64 s[2:3], 12, v6
	v_cndmask_b32_e64 v7, 0, 1, s[2:3]
	v_lshlrev_b32_e32 v7, 2, v7
	v_add_lshl_u32 v7, v7, v1, 2
	ds_bpermute_b32 v7, v7, v5
	v_add_u32_e32 v8, 4, v6
	s_waitcnt lgkmcnt(0)
	v_cmp_lt_f32_e64 s[2:3], v5, v7
	v_cndmask_b32_e64 v7, v5, v7, s[2:3]
	v_cmp_lt_u32_e64 s[2:3], v8, v2
	v_cndmask_b32_e64 v5, v5, v7, s[2:3]
	v_cmp_gt_u32_e64 s[2:3], 8, v6
	v_cndmask_b32_e64 v7, 0, 1, s[2:3]
	v_lshlrev_b32_e32 v7, 3, v7
	v_add_lshl_u32 v1, v7, v1, 2
	ds_bpermute_b32 v1, v1, v5
	v_add_u32_e32 v6, 8, v6
	v_cmp_lt_u32_e64 s[2:3], v6, v2
	s_waitcnt lgkmcnt(0)
	v_cmp_lt_f32_e64 s[8:9], v5, v1
	s_and_b64 s[2:3], s[2:3], s[8:9]
	v_cndmask_b32_e64 v1, v5, v1, s[2:3]
	v_cndmask_b32_e32 v3, v3, v1, vcc
.LBB9_23:
	s_or_b64 exec, exec, s[14:15]
	s_and_saveexec_b64 s[2:3], s[12:13]
	s_cbranch_execz .LBB9_27
; %bb.24:
	s_cmp_eq_u64 s[22:23], 0
	s_cbranch_scc1 .LBB9_26
; %bb.25:
	s_load_dword s8, s[22:23], 0x0
	v_max_f32_e32 v1, v3, v3
	s_waitcnt lgkmcnt(0)
	v_max_f32_e64 v2, s8, s8
	v_min_f32_e32 v3, v1, v2
.LBB9_26:
	s_mov_b32 s10, 0x43e00000
	v_div_scale_f32 v1, s[8:9], s10, s10, v3
	v_rcp_f32_e32 v2, v1
	v_div_scale_f32 v5, vcc, v3, s10, v3
	s_lshl_b64 s[8:9], s[6:7], 2
	v_fma_f32 v6, -v1, v2, 1.0
	v_fmac_f32_e32 v2, v6, v2
	v_mul_f32_e32 v6, v5, v2
	v_fma_f32 v7, -v1, v6, v5
	v_fmac_f32_e32 v6, v7, v2
	v_fma_f32 v1, -v1, v6, v5
	v_div_fmas_f32 v1, v1, v2, v6
	v_div_fixup_f32 v1, v1, s10, v3
	s_add_u32 s8, s26, s8
	v_max_f32_e32 v1, 0x36924925, v1
	v_mov_b32_e32 v2, 0
	s_addc_u32 s9, s27, s9
	ds_write_b32 v2, v1 offset:268
	global_store_dword v2, v1, s[8:9]
.LBB9_27:
	s_or_b64 exec, exec, s[2:3]
	s_waitcnt lgkmcnt(0)
	s_barrier
	s_and_saveexec_b64 s[2:3], s[0:1]
	s_cbranch_execz .LBB9_36
; %bb.28:
	s_ashr_i32 s0, s37, 31
	s_mul_hi_u32 s1, s37, s6
	s_mul_i32 s0, s0, s6
	s_add_i32 s8, s1, s0
	s_ashr_i32 s0, s38, 31
	s_mul_i32 s0, s0, s6
	s_add_i32 s35, s33, s0
	v_mov_b32_e32 v3, 0
	s_lshl_b64 s[0:1], s[34:35], 1
	s_load_dword s10, s[4:5], 0x4c
	ds_read_b32 v1, v3 offset:268
	s_add_u32 s7, s28, s0
	s_mul_i32 s9, s37, s6
	s_addc_u32 s11, s29, s1
	s_add_u32 s12, s24, s9
	s_addc_u32 s8, s25, s8
	s_waitcnt lgkmcnt(0)
	s_and_b32 s13, s10, 0xffff
	s_mov_b64 s[0:1], 0
	v_mov_b32_e32 v5, s11
	v_mov_b32_e32 v6, s31
	s_mov_b32 s14, 0x43f00000
	s_mov_b32 s15, 0x3c7fffff
	;; [unrolled: 1-line block ×4, first 2 shown]
	s_movk_i32 s18, 0x80
	v_mov_b32_e32 v7, s8
	v_mov_b32_e32 v2, v0
	s_branch .LBB9_31
.LBB9_29:                               ;   in Loop: Header=BB9_31 Depth=1
	s_or_b64 exec, exec, s[10:11]
.LBB9_30:                               ;   in Loop: Header=BB9_31 Depth=1
	s_or_b64 exec, exec, s[8:9]
	v_lshrrev_b32_e32 v8, 24, v8
	v_and_or_b32 v10, v8, s18, v9
	v_add_co_u32_e32 v8, vcc, s12, v2
	v_addc_co_u32_e32 v9, vcc, 0, v7, vcc
	v_add_u32_e32 v2, s13, v2
	v_cmp_le_u32_e32 vcc, s37, v2
	s_or_b64 s[0:1], vcc, s[0:1]
	global_store_byte v[8:9], v10, off
	s_andn2_b64 exec, exec, s[0:1]
	s_cbranch_execz .LBB9_36
.LBB9_31:                               ; =>This Inner Loop Header: Depth=1
	v_lshlrev_b64 v[8:9], 1, v[2:3]
	v_add_co_u32_e32 v10, vcc, s7, v8
	v_addc_co_u32_e32 v11, vcc, v5, v9, vcc
	v_add_co_u32_e32 v8, vcc, s30, v8
	global_load_ushort v10, v[10:11], off
	v_addc_co_u32_e32 v9, vcc, v6, v9, vcc
	global_load_ushort v8, v[8:9], off
	s_waitcnt vmcnt(1)
	v_fma_mixlo_f16 v9, v4, v10, 0 op_sel_hi:[0,1,0]
	s_waitcnt vmcnt(0)
	v_mul_f16_e32 v8, v8, v9
	v_cvt_f32_f16_e32 v8, v8
	v_div_scale_f32 v9, s[8:9], v1, v1, v8
	v_rcp_f32_e32 v10, v9
	v_div_scale_f32 v11, vcc, v8, v1, v8
	v_fma_f32 v12, -v9, v10, 1.0
	v_fmac_f32_e32 v10, v12, v10
	v_mul_f32_e32 v12, v11, v10
	v_fma_f32 v13, -v9, v12, v11
	v_fmac_f32_e32 v12, v13, v10
	v_fma_f32 v9, -v9, v12, v11
	v_div_fmas_f32 v9, v9, v10, v12
	v_div_fixup_f32 v8, v9, v1, v8
	v_min_f32_e32 v8, 0x43e00000, v8
	v_max_f32_e32 v8, 0xc3e00000, v8
	v_and_b32_e32 v10, 0x7fffffff, v8
	v_cmp_gt_u32_e32 vcc, s14, v10
	v_mov_b32_e32 v9, 0x7f
	s_and_saveexec_b64 s[8:9], vcc
	s_cbranch_execz .LBB9_30
; %bb.32:                               ;   in Loop: Header=BB9_31 Depth=1
	v_cmp_lt_u32_e32 vcc, s15, v10
                                        ; implicit-def: $vgpr9
	s_and_saveexec_b64 s[10:11], vcc
	s_xor_b64 s[10:11], exec, s[10:11]
; %bb.33:                               ;   in Loop: Header=BB9_31 Depth=1
	v_bfe_u32 v9, v8, 20, 1
	v_add3_u32 v9, v8, v9, s16
	v_lshrrev_b32_e32 v9, 20, v9
; %bb.34:                               ;   in Loop: Header=BB9_31 Depth=1
	s_andn2_saveexec_b64 s[10:11], s[10:11]
	s_cbranch_execz .LBB9_29
; %bb.35:                               ;   in Loop: Header=BB9_31 Depth=1
	v_add_f32_e64 v9, |v8|, s17
	s_branch .LBB9_29
.LBB9_36:
	s_or_b64 exec, exec, s[2:3]
	s_branch .LBB9_177
.LBB9_37:
	s_cbranch_execz .LBB9_177
; %bb.38:
	s_ashr_i32 s0, s38, 31
	s_mul_hi_u32 s1, s38, s6
	s_mul_i32 s0, s0, s6
	s_add_i32 s1, s1, s0
	s_mul_i32 s0, s38, s6
	s_lshl_b64 s[0:1], s[0:1], 1
	s_load_dword s18, s[4:5], 0x40
	s_add_u32 s33, s28, s0
	s_addc_u32 s48, s29, s1
	s_ashr_i32 s49, s37, 2
	s_add_u32 s19, s4, 64
	s_mov_b32 s7, 0
	v_cmp_gt_u32_e64 s[0:1], s49, v0
	s_addc_u32 s20, s5, 0
	v_mov_b32_e32 v10, 0
	s_and_saveexec_b64 s[2:3], s[0:1]
	s_cbranch_execz .LBB9_48
; %bb.39:
	s_waitcnt lgkmcnt(0)
	s_cmp_lt_u32 s6, s18
	s_cselect_b32 s4, 12, 18
	s_add_u32 s4, s19, s4
	s_addc_u32 s5, s20, 0
	v_mov_b32_e32 v3, 0
	global_load_ushort v1, v3, s[4:5]
	s_mov_b64 s[4:5], 0
	v_mov_b32_e32 v8, s48
	v_mov_b32_e32 v2, v0
	;; [unrolled: 1-line block ×3, first 2 shown]
                                        ; implicit-def: $sgpr8_sgpr9
	s_waitcnt vmcnt(0)
	v_add_u32_e32 v4, v1, v1
	v_mul_lo_u32 v9, v1, 3
	v_lshlrev_b32_e32 v11, 1, v1
	v_add_u32_e32 v12, v4, v1
	s_branch .LBB9_43
.LBB9_40:                               ;   in Loop: Header=BB9_43 Depth=1
	s_or_b64 exec, exec, s[14:15]
	s_orn2_b64 s[14:15], s[16:17], exec
.LBB9_41:                               ;   in Loop: Header=BB9_43 Depth=1
	s_or_b64 exec, exec, s[12:13]
	s_andn2_b64 s[8:9], s[8:9], exec
	s_and_b64 s[12:13], s[14:15], exec
	s_or_b64 s[8:9], s[8:9], s[12:13]
.LBB9_42:                               ;   in Loop: Header=BB9_43 Depth=1
	s_or_b64 exec, exec, s[10:11]
	s_and_b64 s[10:11], exec, s[8:9]
	s_or_b64 s[4:5], s[10:11], s[4:5]
	s_andn2_b64 exec, exec, s[4:5]
	s_cbranch_execz .LBB9_47
.LBB9_43:                               ; =>This Inner Loop Header: Depth=1
	v_lshlrev_b64 v[4:5], 3, v[2:3]
	v_add_co_u32_e32 v4, vcc, s33, v4
	v_addc_co_u32_e32 v5, vcc, v8, v5, vcc
	global_load_dwordx2 v[6:7], v[4:5], off
	v_add_u32_e32 v4, v2, v1
	v_cmp_gt_u32_e32 vcc, s49, v4
	s_or_b64 s[8:9], s[8:9], exec
	s_waitcnt vmcnt(0)
	v_fma_mix_f32 v5, v6, v6, v10 op_sel_hi:[1,1,0]
	v_fma_mix_f32 v5, v6, v6, v5 op_sel:[1,1,0] op_sel_hi:[1,1,0]
	v_fma_mix_f32 v5, v7, v7, v5 op_sel_hi:[1,1,0]
	v_fma_mix_f32 v10, v7, v7, v5 op_sel:[1,1,0] op_sel_hi:[1,1,0]
	s_and_saveexec_b64 s[10:11], vcc
	s_cbranch_execz .LBB9_42
; %bb.44:                               ;   in Loop: Header=BB9_43 Depth=1
	v_mov_b32_e32 v5, v3
	v_lshlrev_b64 v[6:7], 3, v[4:5]
	v_add_co_u32_e32 v6, vcc, s33, v6
	v_addc_co_u32_e32 v7, vcc, v8, v7, vcc
	global_load_dwordx2 v[14:15], v[6:7], off
	v_add_u32_e32 v6, v11, v2
	v_cmp_gt_u32_e32 vcc, s49, v6
	s_mov_b64 s[14:15], -1
	s_waitcnt vmcnt(0)
	v_fma_mix_f32 v5, v14, v14, v10 op_sel_hi:[1,1,0]
	v_fma_mix_f32 v5, v14, v14, v5 op_sel:[1,1,0] op_sel_hi:[1,1,0]
	v_fma_mix_f32 v5, v15, v15, v5 op_sel_hi:[1,1,0]
	v_fma_mix_f32 v10, v15, v15, v5 op_sel:[1,1,0] op_sel_hi:[1,1,0]
	s_and_saveexec_b64 s[12:13], vcc
	s_cbranch_execz .LBB9_41
; %bb.45:                               ;   in Loop: Header=BB9_43 Depth=1
	v_mov_b32_e32 v7, v3
	v_lshlrev_b64 v[6:7], 3, v[6:7]
	v_add_co_u32_e32 v6, vcc, s33, v6
	v_addc_co_u32_e32 v7, vcc, v8, v7, vcc
	global_load_dwordx2 v[6:7], v[6:7], off
	v_add_u32_e32 v2, v9, v2
	v_cmp_gt_u32_e32 vcc, s49, v2
	s_mov_b64 s[16:17], -1
	s_waitcnt vmcnt(0)
	v_fma_mix_f32 v5, v6, v6, v10 op_sel_hi:[1,1,0]
	v_fma_mix_f32 v5, v6, v6, v5 op_sel:[1,1,0] op_sel_hi:[1,1,0]
	v_fma_mix_f32 v5, v7, v7, v5 op_sel_hi:[1,1,0]
	v_fma_mix_f32 v10, v7, v7, v5 op_sel:[1,1,0] op_sel_hi:[1,1,0]
	s_and_saveexec_b64 s[14:15], vcc
	s_xor_b64 s[14:15], exec, s[14:15]
	s_cbranch_execz .LBB9_40
; %bb.46:                               ;   in Loop: Header=BB9_43 Depth=1
	v_lshlrev_b64 v[6:7], 3, v[2:3]
	v_add_co_u32_e32 v6, vcc, s33, v6
	v_addc_co_u32_e32 v7, vcc, v8, v7, vcc
	global_load_dwordx2 v[6:7], v[6:7], off
	v_add_u32_e32 v2, v12, v4
	v_cmp_le_u32_e32 vcc, s49, v2
	s_orn2_b64 s[16:17], vcc, exec
	s_waitcnt vmcnt(0)
	v_fma_mix_f32 v4, v6, v6, v10 op_sel_hi:[1,1,0]
	v_fma_mix_f32 v4, v6, v6, v4 op_sel:[1,1,0] op_sel_hi:[1,1,0]
	v_fma_mix_f32 v4, v7, v7, v4 op_sel_hi:[1,1,0]
	v_fma_mix_f32 v10, v7, v7, v4 op_sel:[1,1,0] op_sel_hi:[1,1,0]
	s_branch .LBB9_40
.LBB9_47:
	s_or_b64 exec, exec, s[4:5]
.LBB9_48:
	s_or_b64 exec, exec, s[2:3]
	s_waitcnt lgkmcnt(0)
	s_cmp_lt_u32 s6, s18
	s_cselect_b32 s2, 12, 18
	s_add_u32 s2, s19, s2
	s_addc_u32 s3, s20, 0
	v_mov_b32_e32 v1, 0
	global_load_ushort v2, v1, s[2:3]
	v_mbcnt_lo_u32_b32 v1, -1, 0
	v_mbcnt_hi_u32_b32 v1, -1, v1
	v_and_b32_e32 v4, 63, v1
	v_cmp_ne_u32_e32 vcc, 63, v4
	v_addc_co_u32_e32 v8, vcc, 0, v1, vcc
	v_lshlrev_b32_e32 v8, 2, v8
	ds_bpermute_b32 v11, v8, v10
	v_and_b32_e32 v3, 0x3c0, v0
	v_cmp_gt_u32_e32 vcc, 62, v4
	v_add_u32_e32 v5, 1, v1
	v_cndmask_b32_e64 v9, 0, 1, vcc
	v_lshlrev_b32_e32 v9, 1, v9
	s_waitcnt lgkmcnt(0)
	v_add_f32_e32 v11, v10, v11
	v_add_lshl_u32 v9, v9, v1, 2
	v_cmp_gt_u32_e32 vcc, 60, v4
	v_add_u32_e32 v6, 2, v1
	v_add_u32_e32 v7, 4, v1
	;; [unrolled: 1-line block ×4, first 2 shown]
	v_cmp_eq_u32_e64 s[14:15], 0, v1
	s_waitcnt vmcnt(0)
	v_sub_u32_e64 v3, v2, v3 clamp
	v_cmp_lt_u32_e64 s[2:3], v5, v3
	v_cndmask_b32_e64 v5, v10, v11, s[2:3]
	ds_bpermute_b32 v10, v9, v5
	v_cndmask_b32_e64 v11, 0, 1, vcc
	v_lshlrev_b32_e32 v11, 2, v11
	v_cmp_lt_u32_e64 s[4:5], v6, v3
	v_add_lshl_u32 v11, v11, v1, 2
	s_waitcnt lgkmcnt(0)
	v_add_f32_e32 v10, v5, v10
	v_cndmask_b32_e64 v5, v5, v10, s[4:5]
	ds_bpermute_b32 v6, v11, v5
	v_cmp_gt_u32_e32 vcc, 56, v4
	v_cndmask_b32_e64 v10, 0, 1, vcc
	v_lshlrev_b32_e32 v10, 3, v10
	v_cmp_lt_u32_e64 s[8:9], v7, v3
	s_waitcnt lgkmcnt(0)
	v_add_f32_e32 v6, v5, v6
	v_add_lshl_u32 v12, v10, v1, 2
	v_cndmask_b32_e64 v5, v5, v6, s[8:9]
	ds_bpermute_b32 v6, v12, v5
	v_cmp_gt_u32_e32 vcc, 48, v4
	v_cndmask_b32_e64 v7, 0, 1, vcc
	v_lshlrev_b32_e32 v7, 4, v7
	v_cmp_lt_u32_e64 s[10:11], v14, v3
	s_waitcnt lgkmcnt(0)
	v_add_f32_e32 v6, v5, v6
	v_add_lshl_u32 v13, v7, v1, 2
	v_cndmask_b32_e64 v5, v5, v6, s[10:11]
	ds_bpermute_b32 v6, v13, v5
	v_cmp_gt_u32_e32 vcc, 32, v4
	v_cndmask_b32_e64 v4, 0, 1, vcc
	v_lshlrev_b32_e32 v4, 5, v4
	v_add_lshl_u32 v14, v4, v1, 2
	s_waitcnt lgkmcnt(0)
	v_add_f32_e32 v4, v5, v6
	v_cmp_lt_u32_e64 s[12:13], v15, v3
	v_cndmask_b32_e64 v4, v5, v4, s[12:13]
	ds_bpermute_b32 v5, v14, v4
	v_add_u32_e32 v6, 32, v1
	v_readfirstlane_b32 s50, v2
	v_cmp_lt_u32_e64 s[20:21], v6, v3
	s_waitcnt lgkmcnt(0)
	v_add_f32_e32 v2, v4, v5
	v_cndmask_b32_e64 v2, v4, v2, s[20:21]
	s_and_saveexec_b64 s[16:17], s[14:15]
	s_cbranch_execz .LBB9_50
; %bb.49:
	v_lshrrev_b32_e32 v3, 4, v0
	v_and_b32_e32 v3, 60, v3
	ds_write_b32 v3, v2
.LBB9_50:
	s_or_b64 exec, exec, s[16:17]
	v_cmp_gt_u32_e64 s[16:17], 16, v0
	s_waitcnt lgkmcnt(0)
	s_barrier
	s_and_saveexec_b64 s[28:29], s[16:17]
	s_cbranch_execz .LBB9_52
; %bb.51:
	v_lshlrev_b32_e32 v2, 2, v1
	ds_read_b32 v2, v2
	v_and_b32_e32 v3, 15, v1
	v_cmp_ne_u32_e32 vcc, 15, v3
	v_addc_co_u32_e32 v4, vcc, 0, v1, vcc
	v_lshlrev_b32_e32 v4, 2, v4
	s_waitcnt lgkmcnt(0)
	ds_bpermute_b32 v4, v4, v2
	s_add_i32 s18, s50, 63
	s_lshr_b32 s34, s18, 6
	v_add_u32_e32 v5, 1, v3
	v_cmp_gt_u32_e64 s[18:19], 14, v3
	v_cmp_gt_u32_e32 vcc, s34, v5
	v_cndmask_b32_e64 v5, 0, 1, s[18:19]
	s_waitcnt lgkmcnt(0)
	v_add_f32_e32 v4, v2, v4
	v_lshlrev_b32_e32 v5, 1, v5
	v_cndmask_b32_e32 v4, v2, v4, vcc
	v_add_lshl_u32 v5, v5, v1, 2
	ds_bpermute_b32 v5, v5, v4
	v_add_u32_e32 v6, 2, v3
	v_cmp_gt_u32_e64 s[18:19], s34, v6
	v_add_u32_e32 v6, 4, v3
	s_waitcnt lgkmcnt(0)
	v_add_f32_e32 v5, v4, v5
	v_cndmask_b32_e64 v4, v4, v5, s[18:19]
	v_cmp_gt_u32_e64 s[18:19], 12, v3
	v_cndmask_b32_e64 v5, 0, 1, s[18:19]
	v_lshlrev_b32_e32 v5, 2, v5
	v_add_lshl_u32 v5, v5, v1, 2
	ds_bpermute_b32 v5, v5, v4
	v_cmp_gt_u32_e64 s[18:19], s34, v6
	s_waitcnt lgkmcnt(0)
	v_add_f32_e32 v5, v4, v5
	v_cndmask_b32_e64 v4, v4, v5, s[18:19]
	v_cmp_gt_u32_e64 s[18:19], 8, v3
	v_cndmask_b32_e64 v5, 0, 1, s[18:19]
	v_lshlrev_b32_e32 v5, 3, v5
	v_add_lshl_u32 v5, v5, v1, 2
	ds_bpermute_b32 v5, v5, v4
	v_add_u32_e32 v3, 8, v3
	v_cmp_gt_u32_e64 s[18:19], s34, v3
	s_waitcnt lgkmcnt(0)
	v_add_f32_e32 v5, v4, v5
	v_cndmask_b32_e64 v3, v4, v5, s[18:19]
	v_cndmask_b32_e32 v2, v2, v3, vcc
.LBB9_52:
	s_or_b64 exec, exec, s[28:29]
	v_cmp_eq_u32_e64 s[18:19], 0, v0
	s_and_saveexec_b64 s[28:29], s[18:19]
	s_cbranch_execz .LBB9_54
; %bb.53:
	v_cvt_f32_i32_e32 v3, s37
	v_div_scale_f32 v4, s[34:35], v3, v3, v2
	v_rcp_f32_e32 v5, v4
	v_div_scale_f32 v6, vcc, v2, v3, v2
	s_mov_b32 s34, 0x800000
	v_fma_f32 v7, -v4, v5, 1.0
	v_fmac_f32_e32 v5, v7, v5
	v_mul_f32_e32 v7, v6, v5
	v_fma_f32 v10, -v4, v7, v6
	v_fmac_f32_e32 v7, v10, v5
	v_fma_f32 v4, -v4, v7, v6
	v_div_fmas_f32 v4, v4, v5, v7
	v_div_fixup_f32 v2, v4, v3, v2
	v_add_f32_e32 v2, s36, v2
	v_mul_f32_e32 v3, 0x4b800000, v2
	v_cmp_gt_f32_e32 vcc, s34, v2
	v_cndmask_b32_e32 v2, v2, v3, vcc
	v_rsq_f32_e32 v2, v2
	v_mul_f32_e32 v3, 0x45800000, v2
	v_cndmask_b32_e32 v2, v2, v3, vcc
	v_mov_b32_e32 v3, 0
	ds_write_b32 v3, v2 offset:256
.LBB9_54:
	s_or_b64 exec, exec, s[28:29]
	v_mov_b32_e32 v15, 0
	s_waitcnt lgkmcnt(0)
	s_barrier
	ds_read_b32 v10, v15 offset:256
	s_and_saveexec_b64 s[28:29], s[0:1]
	s_cbranch_execz .LBB9_64
; %bb.55:
	s_add_i32 s52, s50, s50
	s_mul_i32 s36, s50, 3
	s_lshl_b32 s51, s50, 1
	s_mov_b64 s[34:35], 0
	v_mov_b32_e32 v3, 0
	v_mov_b32_e32 v16, s48
	;; [unrolled: 1-line block ×3, first 2 shown]
	s_add_i32 s52, s52, s50
	v_mov_b32_e32 v15, 0
	v_mov_b32_e32 v2, v0
                                        ; implicit-def: $sgpr38_sgpr39
	s_branch .LBB9_59
.LBB9_56:                               ;   in Loop: Header=BB9_59 Depth=1
	s_or_b64 exec, exec, s[44:45]
	s_orn2_b64 s[44:45], s[46:47], exec
.LBB9_57:                               ;   in Loop: Header=BB9_59 Depth=1
	s_or_b64 exec, exec, s[42:43]
	s_andn2_b64 s[38:39], s[38:39], exec
	s_and_b64 s[42:43], s[44:45], exec
	s_or_b64 s[38:39], s[38:39], s[42:43]
.LBB9_58:                               ;   in Loop: Header=BB9_59 Depth=1
	s_or_b64 exec, exec, s[40:41]
	s_and_b64 s[40:41], exec, s[38:39]
	s_or_b64 s[34:35], s[40:41], s[34:35]
	s_andn2_b64 exec, exec, s[34:35]
	s_cbranch_execz .LBB9_63
.LBB9_59:                               ; =>This Inner Loop Header: Depth=1
	v_lshlrev_b64 v[4:5], 3, v[2:3]
	v_add_co_u32_e32 v6, vcc, s33, v4
	v_addc_co_u32_e32 v7, vcc, v16, v5, vcc
	v_add_co_u32_e32 v4, vcc, s30, v4
	global_load_dwordx2 v[6:7], v[6:7], off
	v_addc_co_u32_e32 v5, vcc, v17, v5, vcc
	global_load_dwordx2 v[4:5], v[4:5], off
	s_or_b64 s[38:39], s[38:39], exec
	s_waitcnt vmcnt(1) lgkmcnt(0)
	v_fma_mixlo_f16 v18, v10, v6, 0 op_sel_hi:[0,1,0]
	v_fma_mixlo_f16 v6, v10, v6, 0 op_sel:[0,1,0] op_sel_hi:[0,1,0]
	v_fma_mixlo_f16 v19, v10, v7, 0 op_sel_hi:[0,1,0]
	v_fma_mixlo_f16 v7, v10, v7, 0 op_sel:[0,1,0] op_sel_hi:[0,1,0]
	s_waitcnt vmcnt(0)
	v_mul_f16_e32 v18, v4, v18
	v_mul_f16_sdwa v4, v4, v6 dst_sel:DWORD dst_unused:UNUSED_PAD src0_sel:WORD_1 src1_sel:DWORD
	v_mul_f16_e32 v6, v5, v19
	v_mul_f16_sdwa v5, v5, v7 dst_sel:DWORD dst_unused:UNUSED_PAD src0_sel:WORD_1 src1_sel:DWORD
	v_cvt_f32_f16_e64 v7, |v18|
	v_cvt_f32_f16_e64 v18, |v4|
	;; [unrolled: 1-line block ×4, first 2 shown]
	v_add_u32_e32 v4, s50, v2
	v_max3_f32 v7, v15, v7, v18
	v_cmp_gt_u32_e32 vcc, s49, v4
	v_max3_f32 v15, v7, v6, v5
	s_and_saveexec_b64 s[40:41], vcc
	s_cbranch_execz .LBB9_58
; %bb.60:                               ;   in Loop: Header=BB9_59 Depth=1
	v_mov_b32_e32 v5, v3
	v_lshlrev_b64 v[6:7], 3, v[4:5]
	v_add_co_u32_e32 v18, vcc, s33, v6
	v_addc_co_u32_e32 v19, vcc, v16, v7, vcc
	v_add_co_u32_e32 v6, vcc, s30, v6
	global_load_dwordx2 v[18:19], v[18:19], off
	v_addc_co_u32_e32 v7, vcc, v17, v7, vcc
	global_load_dwordx2 v[6:7], v[6:7], off
	s_mov_b64 s[44:45], -1
	s_waitcnt vmcnt(1)
	v_fma_mixlo_f16 v5, v10, v18, 0 op_sel_hi:[0,1,0]
	v_fma_mixlo_f16 v18, v10, v18, 0 op_sel:[0,1,0] op_sel_hi:[0,1,0]
	v_fma_mixlo_f16 v20, v10, v19, 0 op_sel_hi:[0,1,0]
	v_fma_mixlo_f16 v19, v10, v19, 0 op_sel:[0,1,0] op_sel_hi:[0,1,0]
	s_waitcnt vmcnt(0)
	v_mul_f16_e32 v5, v6, v5
	v_mul_f16_sdwa v6, v6, v18 dst_sel:DWORD dst_unused:UNUSED_PAD src0_sel:WORD_1 src1_sel:DWORD
	v_mul_f16_e32 v18, v7, v20
	v_mul_f16_sdwa v7, v7, v19 dst_sel:DWORD dst_unused:UNUSED_PAD src0_sel:WORD_1 src1_sel:DWORD
	v_cvt_f32_f16_e64 v5, |v5|
	v_cvt_f32_f16_e64 v19, |v6|
	;; [unrolled: 1-line block ×4, first 2 shown]
	v_add_u32_e32 v6, s51, v2
	v_max3_f32 v5, v15, v5, v19
	v_cmp_gt_u32_e32 vcc, s49, v6
	v_max3_f32 v15, v5, v18, v7
	s_and_saveexec_b64 s[42:43], vcc
	s_cbranch_execz .LBB9_57
; %bb.61:                               ;   in Loop: Header=BB9_59 Depth=1
	v_mov_b32_e32 v7, v3
	v_lshlrev_b64 v[6:7], 3, v[6:7]
	v_add_co_u32_e32 v18, vcc, s33, v6
	v_addc_co_u32_e32 v19, vcc, v16, v7, vcc
	v_add_co_u32_e32 v6, vcc, s30, v6
	global_load_dwordx2 v[18:19], v[18:19], off
	v_addc_co_u32_e32 v7, vcc, v17, v7, vcc
	global_load_dwordx2 v[6:7], v[6:7], off
	v_add_u32_e32 v2, s36, v2
	v_cmp_gt_u32_e32 vcc, s49, v2
	s_mov_b64 s[46:47], -1
	s_waitcnt vmcnt(1)
	v_fma_mixlo_f16 v5, v10, v18, 0 op_sel_hi:[0,1,0]
	v_fma_mixlo_f16 v18, v10, v18, 0 op_sel:[0,1,0] op_sel_hi:[0,1,0]
	v_fma_mixlo_f16 v20, v10, v19, 0 op_sel_hi:[0,1,0]
	v_fma_mixlo_f16 v19, v10, v19, 0 op_sel:[0,1,0] op_sel_hi:[0,1,0]
	s_waitcnt vmcnt(0)
	v_mul_f16_e32 v5, v6, v5
	v_mul_f16_sdwa v6, v6, v18 dst_sel:DWORD dst_unused:UNUSED_PAD src0_sel:WORD_1 src1_sel:DWORD
	v_mul_f16_e32 v18, v7, v20
	v_mul_f16_sdwa v7, v7, v19 dst_sel:DWORD dst_unused:UNUSED_PAD src0_sel:WORD_1 src1_sel:DWORD
	v_cvt_f32_f16_e64 v5, |v5|
	v_cvt_f32_f16_e64 v6, |v6|
	;; [unrolled: 1-line block ×4, first 2 shown]
	v_max3_f32 v5, v15, v5, v6
	v_max3_f32 v15, v5, v18, v7
	s_and_saveexec_b64 s[44:45], vcc
	s_xor_b64 s[44:45], exec, s[44:45]
	s_cbranch_execz .LBB9_56
; %bb.62:                               ;   in Loop: Header=BB9_59 Depth=1
	v_lshlrev_b64 v[6:7], 3, v[2:3]
	v_add_co_u32_e32 v18, vcc, s33, v6
	v_addc_co_u32_e32 v19, vcc, v16, v7, vcc
	v_add_co_u32_e32 v6, vcc, s30, v6
	global_load_dwordx2 v[18:19], v[18:19], off
	v_addc_co_u32_e32 v7, vcc, v17, v7, vcc
	global_load_dwordx2 v[6:7], v[6:7], off
	s_waitcnt vmcnt(1)
	v_fma_mixlo_f16 v2, v10, v18, 0 op_sel_hi:[0,1,0]
	v_fma_mixlo_f16 v5, v10, v18, 0 op_sel:[0,1,0] op_sel_hi:[0,1,0]
	v_fma_mixlo_f16 v18, v10, v19, 0 op_sel_hi:[0,1,0]
	v_fma_mixlo_f16 v19, v10, v19, 0 op_sel:[0,1,0] op_sel_hi:[0,1,0]
	s_waitcnt vmcnt(0)
	v_mul_f16_e32 v2, v6, v2
	v_mul_f16_sdwa v5, v6, v5 dst_sel:DWORD dst_unused:UNUSED_PAD src0_sel:WORD_1 src1_sel:DWORD
	v_mul_f16_e32 v6, v7, v18
	v_mul_f16_sdwa v7, v7, v19 dst_sel:DWORD dst_unused:UNUSED_PAD src0_sel:WORD_1 src1_sel:DWORD
	v_cvt_f32_f16_e64 v18, |v2|
	v_cvt_f32_f16_e64 v5, |v5|
	;; [unrolled: 1-line block ×4, first 2 shown]
	v_add_u32_e32 v2, s52, v4
	v_cmp_le_u32_e32 vcc, s49, v2
	v_max3_f32 v4, v15, v18, v5
	v_max3_f32 v15, v4, v6, v7
	s_orn2_b64 s[46:47], vcc, exec
	s_branch .LBB9_56
.LBB9_63:
	s_or_b64 exec, exec, s[34:35]
.LBB9_64:
	s_or_b64 exec, exec, s[28:29]
	ds_bpermute_b32 v2, v8, v15
	s_waitcnt lgkmcnt(0)
	v_cmp_lt_f32_e32 vcc, v15, v2
	v_cndmask_b32_e32 v2, v15, v2, vcc
	v_cndmask_b32_e64 v2, v15, v2, s[2:3]
	ds_bpermute_b32 v3, v9, v2
	s_or_b64 s[2:3], s[2:3], s[4:5]
	s_or_b64 s[2:3], s[8:9], s[2:3]
	;; [unrolled: 1-line block ×4, first 2 shown]
	s_waitcnt lgkmcnt(0)
	v_cmp_lt_f32_e32 vcc, v2, v3
	v_cndmask_b32_e32 v3, v2, v3, vcc
	v_cndmask_b32_e64 v2, v2, v3, s[4:5]
	ds_bpermute_b32 v3, v11, v2
	s_waitcnt lgkmcnt(0)
	v_cmp_lt_f32_e32 vcc, v2, v3
	v_cndmask_b32_e32 v3, v2, v3, vcc
	v_cndmask_b32_e64 v2, v2, v3, s[8:9]
	ds_bpermute_b32 v3, v12, v2
	;; [unrolled: 5-line block ×4, first 2 shown]
	s_waitcnt lgkmcnt(0)
	v_cmp_lt_f32_e32 vcc, v2, v3
	s_and_b64 vcc, s[20:21], vcc
	v_cndmask_b32_e32 v2, v2, v3, vcc
	s_or_b64 vcc, s[20:21], s[2:3]
	v_cndmask_b32_e32 v2, v15, v2, vcc
	s_and_saveexec_b64 s[2:3], s[14:15]
	s_cbranch_execz .LBB9_66
; %bb.65:
	v_lshrrev_b32_e32 v3, 4, v0
	v_and_b32_e32 v3, 60, v3
	ds_write_b32 v3, v2 offset:64
.LBB9_66:
	s_or_b64 exec, exec, s[2:3]
	s_waitcnt lgkmcnt(0)
	s_barrier
	s_and_saveexec_b64 s[8:9], s[16:17]
	s_cbranch_execz .LBB9_68
; %bb.67:
	v_lshlrev_b32_e32 v2, 2, v1
	ds_read_b32 v2, v2 offset:64
	v_and_b32_e32 v3, 15, v1
	v_cmp_ne_u32_e32 vcc, 15, v3
	v_addc_co_u32_e32 v4, vcc, 0, v1, vcc
	v_lshlrev_b32_e32 v4, 2, v4
	s_waitcnt lgkmcnt(0)
	ds_bpermute_b32 v4, v4, v2
	s_add_i32 s2, s50, 63
	s_lshr_b32 s4, s2, 6
	v_add_u32_e32 v5, 1, v3
	v_cmp_gt_u32_e64 s[2:3], 14, v3
	s_waitcnt lgkmcnt(0)
	v_cmp_lt_f32_e32 vcc, v2, v4
	v_cndmask_b32_e32 v4, v2, v4, vcc
	v_cmp_gt_u32_e32 vcc, s4, v5
	v_cndmask_b32_e64 v5, 0, 1, s[2:3]
	v_lshlrev_b32_e32 v5, 1, v5
	v_cndmask_b32_e32 v4, v2, v4, vcc
	v_add_lshl_u32 v5, v5, v1, 2
	ds_bpermute_b32 v5, v5, v4
	v_add_u32_e32 v6, 2, v3
	s_waitcnt lgkmcnt(0)
	v_cmp_lt_f32_e64 s[2:3], v4, v5
	v_cndmask_b32_e64 v5, v4, v5, s[2:3]
	v_cmp_gt_u32_e64 s[2:3], s4, v6
	v_cndmask_b32_e64 v4, v4, v5, s[2:3]
	v_cmp_gt_u32_e64 s[2:3], 12, v3
	v_cndmask_b32_e64 v5, 0, 1, s[2:3]
	v_lshlrev_b32_e32 v5, 2, v5
	v_add_lshl_u32 v5, v5, v1, 2
	ds_bpermute_b32 v5, v5, v4
	v_add_u32_e32 v6, 4, v3
	s_waitcnt lgkmcnt(0)
	v_cmp_lt_f32_e64 s[2:3], v4, v5
	v_cndmask_b32_e64 v5, v4, v5, s[2:3]
	v_cmp_gt_u32_e64 s[2:3], s4, v6
	v_cndmask_b32_e64 v4, v4, v5, s[2:3]
	v_cmp_gt_u32_e64 s[2:3], 8, v3
	v_cndmask_b32_e64 v5, 0, 1, s[2:3]
	v_lshlrev_b32_e32 v5, 3, v5
	v_add_lshl_u32 v1, v5, v1, 2
	ds_bpermute_b32 v1, v1, v4
	v_add_u32_e32 v3, 8, v3
	v_cmp_gt_u32_e64 s[2:3], s4, v3
	s_waitcnt lgkmcnt(0)
	v_cmp_lt_f32_e64 s[4:5], v4, v1
	s_and_b64 s[2:3], s[2:3], s[4:5]
	v_cndmask_b32_e64 v1, v4, v1, s[2:3]
	v_cndmask_b32_e32 v2, v2, v1, vcc
.LBB9_68:
	s_or_b64 exec, exec, s[8:9]
	s_and_saveexec_b64 s[2:3], s[18:19]
	s_cbranch_execz .LBB9_72
; %bb.69:
	s_cmp_eq_u64 s[22:23], 0
	s_cbranch_scc1 .LBB9_71
; %bb.70:
	s_load_dword s4, s[22:23], 0x0
	v_max_f32_e32 v1, v2, v2
	s_waitcnt lgkmcnt(0)
	v_max_f32_e64 v2, s4, s4
	v_min_f32_e32 v2, v1, v2
.LBB9_71:
	s_mov_b32 s8, 0x43e00000
	v_div_scale_f32 v1, s[4:5], s8, s8, v2
	v_rcp_f32_e32 v3, v1
	v_div_scale_f32 v4, vcc, v2, s8, v2
	s_lshl_b64 s[4:5], s[6:7], 2
	v_fma_f32 v5, -v1, v3, 1.0
	v_fmac_f32_e32 v3, v5, v3
	v_mul_f32_e32 v5, v4, v3
	v_fma_f32 v6, -v1, v5, v4
	v_fmac_f32_e32 v5, v6, v3
	v_fma_f32 v1, -v1, v5, v4
	v_div_fmas_f32 v1, v1, v3, v5
	v_div_fixup_f32 v1, v1, s8, v2
	s_add_u32 s4, s26, s4
	v_max_f32_e32 v1, 0x36924925, v1
	v_mov_b32_e32 v2, 0
	s_addc_u32 s5, s27, s5
	ds_write_b32 v2, v1 offset:260
	global_store_dword v2, v1, s[4:5]
.LBB9_72:
	s_or_b64 exec, exec, s[2:3]
	s_waitcnt lgkmcnt(0)
	s_barrier
	s_and_saveexec_b64 s[2:3], s[0:1]
	s_cbranch_execz .LBB9_177
; %bb.73:
	v_mov_b32_e32 v1, 0
	ds_read_b32 v11, v1 offset:260
	s_ashr_i32 s0, s37, 31
	s_mul_hi_u32 s1, s37, s6
	s_mul_i32 s0, s0, s6
	s_add_i32 s1, s1, s0
	s_mul_i32 s0, s37, s6
	s_add_u32 s12, s24, s0
	s_addc_u32 s13, s25, s1
	s_mul_i32 s14, s50, 3
	s_lshl_b32 s15, s50, 1
	s_mov_b64 s[0:1], 0
	v_mov_b32_e32 v12, s48
	v_mov_b32_e32 v13, s31
	s_mov_b32 s16, 0x43f00000
	s_mov_b32 s17, 0x3c7fffff
	;; [unrolled: 1-line block ×4, first 2 shown]
	s_movk_i32 s20, 0x80
	s_movk_i32 s21, 0xff
	s_branch .LBB9_79
.LBB9_74:                               ;   in Loop: Header=BB9_79 Depth=1
	s_or_b64 exec, exec, s[10:11]
.LBB9_75:                               ;   in Loop: Header=BB9_79 Depth=1
	s_or_b64 exec, exec, s[8:9]
	v_lshlrev_b64 v[16:17], 2, v[0:1]
	v_and_b32_sdwa v7, v15, s20 dst_sel:DWORD dst_unused:UNUSED_PAD src0_sel:BYTE_3 src1_sel:DWORD
	v_mov_b32_e32 v0, s13
	v_add_co_u32_e32 v16, vcc, s12, v16
	v_and_b32_sdwa v4, v4, s20 dst_sel:DWORD dst_unused:UNUSED_PAD src0_sel:BYTE_3 src1_sel:DWORD
	v_addc_co_u32_e32 v17, vcc, v0, v17, vcc
	v_lshlrev_b32_e32 v0, 24, v6
	v_and_or_b32 v6, v14, s21, v7
	v_lshrrev_b32_e32 v9, 24, v9
	v_and_b32_e32 v5, 0x80000000, v5
	v_lshlrev_b32_e32 v6, 16, v6
	v_and_or_b32 v3, v3, s21, v4
	v_and_b32_e32 v4, 0xff, v8
	v_or3_b32 v0, v5, v0, v6
	v_lshlrev_b32_e32 v3, 8, v3
	v_and_or_b32 v4, v9, s20, v4
	s_add_i32 s8, s50, s50
	v_or3_b32 v0, v0, v3, v4
	s_add_i32 s8, s8, s50
	global_store_dword v[16:17], v0, off
	v_add_u32_e32 v0, s8, v2
	v_cmp_le_u32_e32 vcc, s49, v0
	s_orn2_b64 s[8:9], vcc, exec
.LBB9_76:                               ;   in Loop: Header=BB9_79 Depth=1
	s_or_b64 exec, exec, s[6:7]
	s_orn2_b64 s[6:7], s[8:9], exec
.LBB9_77:                               ;   in Loop: Header=BB9_79 Depth=1
	s_or_b64 exec, exec, s[4:5]
	s_orn2_b64 s[4:5], s[6:7], exec
.LBB9_78:                               ;   in Loop: Header=BB9_79 Depth=1
	s_or_b64 exec, exec, s[2:3]
	s_and_b64 s[2:3], exec, s[4:5]
	s_or_b64 s[0:1], s[2:3], s[0:1]
	s_andn2_b64 exec, exec, s[0:1]
	s_cbranch_execz .LBB9_177
.LBB9_79:                               ; =>This Inner Loop Header: Depth=1
	v_lshlrev_b64 v[4:5], 3, v[0:1]
	v_add_co_u32_e32 v2, vcc, s33, v4
	v_addc_co_u32_e32 v3, vcc, v12, v5, vcc
	v_add_co_u32_e32 v4, vcc, s30, v4
	global_load_dwordx2 v[2:3], v[2:3], off
	v_addc_co_u32_e32 v5, vcc, v13, v5, vcc
	global_load_dwordx2 v[4:5], v[4:5], off
	s_waitcnt vmcnt(1)
	v_fma_mixlo_f16 v6, v10, v2, 0 op_sel_hi:[0,1,0]
	s_waitcnt vmcnt(0)
	v_mul_f16_e32 v6, v4, v6
	v_cvt_f32_f16_e32 v7, v6
	v_mov_b32_e32 v6, 0x7f
	s_waitcnt lgkmcnt(0)
	v_div_scale_f32 v8, s[2:3], v11, v11, v7
	v_rcp_f32_e32 v9, v8
	v_div_scale_f32 v14, vcc, v7, v11, v7
	v_fma_f32 v15, -v8, v9, 1.0
	v_fmac_f32_e32 v9, v15, v9
	v_mul_f32_e32 v15, v14, v9
	v_fma_f32 v16, -v8, v15, v14
	v_fmac_f32_e32 v15, v16, v9
	v_fma_f32 v8, -v8, v15, v14
	v_div_fmas_f32 v8, v8, v9, v15
	v_div_fixup_f32 v7, v8, v11, v7
	v_min_f32_e32 v7, 0x43e00000, v7
	v_max_f32_e32 v8, 0xc3e00000, v7
	v_and_b32_e32 v9, 0x7fffffff, v8
	v_cmp_gt_u32_e32 vcc, s16, v9
	v_mov_b32_e32 v7, 0x7f
	s_and_saveexec_b64 s[2:3], vcc
	s_cbranch_execz .LBB9_85
; %bb.80:                               ;   in Loop: Header=BB9_79 Depth=1
	v_cmp_lt_u32_e32 vcc, s17, v9
                                        ; implicit-def: $vgpr7
	s_and_saveexec_b64 s[4:5], vcc
	s_xor_b64 s[4:5], exec, s[4:5]
; %bb.81:                               ;   in Loop: Header=BB9_79 Depth=1
	v_bfe_u32 v7, v8, 20, 1
	v_add3_u32 v7, v8, v7, s18
	v_lshrrev_b32_e32 v7, 20, v7
; %bb.82:                               ;   in Loop: Header=BB9_79 Depth=1
	s_andn2_saveexec_b64 s[4:5], s[4:5]
; %bb.83:                               ;   in Loop: Header=BB9_79 Depth=1
	v_add_f32_e64 v7, |v8|, s19
; %bb.84:                               ;   in Loop: Header=BB9_79 Depth=1
	s_or_b64 exec, exec, s[4:5]
.LBB9_85:                               ;   in Loop: Header=BB9_79 Depth=1
	s_or_b64 exec, exec, s[2:3]
	v_fma_mixlo_f16 v2, v10, v2, 0 op_sel:[0,1,0] op_sel_hi:[0,1,0]
	v_mul_f16_sdwa v2, v4, v2 dst_sel:DWORD dst_unused:UNUSED_PAD src0_sel:WORD_1 src1_sel:DWORD
	v_cvt_f32_f16_e32 v2, v2
	v_div_scale_f32 v4, s[2:3], v11, v11, v2
	v_rcp_f32_e32 v9, v4
	v_div_scale_f32 v14, vcc, v2, v11, v2
	v_fma_f32 v15, -v4, v9, 1.0
	v_fmac_f32_e32 v9, v15, v9
	v_mul_f32_e32 v15, v14, v9
	v_fma_f32 v16, -v4, v15, v14
	v_fmac_f32_e32 v15, v16, v9
	v_fma_f32 v4, -v4, v15, v14
	v_div_fmas_f32 v4, v4, v9, v15
	v_div_fixup_f32 v2, v4, v11, v2
	v_min_f32_e32 v2, 0x43e00000, v2
	v_max_f32_e32 v2, 0xc3e00000, v2
	v_and_b32_e32 v4, 0x7fffffff, v2
	v_cmp_gt_u32_e32 vcc, s16, v4
	s_and_saveexec_b64 s[2:3], vcc
	s_cbranch_execz .LBB9_91
; %bb.86:                               ;   in Loop: Header=BB9_79 Depth=1
	v_cmp_lt_u32_e32 vcc, s17, v4
                                        ; implicit-def: $vgpr6
	s_and_saveexec_b64 s[4:5], vcc
	s_xor_b64 s[4:5], exec, s[4:5]
; %bb.87:                               ;   in Loop: Header=BB9_79 Depth=1
	v_bfe_u32 v4, v2, 20, 1
	v_add3_u32 v4, v2, v4, s18
	v_lshrrev_b32_e32 v6, 20, v4
; %bb.88:                               ;   in Loop: Header=BB9_79 Depth=1
	s_andn2_saveexec_b64 s[4:5], s[4:5]
; %bb.89:                               ;   in Loop: Header=BB9_79 Depth=1
	v_add_f32_e64 v6, |v2|, s19
; %bb.90:                               ;   in Loop: Header=BB9_79 Depth=1
	s_or_b64 exec, exec, s[4:5]
.LBB9_91:                               ;   in Loop: Header=BB9_79 Depth=1
	s_or_b64 exec, exec, s[2:3]
	v_fma_mixlo_f16 v4, v10, v3, 0 op_sel_hi:[0,1,0]
	v_mul_f16_e32 v4, v5, v4
	v_cvt_f32_f16_e32 v9, v4
	v_mov_b32_e32 v4, 0x7f
	v_div_scale_f32 v14, s[2:3], v11, v11, v9
	v_rcp_f32_e32 v15, v14
	v_div_scale_f32 v16, vcc, v9, v11, v9
	v_fma_f32 v17, -v14, v15, 1.0
	v_fmac_f32_e32 v15, v17, v15
	v_mul_f32_e32 v17, v16, v15
	v_fma_f32 v18, -v14, v17, v16
	v_fmac_f32_e32 v17, v18, v15
	v_fma_f32 v14, -v14, v17, v16
	v_div_fmas_f32 v14, v14, v15, v17
	v_div_fixup_f32 v9, v14, v11, v9
	v_min_f32_e32 v9, 0x43e00000, v9
	v_max_f32_e32 v14, 0xc3e00000, v9
	v_and_b32_e32 v15, 0x7fffffff, v14
	v_cmp_gt_u32_e32 vcc, s16, v15
	v_mov_b32_e32 v9, 0x7f
	s_and_saveexec_b64 s[2:3], vcc
	s_cbranch_execz .LBB9_97
; %bb.92:                               ;   in Loop: Header=BB9_79 Depth=1
	v_cmp_lt_u32_e32 vcc, s17, v15
                                        ; implicit-def: $vgpr9
	s_and_saveexec_b64 s[4:5], vcc
	s_xor_b64 s[4:5], exec, s[4:5]
; %bb.93:                               ;   in Loop: Header=BB9_79 Depth=1
	v_bfe_u32 v9, v14, 20, 1
	v_add3_u32 v9, v14, v9, s18
	v_lshrrev_b32_e32 v9, 20, v9
; %bb.94:                               ;   in Loop: Header=BB9_79 Depth=1
	s_andn2_saveexec_b64 s[4:5], s[4:5]
; %bb.95:                               ;   in Loop: Header=BB9_79 Depth=1
	v_add_f32_e64 v9, |v14|, s19
; %bb.96:                               ;   in Loop: Header=BB9_79 Depth=1
	s_or_b64 exec, exec, s[4:5]
.LBB9_97:                               ;   in Loop: Header=BB9_79 Depth=1
	s_or_b64 exec, exec, s[2:3]
	v_fma_mixlo_f16 v3, v10, v3, 0 op_sel:[0,1,0] op_sel_hi:[0,1,0]
	v_mul_f16_sdwa v3, v5, v3 dst_sel:DWORD dst_unused:UNUSED_PAD src0_sel:WORD_1 src1_sel:DWORD
	v_cvt_f32_f16_e32 v3, v3
	v_div_scale_f32 v5, s[2:3], v11, v11, v3
	v_rcp_f32_e32 v15, v5
	v_div_scale_f32 v16, vcc, v3, v11, v3
	v_fma_f32 v17, -v5, v15, 1.0
	v_fmac_f32_e32 v15, v17, v15
	v_mul_f32_e32 v17, v16, v15
	v_fma_f32 v18, -v5, v17, v16
	v_fmac_f32_e32 v17, v18, v15
	v_fma_f32 v5, -v5, v17, v16
	v_div_fmas_f32 v5, v5, v15, v17
	v_div_fixup_f32 v3, v5, v11, v3
	v_min_f32_e32 v3, 0x43e00000, v3
	v_max_f32_e32 v3, 0xc3e00000, v3
	v_and_b32_e32 v5, 0x7fffffff, v3
	v_cmp_gt_u32_e32 vcc, s16, v5
	s_and_saveexec_b64 s[2:3], vcc
	s_cbranch_execz .LBB9_103
; %bb.98:                               ;   in Loop: Header=BB9_79 Depth=1
	v_cmp_lt_u32_e32 vcc, s17, v5
                                        ; implicit-def: $vgpr4
	s_and_saveexec_b64 s[4:5], vcc
	s_xor_b64 s[4:5], exec, s[4:5]
; %bb.99:                               ;   in Loop: Header=BB9_79 Depth=1
	v_bfe_u32 v4, v3, 20, 1
	v_add3_u32 v4, v3, v4, s18
	v_lshrrev_b32_e32 v4, 20, v4
; %bb.100:                              ;   in Loop: Header=BB9_79 Depth=1
	s_andn2_saveexec_b64 s[4:5], s[4:5]
; %bb.101:                              ;   in Loop: Header=BB9_79 Depth=1
	v_add_f32_e64 v4, |v3|, s19
; %bb.102:                              ;   in Loop: Header=BB9_79 Depth=1
	s_or_b64 exec, exec, s[4:5]
.LBB9_103:                              ;   in Loop: Header=BB9_79 Depth=1
	s_or_b64 exec, exec, s[2:3]
	v_and_b32_sdwa v5, v14, s20 dst_sel:DWORD dst_unused:UNUSED_PAD src0_sel:BYTE_3 src1_sel:DWORD
	v_and_or_b32 v5, v9, s21, v5
	v_and_b32_sdwa v2, v2, s20 dst_sel:DWORD dst_unused:UNUSED_PAD src0_sel:BYTE_3 src1_sel:DWORD
	v_lshlrev_b32_e32 v4, 24, v4
	v_and_b32_e32 v3, 0x80000000, v3
	v_lshlrev_b32_e32 v5, 16, v5
	v_lshrrev_b32_e32 v8, 24, v8
	v_lshlrev_b64 v[14:15], 2, v[0:1]
	v_or3_b32 v3, v3, v4, v5
	v_and_or_b32 v2, v6, s21, v2
	v_and_b32_e32 v4, 0xff, v7
	v_mov_b32_e32 v16, s13
	v_add_co_u32_e32 v14, vcc, s12, v14
	v_lshlrev_b32_e32 v2, 8, v2
	v_and_or_b32 v4, v8, s20, v4
	v_addc_co_u32_e32 v15, vcc, v16, v15, vcc
	v_or3_b32 v2, v3, v2, v4
	global_store_dword v[14:15], v2, off
	v_add_u32_e32 v2, s50, v0
	v_cmp_gt_u32_e32 vcc, s49, v2
	s_mov_b64 s[4:5], -1
	s_and_saveexec_b64 s[2:3], vcc
	s_cbranch_execz .LBB9_78
; %bb.104:                              ;   in Loop: Header=BB9_79 Depth=1
	v_mov_b32_e32 v3, v1
	v_lshlrev_b64 v[6:7], 3, v[2:3]
	v_mov_b32_e32 v5, s48
	v_add_co_u32_e32 v4, vcc, s33, v6
	v_addc_co_u32_e32 v5, vcc, v5, v7, vcc
	v_mov_b32_e32 v8, s31
	v_add_co_u32_e32 v6, vcc, s30, v6
	global_load_dwordx2 v[4:5], v[4:5], off
	v_addc_co_u32_e32 v7, vcc, v8, v7, vcc
	global_load_dwordx2 v[6:7], v[6:7], off
	s_waitcnt vmcnt(1)
	v_fma_mixlo_f16 v8, v10, v4, 0 op_sel_hi:[0,1,0]
	s_waitcnt vmcnt(0)
	v_mul_f16_e32 v8, v6, v8
	v_cvt_f32_f16_e32 v9, v8
	v_mov_b32_e32 v8, 0x7f
	v_div_scale_f32 v14, s[4:5], v11, v11, v9
	v_rcp_f32_e32 v15, v14
	v_div_scale_f32 v16, vcc, v9, v11, v9
	v_fma_f32 v17, -v14, v15, 1.0
	v_fmac_f32_e32 v15, v17, v15
	v_mul_f32_e32 v17, v16, v15
	v_fma_f32 v18, -v14, v17, v16
	v_fmac_f32_e32 v17, v18, v15
	v_fma_f32 v14, -v14, v17, v16
	v_div_fmas_f32 v14, v14, v15, v17
	v_div_fixup_f32 v9, v14, v11, v9
	v_min_f32_e32 v9, 0x43e00000, v9
	v_max_f32_e32 v14, 0xc3e00000, v9
	v_and_b32_e32 v15, 0x7fffffff, v14
	v_cmp_gt_u32_e32 vcc, s16, v15
	v_mov_b32_e32 v9, 0x7f
	s_and_saveexec_b64 s[4:5], vcc
	s_cbranch_execz .LBB9_110
; %bb.105:                              ;   in Loop: Header=BB9_79 Depth=1
	v_cmp_lt_u32_e32 vcc, s17, v15
                                        ; implicit-def: $vgpr9
	s_and_saveexec_b64 s[6:7], vcc
	s_xor_b64 s[6:7], exec, s[6:7]
; %bb.106:                              ;   in Loop: Header=BB9_79 Depth=1
	v_bfe_u32 v9, v14, 20, 1
	v_add3_u32 v9, v14, v9, s18
	v_lshrrev_b32_e32 v9, 20, v9
; %bb.107:                              ;   in Loop: Header=BB9_79 Depth=1
	s_andn2_saveexec_b64 s[6:7], s[6:7]
; %bb.108:                              ;   in Loop: Header=BB9_79 Depth=1
	v_add_f32_e64 v9, |v14|, s19
; %bb.109:                              ;   in Loop: Header=BB9_79 Depth=1
	s_or_b64 exec, exec, s[6:7]
.LBB9_110:                              ;   in Loop: Header=BB9_79 Depth=1
	s_or_b64 exec, exec, s[4:5]
	v_fma_mixlo_f16 v4, v10, v4, 0 op_sel:[0,1,0] op_sel_hi:[0,1,0]
	v_mul_f16_sdwa v4, v6, v4 dst_sel:DWORD dst_unused:UNUSED_PAD src0_sel:WORD_1 src1_sel:DWORD
	v_cvt_f32_f16_e32 v4, v4
	v_div_scale_f32 v6, s[4:5], v11, v11, v4
	v_rcp_f32_e32 v15, v6
	v_div_scale_f32 v16, vcc, v4, v11, v4
	v_fma_f32 v17, -v6, v15, 1.0
	v_fmac_f32_e32 v15, v17, v15
	v_mul_f32_e32 v17, v16, v15
	v_fma_f32 v18, -v6, v17, v16
	v_fmac_f32_e32 v17, v18, v15
	v_fma_f32 v6, -v6, v17, v16
	v_div_fmas_f32 v6, v6, v15, v17
	v_div_fixup_f32 v4, v6, v11, v4
	v_min_f32_e32 v4, 0x43e00000, v4
	v_max_f32_e32 v4, 0xc3e00000, v4
	v_and_b32_e32 v6, 0x7fffffff, v4
	v_cmp_gt_u32_e32 vcc, s16, v6
	s_and_saveexec_b64 s[4:5], vcc
	s_cbranch_execz .LBB9_116
; %bb.111:                              ;   in Loop: Header=BB9_79 Depth=1
	v_cmp_lt_u32_e32 vcc, s17, v6
                                        ; implicit-def: $vgpr8
	s_and_saveexec_b64 s[6:7], vcc
	s_xor_b64 s[6:7], exec, s[6:7]
; %bb.112:                              ;   in Loop: Header=BB9_79 Depth=1
	v_bfe_u32 v6, v4, 20, 1
	v_add3_u32 v6, v4, v6, s18
	v_lshrrev_b32_e32 v8, 20, v6
; %bb.113:                              ;   in Loop: Header=BB9_79 Depth=1
	s_andn2_saveexec_b64 s[6:7], s[6:7]
; %bb.114:                              ;   in Loop: Header=BB9_79 Depth=1
	v_add_f32_e64 v8, |v4|, s19
; %bb.115:                              ;   in Loop: Header=BB9_79 Depth=1
	s_or_b64 exec, exec, s[6:7]
.LBB9_116:                              ;   in Loop: Header=BB9_79 Depth=1
	s_or_b64 exec, exec, s[4:5]
	v_fma_mixlo_f16 v6, v10, v5, 0 op_sel_hi:[0,1,0]
	v_mul_f16_e32 v6, v7, v6
	v_cvt_f32_f16_e32 v15, v6
	v_mov_b32_e32 v6, 0x7f
	v_div_scale_f32 v16, s[4:5], v11, v11, v15
	v_rcp_f32_e32 v17, v16
	v_div_scale_f32 v18, vcc, v15, v11, v15
	v_fma_f32 v19, -v16, v17, 1.0
	v_fmac_f32_e32 v17, v19, v17
	v_mul_f32_e32 v19, v18, v17
	v_fma_f32 v20, -v16, v19, v18
	v_fmac_f32_e32 v19, v20, v17
	v_fma_f32 v16, -v16, v19, v18
	v_div_fmas_f32 v16, v16, v17, v19
	v_div_fixup_f32 v15, v16, v11, v15
	v_min_f32_e32 v15, 0x43e00000, v15
	v_max_f32_e32 v16, 0xc3e00000, v15
	v_and_b32_e32 v17, 0x7fffffff, v16
	v_cmp_gt_u32_e32 vcc, s16, v17
	v_mov_b32_e32 v15, 0x7f
	s_and_saveexec_b64 s[4:5], vcc
	s_cbranch_execz .LBB9_122
; %bb.117:                              ;   in Loop: Header=BB9_79 Depth=1
	v_cmp_lt_u32_e32 vcc, s17, v17
                                        ; implicit-def: $vgpr15
	s_and_saveexec_b64 s[6:7], vcc
	s_xor_b64 s[6:7], exec, s[6:7]
; %bb.118:                              ;   in Loop: Header=BB9_79 Depth=1
	v_bfe_u32 v15, v16, 20, 1
	v_add3_u32 v15, v16, v15, s18
	v_lshrrev_b32_e32 v15, 20, v15
; %bb.119:                              ;   in Loop: Header=BB9_79 Depth=1
	s_andn2_saveexec_b64 s[6:7], s[6:7]
; %bb.120:                              ;   in Loop: Header=BB9_79 Depth=1
	v_add_f32_e64 v15, |v16|, s19
; %bb.121:                              ;   in Loop: Header=BB9_79 Depth=1
	s_or_b64 exec, exec, s[6:7]
.LBB9_122:                              ;   in Loop: Header=BB9_79 Depth=1
	s_or_b64 exec, exec, s[4:5]
	v_fma_mixlo_f16 v5, v10, v5, 0 op_sel:[0,1,0] op_sel_hi:[0,1,0]
	v_mul_f16_sdwa v5, v7, v5 dst_sel:DWORD dst_unused:UNUSED_PAD src0_sel:WORD_1 src1_sel:DWORD
	v_cvt_f32_f16_e32 v5, v5
	v_div_scale_f32 v7, s[4:5], v11, v11, v5
	v_rcp_f32_e32 v17, v7
	v_div_scale_f32 v18, vcc, v5, v11, v5
	v_fma_f32 v19, -v7, v17, 1.0
	v_fmac_f32_e32 v17, v19, v17
	v_mul_f32_e32 v19, v18, v17
	v_fma_f32 v20, -v7, v19, v18
	v_fmac_f32_e32 v19, v20, v17
	v_fma_f32 v7, -v7, v19, v18
	v_div_fmas_f32 v7, v7, v17, v19
	v_div_fixup_f32 v5, v7, v11, v5
	v_min_f32_e32 v5, 0x43e00000, v5
	v_max_f32_e32 v5, 0xc3e00000, v5
	v_and_b32_e32 v7, 0x7fffffff, v5
	v_cmp_gt_u32_e32 vcc, s16, v7
	s_and_saveexec_b64 s[4:5], vcc
	s_cbranch_execz .LBB9_128
; %bb.123:                              ;   in Loop: Header=BB9_79 Depth=1
	v_cmp_lt_u32_e32 vcc, s17, v7
                                        ; implicit-def: $vgpr6
	s_and_saveexec_b64 s[6:7], vcc
	s_xor_b64 s[6:7], exec, s[6:7]
; %bb.124:                              ;   in Loop: Header=BB9_79 Depth=1
	v_bfe_u32 v6, v5, 20, 1
	v_add3_u32 v6, v5, v6, s18
	v_lshrrev_b32_e32 v6, 20, v6
; %bb.125:                              ;   in Loop: Header=BB9_79 Depth=1
	s_andn2_saveexec_b64 s[6:7], s[6:7]
; %bb.126:                              ;   in Loop: Header=BB9_79 Depth=1
	v_add_f32_e64 v6, |v5|, s19
; %bb.127:                              ;   in Loop: Header=BB9_79 Depth=1
	s_or_b64 exec, exec, s[6:7]
.LBB9_128:                              ;   in Loop: Header=BB9_79 Depth=1
	s_or_b64 exec, exec, s[4:5]
	v_and_b32_sdwa v7, v16, s20 dst_sel:DWORD dst_unused:UNUSED_PAD src0_sel:BYTE_3 src1_sel:DWORD
	v_lshlrev_b64 v[16:17], 2, v[2:3]
	v_mov_b32_e32 v3, s13
	v_add_co_u32_e32 v16, vcc, s12, v16
	v_addc_co_u32_e32 v17, vcc, v3, v17, vcc
	v_lshlrev_b32_e32 v3, 24, v6
	v_and_or_b32 v6, v15, s21, v7
	v_and_b32_sdwa v4, v4, s20 dst_sel:DWORD dst_unused:UNUSED_PAD src0_sel:BYTE_3 src1_sel:DWORD
	v_and_b32_e32 v5, 0x80000000, v5
	v_lshlrev_b32_e32 v6, 16, v6
	v_lshrrev_b32_e32 v14, 24, v14
	v_or3_b32 v3, v5, v3, v6
	v_and_or_b32 v4, v8, s21, v4
	v_and_b32_e32 v5, 0xff, v9
	v_lshlrev_b32_e32 v4, 8, v4
	v_and_or_b32 v5, v14, s20, v5
	v_or3_b32 v3, v3, v4, v5
	v_add_u32_e32 v4, s15, v0
	v_cmp_gt_u32_e32 vcc, s49, v4
	s_mov_b64 s[6:7], -1
	global_store_dword v[16:17], v3, off
	s_and_saveexec_b64 s[4:5], vcc
	s_cbranch_execz .LBB9_77
; %bb.129:                              ;   in Loop: Header=BB9_79 Depth=1
	v_mov_b32_e32 v5, v1
	v_lshlrev_b64 v[8:9], 3, v[4:5]
	v_mov_b32_e32 v3, s48
	v_add_co_u32_e32 v6, vcc, s33, v8
	v_addc_co_u32_e32 v7, vcc, v3, v9, vcc
	v_mov_b32_e32 v3, s31
	v_add_co_u32_e32 v8, vcc, s30, v8
	global_load_dwordx2 v[6:7], v[6:7], off
	v_addc_co_u32_e32 v9, vcc, v3, v9, vcc
	global_load_dwordx2 v[8:9], v[8:9], off
	s_waitcnt vmcnt(1)
	v_fma_mixlo_f16 v3, v10, v6, 0 op_sel_hi:[0,1,0]
	s_waitcnt vmcnt(0)
	v_mul_f16_e32 v3, v8, v3
	v_cvt_f32_f16_e32 v14, v3
	v_mov_b32_e32 v3, 0x7f
	v_div_scale_f32 v15, s[6:7], v11, v11, v14
	v_rcp_f32_e32 v16, v15
	v_div_scale_f32 v17, vcc, v14, v11, v14
	v_fma_f32 v18, -v15, v16, 1.0
	v_fmac_f32_e32 v16, v18, v16
	v_mul_f32_e32 v18, v17, v16
	v_fma_f32 v19, -v15, v18, v17
	v_fmac_f32_e32 v18, v19, v16
	v_fma_f32 v15, -v15, v18, v17
	v_div_fmas_f32 v15, v15, v16, v18
	v_div_fixup_f32 v14, v15, v11, v14
	v_min_f32_e32 v14, 0x43e00000, v14
	v_max_f32_e32 v15, 0xc3e00000, v14
	v_and_b32_e32 v16, 0x7fffffff, v15
	v_cmp_gt_u32_e32 vcc, s16, v16
	v_mov_b32_e32 v14, 0x7f
	s_and_saveexec_b64 s[6:7], vcc
	s_cbranch_execz .LBB9_135
; %bb.130:                              ;   in Loop: Header=BB9_79 Depth=1
	v_cmp_lt_u32_e32 vcc, s17, v16
                                        ; implicit-def: $vgpr14
	s_and_saveexec_b64 s[8:9], vcc
	s_xor_b64 s[8:9], exec, s[8:9]
; %bb.131:                              ;   in Loop: Header=BB9_79 Depth=1
	v_bfe_u32 v14, v15, 20, 1
	v_add3_u32 v14, v15, v14, s18
	v_lshrrev_b32_e32 v14, 20, v14
; %bb.132:                              ;   in Loop: Header=BB9_79 Depth=1
	s_andn2_saveexec_b64 s[8:9], s[8:9]
; %bb.133:                              ;   in Loop: Header=BB9_79 Depth=1
	v_add_f32_e64 v14, |v15|, s19
; %bb.134:                              ;   in Loop: Header=BB9_79 Depth=1
	s_or_b64 exec, exec, s[8:9]
.LBB9_135:                              ;   in Loop: Header=BB9_79 Depth=1
	s_or_b64 exec, exec, s[6:7]
	v_fma_mixlo_f16 v6, v10, v6, 0 op_sel:[0,1,0] op_sel_hi:[0,1,0]
	v_mul_f16_sdwa v6, v8, v6 dst_sel:DWORD dst_unused:UNUSED_PAD src0_sel:WORD_1 src1_sel:DWORD
	v_cvt_f32_f16_e32 v6, v6
	v_div_scale_f32 v8, s[6:7], v11, v11, v6
	v_rcp_f32_e32 v16, v8
	v_div_scale_f32 v17, vcc, v6, v11, v6
	v_fma_f32 v18, -v8, v16, 1.0
	v_fmac_f32_e32 v16, v18, v16
	v_mul_f32_e32 v18, v17, v16
	v_fma_f32 v19, -v8, v18, v17
	v_fmac_f32_e32 v18, v19, v16
	v_fma_f32 v8, -v8, v18, v17
	v_div_fmas_f32 v8, v8, v16, v18
	v_div_fixup_f32 v6, v8, v11, v6
	v_min_f32_e32 v6, 0x43e00000, v6
	v_max_f32_e32 v6, 0xc3e00000, v6
	v_and_b32_e32 v8, 0x7fffffff, v6
	v_cmp_gt_u32_e32 vcc, s16, v8
	s_and_saveexec_b64 s[6:7], vcc
	s_cbranch_execz .LBB9_141
; %bb.136:                              ;   in Loop: Header=BB9_79 Depth=1
	v_cmp_lt_u32_e32 vcc, s17, v8
                                        ; implicit-def: $vgpr3
	s_and_saveexec_b64 s[8:9], vcc
	s_xor_b64 s[8:9], exec, s[8:9]
; %bb.137:                              ;   in Loop: Header=BB9_79 Depth=1
	v_bfe_u32 v3, v6, 20, 1
	v_add3_u32 v3, v6, v3, s18
	v_lshrrev_b32_e32 v3, 20, v3
; %bb.138:                              ;   in Loop: Header=BB9_79 Depth=1
	s_andn2_saveexec_b64 s[8:9], s[8:9]
; %bb.139:                              ;   in Loop: Header=BB9_79 Depth=1
	v_add_f32_e64 v3, |v6|, s19
; %bb.140:                              ;   in Loop: Header=BB9_79 Depth=1
	s_or_b64 exec, exec, s[8:9]
.LBB9_141:                              ;   in Loop: Header=BB9_79 Depth=1
	s_or_b64 exec, exec, s[6:7]
	v_fma_mixlo_f16 v8, v10, v7, 0 op_sel_hi:[0,1,0]
	v_mul_f16_e32 v8, v9, v8
	v_cvt_f32_f16_e32 v16, v8
	v_mov_b32_e32 v8, 0x7f
	v_div_scale_f32 v17, s[6:7], v11, v11, v16
	v_rcp_f32_e32 v18, v17
	v_div_scale_f32 v19, vcc, v16, v11, v16
	v_fma_f32 v20, -v17, v18, 1.0
	v_fmac_f32_e32 v18, v20, v18
	v_mul_f32_e32 v20, v19, v18
	v_fma_f32 v21, -v17, v20, v19
	v_fmac_f32_e32 v20, v21, v18
	v_fma_f32 v17, -v17, v20, v19
	v_div_fmas_f32 v17, v17, v18, v20
	v_div_fixup_f32 v16, v17, v11, v16
	v_min_f32_e32 v16, 0x43e00000, v16
	v_max_f32_e32 v17, 0xc3e00000, v16
	v_and_b32_e32 v18, 0x7fffffff, v17
	v_cmp_gt_u32_e32 vcc, s16, v18
	v_mov_b32_e32 v16, 0x7f
	s_and_saveexec_b64 s[6:7], vcc
	s_cbranch_execz .LBB9_147
; %bb.142:                              ;   in Loop: Header=BB9_79 Depth=1
	v_cmp_lt_u32_e32 vcc, s17, v18
                                        ; implicit-def: $vgpr16
	s_and_saveexec_b64 s[8:9], vcc
	s_xor_b64 s[8:9], exec, s[8:9]
; %bb.143:                              ;   in Loop: Header=BB9_79 Depth=1
	v_bfe_u32 v16, v17, 20, 1
	v_add3_u32 v16, v17, v16, s18
	v_lshrrev_b32_e32 v16, 20, v16
; %bb.144:                              ;   in Loop: Header=BB9_79 Depth=1
	s_andn2_saveexec_b64 s[8:9], s[8:9]
; %bb.145:                              ;   in Loop: Header=BB9_79 Depth=1
	v_add_f32_e64 v16, |v17|, s19
; %bb.146:                              ;   in Loop: Header=BB9_79 Depth=1
	s_or_b64 exec, exec, s[8:9]
.LBB9_147:                              ;   in Loop: Header=BB9_79 Depth=1
	s_or_b64 exec, exec, s[6:7]
	v_fma_mixlo_f16 v7, v10, v7, 0 op_sel:[0,1,0] op_sel_hi:[0,1,0]
	v_mul_f16_sdwa v7, v9, v7 dst_sel:DWORD dst_unused:UNUSED_PAD src0_sel:WORD_1 src1_sel:DWORD
	v_cvt_f32_f16_e32 v7, v7
	v_div_scale_f32 v9, s[6:7], v11, v11, v7
	v_rcp_f32_e32 v18, v9
	v_div_scale_f32 v19, vcc, v7, v11, v7
	v_fma_f32 v20, -v9, v18, 1.0
	v_fmac_f32_e32 v18, v20, v18
	v_mul_f32_e32 v20, v19, v18
	v_fma_f32 v21, -v9, v20, v19
	v_fmac_f32_e32 v20, v21, v18
	v_fma_f32 v9, -v9, v20, v19
	v_div_fmas_f32 v9, v9, v18, v20
	v_div_fixup_f32 v7, v9, v11, v7
	v_min_f32_e32 v7, 0x43e00000, v7
	v_max_f32_e32 v7, 0xc3e00000, v7
	v_and_b32_e32 v9, 0x7fffffff, v7
	v_cmp_gt_u32_e32 vcc, s16, v9
	s_and_saveexec_b64 s[6:7], vcc
	s_cbranch_execz .LBB9_153
; %bb.148:                              ;   in Loop: Header=BB9_79 Depth=1
	v_cmp_lt_u32_e32 vcc, s17, v9
                                        ; implicit-def: $vgpr8
	s_and_saveexec_b64 s[8:9], vcc
	s_xor_b64 s[8:9], exec, s[8:9]
; %bb.149:                              ;   in Loop: Header=BB9_79 Depth=1
	v_bfe_u32 v8, v7, 20, 1
	v_add3_u32 v8, v7, v8, s18
	v_lshrrev_b32_e32 v8, 20, v8
; %bb.150:                              ;   in Loop: Header=BB9_79 Depth=1
	s_andn2_saveexec_b64 s[8:9], s[8:9]
; %bb.151:                              ;   in Loop: Header=BB9_79 Depth=1
	v_add_f32_e64 v8, |v7|, s19
; %bb.152:                              ;   in Loop: Header=BB9_79 Depth=1
	s_or_b64 exec, exec, s[8:9]
.LBB9_153:                              ;   in Loop: Header=BB9_79 Depth=1
	s_or_b64 exec, exec, s[6:7]
	v_and_b32_sdwa v9, v17, s20 dst_sel:DWORD dst_unused:UNUSED_PAD src0_sel:BYTE_3 src1_sel:DWORD
	v_and_b32_sdwa v6, v6, s20 dst_sel:DWORD dst_unused:UNUSED_PAD src0_sel:BYTE_3 src1_sel:DWORD
	v_lshlrev_b64 v[4:5], 2, v[4:5]
	v_and_or_b32 v9, v16, s21, v9
	v_lshrrev_b32_e32 v15, 24, v15
	v_mov_b32_e32 v17, s13
	v_add_co_u32_e32 v4, vcc, s12, v4
	v_lshlrev_b32_e32 v8, 24, v8
	v_and_b32_e32 v7, 0x80000000, v7
	v_lshlrev_b32_e32 v9, 16, v9
	v_and_or_b32 v3, v3, s21, v6
	v_and_b32_e32 v6, 0xff, v14
	v_addc_co_u32_e32 v5, vcc, v17, v5, vcc
	v_or3_b32 v7, v7, v8, v9
	v_lshlrev_b32_e32 v3, 8, v3
	v_and_or_b32 v6, v15, s20, v6
	v_add_u32_e32 v0, s14, v0
	v_or3_b32 v3, v7, v3, v6
	v_cmp_gt_u32_e32 vcc, s49, v0
	s_mov_b64 s[8:9], -1
	global_store_dword v[4:5], v3, off
	s_and_saveexec_b64 s[6:7], vcc
	s_cbranch_execz .LBB9_76
; %bb.154:                              ;   in Loop: Header=BB9_79 Depth=1
	v_lshlrev_b64 v[6:7], 3, v[0:1]
	v_mov_b32_e32 v3, s48
	v_add_co_u32_e32 v4, vcc, s33, v6
	v_addc_co_u32_e32 v5, vcc, v3, v7, vcc
	v_mov_b32_e32 v3, s31
	v_add_co_u32_e32 v6, vcc, s30, v6
	global_load_dwordx2 v[4:5], v[4:5], off
	v_addc_co_u32_e32 v7, vcc, v3, v7, vcc
	global_load_dwordx2 v[6:7], v[6:7], off
	s_waitcnt vmcnt(1)
	v_fma_mixlo_f16 v3, v10, v4, 0 op_sel_hi:[0,1,0]
	s_waitcnt vmcnt(0)
	v_mul_f16_e32 v3, v6, v3
	v_cvt_f32_f16_e32 v8, v3
	v_mov_b32_e32 v3, 0x7f
	v_div_scale_f32 v9, s[8:9], v11, v11, v8
	v_rcp_f32_e32 v14, v9
	v_div_scale_f32 v15, vcc, v8, v11, v8
	v_fma_f32 v16, -v9, v14, 1.0
	v_fmac_f32_e32 v14, v16, v14
	v_mul_f32_e32 v16, v15, v14
	v_fma_f32 v17, -v9, v16, v15
	v_fmac_f32_e32 v16, v17, v14
	v_fma_f32 v9, -v9, v16, v15
	v_div_fmas_f32 v9, v9, v14, v16
	v_div_fixup_f32 v8, v9, v11, v8
	v_min_f32_e32 v8, 0x43e00000, v8
	v_max_f32_e32 v9, 0xc3e00000, v8
	v_and_b32_e32 v14, 0x7fffffff, v9
	v_cmp_gt_u32_e32 vcc, s16, v14
	v_mov_b32_e32 v8, 0x7f
	s_and_saveexec_b64 s[8:9], vcc
	s_cbranch_execz .LBB9_160
; %bb.155:                              ;   in Loop: Header=BB9_79 Depth=1
	v_cmp_lt_u32_e32 vcc, s17, v14
                                        ; implicit-def: $vgpr8
	s_and_saveexec_b64 s[10:11], vcc
	s_xor_b64 s[10:11], exec, s[10:11]
; %bb.156:                              ;   in Loop: Header=BB9_79 Depth=1
	v_bfe_u32 v8, v9, 20, 1
	v_add3_u32 v8, v9, v8, s18
	v_lshrrev_b32_e32 v8, 20, v8
; %bb.157:                              ;   in Loop: Header=BB9_79 Depth=1
	s_andn2_saveexec_b64 s[10:11], s[10:11]
; %bb.158:                              ;   in Loop: Header=BB9_79 Depth=1
	v_add_f32_e64 v8, |v9|, s19
; %bb.159:                              ;   in Loop: Header=BB9_79 Depth=1
	s_or_b64 exec, exec, s[10:11]
.LBB9_160:                              ;   in Loop: Header=BB9_79 Depth=1
	s_or_b64 exec, exec, s[8:9]
	v_fma_mixlo_f16 v4, v10, v4, 0 op_sel:[0,1,0] op_sel_hi:[0,1,0]
	v_mul_f16_sdwa v4, v6, v4 dst_sel:DWORD dst_unused:UNUSED_PAD src0_sel:WORD_1 src1_sel:DWORD
	v_cvt_f32_f16_e32 v4, v4
	v_div_scale_f32 v6, s[8:9], v11, v11, v4
	v_rcp_f32_e32 v14, v6
	v_div_scale_f32 v15, vcc, v4, v11, v4
	v_fma_f32 v16, -v6, v14, 1.0
	v_fmac_f32_e32 v14, v16, v14
	v_mul_f32_e32 v16, v15, v14
	v_fma_f32 v17, -v6, v16, v15
	v_fmac_f32_e32 v16, v17, v14
	v_fma_f32 v6, -v6, v16, v15
	v_div_fmas_f32 v6, v6, v14, v16
	v_div_fixup_f32 v4, v6, v11, v4
	v_min_f32_e32 v4, 0x43e00000, v4
	v_max_f32_e32 v4, 0xc3e00000, v4
	v_and_b32_e32 v6, 0x7fffffff, v4
	v_cmp_gt_u32_e32 vcc, s16, v6
	s_and_saveexec_b64 s[8:9], vcc
	s_cbranch_execz .LBB9_166
; %bb.161:                              ;   in Loop: Header=BB9_79 Depth=1
	v_cmp_lt_u32_e32 vcc, s17, v6
                                        ; implicit-def: $vgpr3
	s_and_saveexec_b64 s[10:11], vcc
	s_xor_b64 s[10:11], exec, s[10:11]
; %bb.162:                              ;   in Loop: Header=BB9_79 Depth=1
	v_bfe_u32 v3, v4, 20, 1
	v_add3_u32 v3, v4, v3, s18
	v_lshrrev_b32_e32 v3, 20, v3
; %bb.163:                              ;   in Loop: Header=BB9_79 Depth=1
	s_andn2_saveexec_b64 s[10:11], s[10:11]
; %bb.164:                              ;   in Loop: Header=BB9_79 Depth=1
	v_add_f32_e64 v3, |v4|, s19
; %bb.165:                              ;   in Loop: Header=BB9_79 Depth=1
	s_or_b64 exec, exec, s[10:11]
.LBB9_166:                              ;   in Loop: Header=BB9_79 Depth=1
	s_or_b64 exec, exec, s[8:9]
	v_fma_mixlo_f16 v6, v10, v5, 0 op_sel_hi:[0,1,0]
	v_mul_f16_e32 v6, v7, v6
	v_cvt_f32_f16_e32 v14, v6
	v_mov_b32_e32 v6, 0x7f
	v_div_scale_f32 v15, s[8:9], v11, v11, v14
	v_rcp_f32_e32 v16, v15
	v_div_scale_f32 v17, vcc, v14, v11, v14
	v_fma_f32 v18, -v15, v16, 1.0
	v_fmac_f32_e32 v16, v18, v16
	v_mul_f32_e32 v18, v17, v16
	v_fma_f32 v19, -v15, v18, v17
	v_fmac_f32_e32 v18, v19, v16
	v_fma_f32 v15, -v15, v18, v17
	v_div_fmas_f32 v15, v15, v16, v18
	v_div_fixup_f32 v14, v15, v11, v14
	v_min_f32_e32 v14, 0x43e00000, v14
	v_max_f32_e32 v15, 0xc3e00000, v14
	v_and_b32_e32 v16, 0x7fffffff, v15
	v_cmp_gt_u32_e32 vcc, s16, v16
	v_mov_b32_e32 v14, 0x7f
	s_and_saveexec_b64 s[8:9], vcc
	s_cbranch_execz .LBB9_172
; %bb.167:                              ;   in Loop: Header=BB9_79 Depth=1
	v_cmp_lt_u32_e32 vcc, s17, v16
                                        ; implicit-def: $vgpr14
	s_and_saveexec_b64 s[10:11], vcc
	s_xor_b64 s[10:11], exec, s[10:11]
; %bb.168:                              ;   in Loop: Header=BB9_79 Depth=1
	v_bfe_u32 v14, v15, 20, 1
	v_add3_u32 v14, v15, v14, s18
	v_lshrrev_b32_e32 v14, 20, v14
; %bb.169:                              ;   in Loop: Header=BB9_79 Depth=1
	s_andn2_saveexec_b64 s[10:11], s[10:11]
; %bb.170:                              ;   in Loop: Header=BB9_79 Depth=1
	v_add_f32_e64 v14, |v15|, s19
; %bb.171:                              ;   in Loop: Header=BB9_79 Depth=1
	s_or_b64 exec, exec, s[10:11]
.LBB9_172:                              ;   in Loop: Header=BB9_79 Depth=1
	s_or_b64 exec, exec, s[8:9]
	v_fma_mixlo_f16 v5, v10, v5, 0 op_sel:[0,1,0] op_sel_hi:[0,1,0]
	v_mul_f16_sdwa v5, v7, v5 dst_sel:DWORD dst_unused:UNUSED_PAD src0_sel:WORD_1 src1_sel:DWORD
	v_cvt_f32_f16_e32 v5, v5
	v_div_scale_f32 v7, s[8:9], v11, v11, v5
	v_rcp_f32_e32 v16, v7
	v_div_scale_f32 v17, vcc, v5, v11, v5
	v_fma_f32 v18, -v7, v16, 1.0
	v_fmac_f32_e32 v16, v18, v16
	v_mul_f32_e32 v18, v17, v16
	v_fma_f32 v19, -v7, v18, v17
	v_fmac_f32_e32 v18, v19, v16
	v_fma_f32 v7, -v7, v18, v17
	v_div_fmas_f32 v7, v7, v16, v18
	v_div_fixup_f32 v5, v7, v11, v5
	v_min_f32_e32 v5, 0x43e00000, v5
	v_max_f32_e32 v5, 0xc3e00000, v5
	v_and_b32_e32 v7, 0x7fffffff, v5
	v_cmp_gt_u32_e32 vcc, s16, v7
	s_and_saveexec_b64 s[8:9], vcc
	s_cbranch_execz .LBB9_75
; %bb.173:                              ;   in Loop: Header=BB9_79 Depth=1
	v_cmp_lt_u32_e32 vcc, s17, v7
                                        ; implicit-def: $vgpr6
	s_and_saveexec_b64 s[10:11], vcc
	s_xor_b64 s[10:11], exec, s[10:11]
; %bb.174:                              ;   in Loop: Header=BB9_79 Depth=1
	v_bfe_u32 v6, v5, 20, 1
	v_add3_u32 v6, v5, v6, s18
	v_lshrrev_b32_e32 v6, 20, v6
; %bb.175:                              ;   in Loop: Header=BB9_79 Depth=1
	s_andn2_saveexec_b64 s[10:11], s[10:11]
	s_cbranch_execz .LBB9_74
; %bb.176:                              ;   in Loop: Header=BB9_79 Depth=1
	v_add_f32_e64 v6, |v5|, s19
	s_branch .LBB9_74
.LBB9_177:
	s_endpgm
	.section	.rodata,"a",@progbits
	.p2align	6, 0x0
	.amdhsa_kernel _ZN4vllm39rms_norm_dynamic_per_token_quant_kernelIN3c104HalfENS1_13Float8_e4m3fnELb0EEEvPT0_PfPKT_S9_PKffiiPS7_
		.amdhsa_group_segment_fixed_size 272
		.amdhsa_private_segment_fixed_size 0
		.amdhsa_kernarg_size 320
		.amdhsa_user_sgpr_count 6
		.amdhsa_user_sgpr_private_segment_buffer 1
		.amdhsa_user_sgpr_dispatch_ptr 0
		.amdhsa_user_sgpr_queue_ptr 0
		.amdhsa_user_sgpr_kernarg_segment_ptr 1
		.amdhsa_user_sgpr_dispatch_id 0
		.amdhsa_user_sgpr_flat_scratch_init 0
		.amdhsa_user_sgpr_kernarg_preload_length 0
		.amdhsa_user_sgpr_kernarg_preload_offset 0
		.amdhsa_user_sgpr_private_segment_size 0
		.amdhsa_uses_dynamic_stack 0
		.amdhsa_system_sgpr_private_segment_wavefront_offset 0
		.amdhsa_system_sgpr_workgroup_id_x 1
		.amdhsa_system_sgpr_workgroup_id_y 0
		.amdhsa_system_sgpr_workgroup_id_z 0
		.amdhsa_system_sgpr_workgroup_info 0
		.amdhsa_system_vgpr_workitem_id 0
		.amdhsa_next_free_vgpr 29
		.amdhsa_next_free_sgpr 53
		.amdhsa_accum_offset 32
		.amdhsa_reserve_vcc 1
		.amdhsa_reserve_flat_scratch 0
		.amdhsa_float_round_mode_32 0
		.amdhsa_float_round_mode_16_64 0
		.amdhsa_float_denorm_mode_32 3
		.amdhsa_float_denorm_mode_16_64 3
		.amdhsa_dx10_clamp 1
		.amdhsa_ieee_mode 1
		.amdhsa_fp16_overflow 0
		.amdhsa_tg_split 0
		.amdhsa_exception_fp_ieee_invalid_op 0
		.amdhsa_exception_fp_denorm_src 0
		.amdhsa_exception_fp_ieee_div_zero 0
		.amdhsa_exception_fp_ieee_overflow 0
		.amdhsa_exception_fp_ieee_underflow 0
		.amdhsa_exception_fp_ieee_inexact 0
		.amdhsa_exception_int_div_zero 0
	.end_amdhsa_kernel
	.section	.text._ZN4vllm39rms_norm_dynamic_per_token_quant_kernelIN3c104HalfENS1_13Float8_e4m3fnELb0EEEvPT0_PfPKT_S9_PKffiiPS7_,"axG",@progbits,_ZN4vllm39rms_norm_dynamic_per_token_quant_kernelIN3c104HalfENS1_13Float8_e4m3fnELb0EEEvPT0_PfPKT_S9_PKffiiPS7_,comdat
.Lfunc_end9:
	.size	_ZN4vllm39rms_norm_dynamic_per_token_quant_kernelIN3c104HalfENS1_13Float8_e4m3fnELb0EEEvPT0_PfPKT_S9_PKffiiPS7_, .Lfunc_end9-_ZN4vllm39rms_norm_dynamic_per_token_quant_kernelIN3c104HalfENS1_13Float8_e4m3fnELb0EEEvPT0_PfPKT_S9_PKffiiPS7_
                                        ; -- End function
	.section	.AMDGPU.csdata,"",@progbits
; Kernel info:
; codeLenInByte = 9556
; NumSgprs: 57
; NumVgprs: 29
; NumAgprs: 0
; TotalNumVgprs: 29
; ScratchSize: 0
; MemoryBound: 0
; FloatMode: 240
; IeeeMode: 1
; LDSByteSize: 272 bytes/workgroup (compile time only)
; SGPRBlocks: 7
; VGPRBlocks: 3
; NumSGPRsForWavesPerEU: 57
; NumVGPRsForWavesPerEU: 29
; AccumOffset: 32
; Occupancy: 8
; WaveLimiterHint : 0
; COMPUTE_PGM_RSRC2:SCRATCH_EN: 0
; COMPUTE_PGM_RSRC2:USER_SGPR: 6
; COMPUTE_PGM_RSRC2:TRAP_HANDLER: 0
; COMPUTE_PGM_RSRC2:TGID_X_EN: 1
; COMPUTE_PGM_RSRC2:TGID_Y_EN: 0
; COMPUTE_PGM_RSRC2:TGID_Z_EN: 0
; COMPUTE_PGM_RSRC2:TIDIG_COMP_CNT: 0
; COMPUTE_PGM_RSRC3_GFX90A:ACCUM_OFFSET: 7
; COMPUTE_PGM_RSRC3_GFX90A:TG_SPLIT: 0
	.section	.text._ZN4vllm39rms_norm_dynamic_per_token_quant_kernelIN3c104HalfENS1_15Float8_e4m3fnuzELb0EEEvPT0_PfPKT_S9_PKffiiPS7_,"axG",@progbits,_ZN4vllm39rms_norm_dynamic_per_token_quant_kernelIN3c104HalfENS1_15Float8_e4m3fnuzELb0EEEvPT0_PfPKT_S9_PKffiiPS7_,comdat
	.protected	_ZN4vllm39rms_norm_dynamic_per_token_quant_kernelIN3c104HalfENS1_15Float8_e4m3fnuzELb0EEEvPT0_PfPKT_S9_PKffiiPS7_ ; -- Begin function _ZN4vllm39rms_norm_dynamic_per_token_quant_kernelIN3c104HalfENS1_15Float8_e4m3fnuzELb0EEEvPT0_PfPKT_S9_PKffiiPS7_
	.globl	_ZN4vllm39rms_norm_dynamic_per_token_quant_kernelIN3c104HalfENS1_15Float8_e4m3fnuzELb0EEEvPT0_PfPKT_S9_PKffiiPS7_
	.p2align	8
	.type	_ZN4vllm39rms_norm_dynamic_per_token_quant_kernelIN3c104HalfENS1_15Float8_e4m3fnuzELb0EEEvPT0_PfPKT_S9_PKffiiPS7_,@function
_ZN4vllm39rms_norm_dynamic_per_token_quant_kernelIN3c104HalfENS1_15Float8_e4m3fnuzELb0EEEvPT0_PfPKT_S9_PKffiiPS7_: ; @_ZN4vllm39rms_norm_dynamic_per_token_quant_kernelIN3c104HalfENS1_15Float8_e4m3fnuzELb0EEEvPT0_PfPKT_S9_PKffiiPS7_
; %bb.0:
	s_load_dwordx4 s[36:39], s[4:5], 0x28
	s_load_dwordx2 s[22:23], s[4:5], 0x20
	s_load_dwordx8 s[24:31], s[4:5], 0x0
	s_waitcnt lgkmcnt(0)
	s_or_b32 s0, s38, s37
	s_and_b32 s0, s0, 3
	s_cmp_lg_u32 s0, 0
	s_cbranch_scc0 .LBB10_39
; %bb.1:
	v_cmp_gt_u32_e64 s[0:1], s37, v0
	v_cmp_le_u32_e64 s[2:3], s37, v0
                                        ; implicit-def: $sgpr7
                                        ; implicit-def: $sgpr10_sgpr11
	s_and_saveexec_b64 s[8:9], s[2:3]
	s_xor_b64 s[8:9], exec, s[8:9]
; %bb.2:
	s_add_u32 s10, s4, 64
	s_addc_u32 s11, s5, 0
	s_mov_b32 s7, 0
; %bb.3:
	s_or_saveexec_b64 s[8:9], s[8:9]
	v_mov_b32_e32 v6, s7
	v_pk_mov_b32 v[2:3], s[10:11], s[10:11] op_sel:[0,1]
	v_mov_b32_e32 v1, s6
	s_xor_b64 exec, exec, s[8:9]
	s_cbranch_execz .LBB10_7
; %bb.4:
	s_ashr_i32 s7, s38, 31
	s_mul_hi_u32 s10, s38, s6
	s_mul_i32 s7, s7, s6
	s_add_i32 s11, s10, s7
	s_mul_i32 s10, s38, s6
	s_load_dword s12, s[4:5], 0x4c
	s_lshl_b64 s[10:11], s[10:11], 1
	s_add_u32 s7, s28, s10
	s_addc_u32 s15, s29, s11
	s_add_u32 s10, s4, 64
	s_addc_u32 s11, s5, 0
	s_waitcnt lgkmcnt(0)
	s_and_b32 s14, s12, 0xffff
	s_mov_b64 s[12:13], 0
	v_mov_b32_e32 v3, 0
	v_mov_b32_e32 v1, s15
	;; [unrolled: 1-line block ×4, first 2 shown]
.LBB10_5:                               ; =>This Inner Loop Header: Depth=1
	v_lshlrev_b64 v[4:5], 1, v[2:3]
	v_add_co_u32_e32 v4, vcc, s7, v4
	v_addc_co_u32_e32 v5, vcc, v1, v5, vcc
	global_load_ushort v4, v[4:5], off
	v_add_u32_e32 v2, s14, v2
	v_cmp_le_u32_e32 vcc, s37, v2
	s_or_b64 s[12:13], vcc, s[12:13]
	s_waitcnt vmcnt(0)
	v_fma_mix_f32 v6, v4, v4, v6 op_sel_hi:[1,1,0]
	s_andn2_b64 exec, exec, s[12:13]
	s_cbranch_execnz .LBB10_5
; %bb.6:
	s_or_b64 exec, exec, s[12:13]
	v_pk_mov_b32 v[2:3], s[10:11], s[10:11] op_sel:[0,1]
	v_mov_b32_e32 v1, s6
.LBB10_7:
	s_or_b64 exec, exec, s[8:9]
	global_load_dword v4, v[2:3], off
	v_and_b32_e32 v5, 0x3c0, v0
	s_waitcnt vmcnt(0)
	v_cmp_lt_u32_e32 vcc, v1, v4
	v_cndmask_b32_e64 v1, 18, 12, vcc
	v_add_co_u32_e32 v2, vcc, v2, v1
	v_addc_co_u32_e32 v3, vcc, 0, v3, vcc
	global_load_ushort v1, v[2:3], off
	v_mbcnt_lo_u32_b32 v2, -1, 0
	v_mbcnt_hi_u32_b32 v4, -1, v2
	v_and_b32_e32 v2, 63, v4
	v_cmp_ne_u32_e32 vcc, 63, v2
	v_addc_co_u32_e32 v3, vcc, 0, v4, vcc
	v_lshlrev_b32_e32 v14, 2, v3
	ds_bpermute_b32 v3, v14, v6
	v_cmp_gt_u32_e32 vcc, 62, v2
	v_cndmask_b32_e64 v12, 0, 1, vcc
	v_lshlrev_b32_e32 v12, 1, v12
	v_add_u32_e32 v7, 1, v4
	v_add_lshl_u32 v13, v12, v4, 2
	s_waitcnt lgkmcnt(0)
	v_add_f32_e32 v3, v6, v3
	v_add_u32_e32 v8, 2, v4
	v_add_u32_e32 v10, 4, v4
	;; [unrolled: 1-line block ×5, first 2 shown]
	v_cmp_eq_u32_e64 s[8:9], 0, v4
	s_waitcnt vmcnt(0)
	v_sub_u32_e64 v12, v1, v5 clamp
	v_cmp_lt_u32_e32 vcc, v7, v12
	v_cndmask_b32_e32 v3, v6, v3, vcc
	ds_bpermute_b32 v6, v13, v3
	v_cmp_gt_u32_e32 vcc, 60, v2
	v_cndmask_b32_e64 v15, 0, 1, vcc
	v_lshlrev_b32_e32 v15, 2, v15
	v_cmp_lt_u32_e32 vcc, v8, v12
	s_waitcnt lgkmcnt(0)
	v_add_f32_e32 v6, v3, v6
	v_add_lshl_u32 v15, v15, v4, 2
	v_cndmask_b32_e32 v3, v3, v6, vcc
	ds_bpermute_b32 v6, v15, v3
	v_cmp_gt_u32_e32 vcc, 56, v2
	v_cndmask_b32_e64 v16, 0, 1, vcc
	v_lshlrev_b32_e32 v16, 3, v16
	v_cmp_lt_u32_e32 vcc, v10, v12
	s_waitcnt lgkmcnt(0)
	v_add_f32_e32 v6, v3, v6
	v_add_lshl_u32 v16, v16, v4, 2
	;; [unrolled: 9-line block ×3, first 2 shown]
	v_cndmask_b32_e32 v3, v3, v6, vcc
	ds_bpermute_b32 v6, v18, v3
	v_cmp_gt_u32_e32 vcc, 32, v2
	v_cndmask_b32_e64 v2, 0, 1, vcc
	v_lshlrev_b32_e32 v2, 5, v2
	v_add_lshl_u32 v17, v2, v4, 2
	s_waitcnt lgkmcnt(0)
	v_add_f32_e32 v2, v3, v6
	v_cmp_lt_u32_e32 vcc, v9, v12
	v_cndmask_b32_e32 v2, v3, v2, vcc
	ds_bpermute_b32 v3, v17, v2
	v_cmp_lt_u32_e32 vcc, v19, v12
	s_waitcnt lgkmcnt(0)
	v_add_f32_e32 v3, v2, v3
	v_cndmask_b32_e32 v2, v2, v3, vcc
	s_and_saveexec_b64 s[10:11], s[8:9]
	s_cbranch_execz .LBB10_9
; %bb.8:
	v_lshrrev_b32_e32 v3, 4, v0
	v_and_b32_e32 v3, 60, v3
	ds_write_b32 v3, v2 offset:128
.LBB10_9:
	s_or_b64 exec, exec, s[10:11]
	v_cmp_gt_u32_e64 s[10:11], 16, v0
	v_lshlrev_b32_e32 v12, 2, v4
	v_and_b32_e32 v6, 15, v4
	s_waitcnt lgkmcnt(0)
	s_barrier
	s_and_saveexec_b64 s[14:15], s[10:11]
	s_cbranch_execz .LBB10_11
; %bb.10:
	ds_read_b32 v2, v12 offset:128
	v_cmp_ne_u32_e32 vcc, 15, v6
	v_addc_co_u32_e32 v3, vcc, 0, v4, vcc
	v_lshlrev_b32_e32 v3, 2, v3
	s_waitcnt lgkmcnt(0)
	ds_bpermute_b32 v3, v3, v2
	v_add_u32_e32 v1, 63, v1
	v_add_u32_e32 v20, 1, v6
	v_lshrrev_b32_e32 v1, 6, v1
	v_cmp_gt_u32_e64 s[12:13], 14, v6
	v_cmp_lt_u32_e32 vcc, v20, v1
	v_cndmask_b32_e64 v20, 0, 1, s[12:13]
	s_waitcnt lgkmcnt(0)
	v_add_f32_e32 v3, v2, v3
	v_lshlrev_b32_e32 v20, 1, v20
	v_cndmask_b32_e32 v3, v2, v3, vcc
	v_add_lshl_u32 v20, v20, v4, 2
	ds_bpermute_b32 v20, v20, v3
	v_add_u32_e32 v21, 2, v6
	v_cmp_lt_u32_e64 s[12:13], v21, v1
	v_add_u32_e32 v21, 4, v6
	s_waitcnt lgkmcnt(0)
	v_add_f32_e32 v20, v3, v20
	v_cndmask_b32_e64 v3, v3, v20, s[12:13]
	v_cmp_gt_u32_e64 s[12:13], 12, v6
	v_cndmask_b32_e64 v20, 0, 1, s[12:13]
	v_lshlrev_b32_e32 v20, 2, v20
	v_add_lshl_u32 v20, v20, v4, 2
	ds_bpermute_b32 v20, v20, v3
	v_cmp_lt_u32_e64 s[12:13], v21, v1
	v_add_u32_e32 v21, 8, v6
	s_waitcnt lgkmcnt(0)
	v_add_f32_e32 v20, v3, v20
	v_cndmask_b32_e64 v3, v3, v20, s[12:13]
	v_cmp_gt_u32_e64 s[12:13], 8, v6
	v_cndmask_b32_e64 v20, 0, 1, s[12:13]
	v_lshlrev_b32_e32 v20, 3, v20
	v_add_lshl_u32 v20, v20, v4, 2
	ds_bpermute_b32 v20, v20, v3
	v_cmp_lt_u32_e64 s[12:13], v21, v1
	s_waitcnt lgkmcnt(0)
	v_add_f32_e32 v20, v3, v20
	v_cndmask_b32_e64 v1, v3, v20, s[12:13]
	v_cndmask_b32_e32 v2, v2, v1, vcc
.LBB10_11:
	s_or_b64 exec, exec, s[14:15]
	s_mov_b32 s7, 0
	v_cmp_eq_u32_e64 s[12:13], 0, v0
	s_and_saveexec_b64 s[14:15], s[12:13]
	s_cbranch_execz .LBB10_13
; %bb.12:
	v_cvt_f32_i32_e32 v1, s37
	v_div_scale_f32 v3, s[16:17], v1, v1, v2
	v_rcp_f32_e32 v20, v3
	v_div_scale_f32 v21, vcc, v2, v1, v2
	s_mov_b32 s16, 0x800000
	v_fma_f32 v22, -v3, v20, 1.0
	v_fmac_f32_e32 v20, v22, v20
	v_mul_f32_e32 v22, v21, v20
	v_fma_f32 v23, -v3, v22, v21
	v_fmac_f32_e32 v22, v23, v20
	v_fma_f32 v3, -v3, v22, v21
	v_div_fmas_f32 v3, v3, v20, v22
	v_div_fixup_f32 v1, v3, v1, v2
	v_add_f32_e32 v1, s36, v1
	v_mul_f32_e32 v2, 0x4b800000, v1
	v_cmp_gt_f32_e32 vcc, s16, v1
	v_cndmask_b32_e32 v1, v1, v2, vcc
	v_rsq_f32_e32 v1, v1
	v_mul_f32_e32 v2, 0x45800000, v1
	v_cndmask_b32_e32 v1, v1, v2, vcc
	v_mov_b32_e32 v2, 0
	ds_write_b32 v2, v1 offset:264
.LBB10_13:
	s_or_b64 exec, exec, s[14:15]
	v_mov_b32_e32 v1, 0
	s_waitcnt lgkmcnt(0)
	s_barrier
	ds_read_b32 v1, v1 offset:264
	s_waitcnt lgkmcnt(0)
	s_barrier
	s_waitcnt lgkmcnt(0)
                                        ; implicit-def: $sgpr16
                                        ; implicit-def: $sgpr14_sgpr15
	s_and_saveexec_b64 s[18:19], s[2:3]
	s_xor_b64 s[2:3], exec, s[18:19]
; %bb.14:
	s_add_u32 s14, s4, 64
	s_addc_u32 s15, s5, 0
	s_mov_b32 s16, 0
; %bb.15:
	s_or_saveexec_b64 s[2:3], s[2:3]
	v_mov_b32_e32 v20, s16
	v_pk_mov_b32 v[2:3], s[14:15], s[14:15] op_sel:[0,1]
	s_mul_hi_u32 s33, s38, s6
	s_mul_i32 s34, s38, s6
	s_xor_b64 exec, exec, s[2:3]
	s_cbranch_execz .LBB10_19
; %bb.16:
	s_ashr_i32 s14, s38, 31
	s_mul_i32 s14, s14, s6
	s_add_i32 s35, s33, s14
	s_load_dword s16, s[4:5], 0x4c
	s_lshl_b64 s[14:15], s[34:35], 1
	s_add_u32 s18, s28, s14
	s_addc_u32 s20, s29, s15
	s_add_u32 s14, s4, 64
	s_addc_u32 s15, s5, 0
	s_waitcnt lgkmcnt(0)
	s_and_b32 s19, s16, 0xffff
	s_mov_b64 s[16:17], 0
	v_mov_b32_e32 v3, 0
	v_mov_b32_e32 v21, s20
	;; [unrolled: 1-line block ×5, first 2 shown]
.LBB10_17:                              ; =>This Inner Loop Header: Depth=1
	v_lshlrev_b64 v[24:25], 1, v[2:3]
	v_add_co_u32_e32 v26, vcc, s18, v24
	v_addc_co_u32_e32 v27, vcc, v21, v25, vcc
	v_add_co_u32_e32 v24, vcc, s30, v24
	v_addc_co_u32_e32 v25, vcc, v22, v25, vcc
	global_load_ushort v23, v[26:27], off
	global_load_ushort v28, v[24:25], off
	v_add_u32_e32 v2, s19, v2
	v_max_f32_e32 v20, v20, v20
	v_cmp_le_u32_e32 vcc, s37, v2
	s_or_b64 s[16:17], vcc, s[16:17]
	s_waitcnt vmcnt(1)
	v_fma_mixlo_f16 v23, v1, v23, 0 op_sel_hi:[0,1,0]
	s_waitcnt vmcnt(0)
	v_mul_f16_e32 v23, v28, v23
	v_cvt_f32_f16_e64 v23, |v23|
	v_max_f32_e32 v20, v20, v23
	s_andn2_b64 exec, exec, s[16:17]
	s_cbranch_execnz .LBB10_17
; %bb.18:
	s_or_b64 exec, exec, s[16:17]
	v_pk_mov_b32 v[2:3], s[14:15], s[14:15] op_sel:[0,1]
.LBB10_19:
	s_or_b64 exec, exec, s[2:3]
	global_load_dword v21, v[2:3], off
	s_waitcnt vmcnt(0)
	v_cmp_lt_u32_e32 vcc, s6, v21
	v_cndmask_b32_e64 v21, 18, 12, vcc
	v_add_co_u32_e32 v2, vcc, v2, v21
	v_addc_co_u32_e32 v3, vcc, 0, v3, vcc
	global_load_ushort v2, v[2:3], off
	ds_bpermute_b32 v3, v14, v20
	s_waitcnt lgkmcnt(0)
	v_cmp_lt_f32_e32 vcc, v20, v3
	v_cndmask_b32_e32 v3, v20, v3, vcc
	s_waitcnt vmcnt(0)
	v_sub_u32_e64 v5, v2, v5 clamp
	v_cmp_lt_u32_e32 vcc, v7, v5
	v_cndmask_b32_e32 v3, v20, v3, vcc
	ds_bpermute_b32 v7, v13, v3
	v_cmp_lt_u32_e64 s[18:19], v19, v5
	s_waitcnt lgkmcnt(0)
	v_cmp_lt_f32_e64 s[2:3], v3, v7
	v_cndmask_b32_e64 v7, v3, v7, s[2:3]
	v_cmp_lt_u32_e64 s[2:3], v8, v5
	v_cndmask_b32_e64 v3, v3, v7, s[2:3]
	ds_bpermute_b32 v7, v15, v3
	s_or_b64 s[2:3], vcc, s[2:3]
	s_waitcnt lgkmcnt(0)
	v_cmp_lt_f32_e64 s[14:15], v3, v7
	v_cndmask_b32_e64 v7, v3, v7, s[14:15]
	v_cmp_lt_u32_e64 s[14:15], v10, v5
	v_cndmask_b32_e64 v3, v3, v7, s[14:15]
	ds_bpermute_b32 v7, v16, v3
	s_or_b64 s[2:3], s[14:15], s[2:3]
	s_waitcnt lgkmcnt(0)
	v_cmp_lt_f32_e64 s[16:17], v3, v7
	v_cndmask_b32_e64 v7, v3, v7, s[16:17]
	v_cmp_lt_u32_e64 s[16:17], v11, v5
	v_cndmask_b32_e64 v3, v3, v7, s[16:17]
	ds_bpermute_b32 v7, v18, v3
	s_or_b64 s[2:3], s[16:17], s[2:3]
	;; [unrolled: 7-line block ×3, first 2 shown]
	s_waitcnt lgkmcnt(0)
	v_cmp_lt_f32_e32 vcc, v3, v5
	s_and_b64 vcc, s[18:19], vcc
	v_cndmask_b32_e32 v3, v3, v5, vcc
	s_or_b64 vcc, s[18:19], s[2:3]
	v_cndmask_b32_e32 v3, v20, v3, vcc
	s_and_saveexec_b64 s[2:3], s[8:9]
	s_cbranch_execz .LBB10_21
; %bb.20:
	v_lshrrev_b32_e32 v5, 4, v0
	v_and_b32_e32 v5, 60, v5
	ds_write_b32 v5, v3 offset:192
.LBB10_21:
	s_or_b64 exec, exec, s[2:3]
	s_waitcnt lgkmcnt(0)
	s_barrier
	s_and_saveexec_b64 s[14:15], s[10:11]
	s_cbranch_execz .LBB10_23
; %bb.22:
	ds_read_b32 v3, v12 offset:192
	v_cmp_ne_u32_e32 vcc, 15, v6
	v_addc_co_u32_e32 v5, vcc, 0, v4, vcc
	v_lshlrev_b32_e32 v5, 2, v5
	s_waitcnt lgkmcnt(0)
	ds_bpermute_b32 v5, v5, v3
	v_add_u32_e32 v2, 63, v2
	v_add_u32_e32 v7, 1, v6
	v_lshrrev_b32_e32 v2, 6, v2
	v_cmp_gt_u32_e64 s[2:3], 14, v6
	s_waitcnt lgkmcnt(0)
	v_cmp_lt_f32_e32 vcc, v3, v5
	v_cndmask_b32_e32 v5, v3, v5, vcc
	v_cmp_lt_u32_e32 vcc, v7, v2
	v_cndmask_b32_e64 v7, 0, 1, s[2:3]
	v_lshlrev_b32_e32 v7, 1, v7
	v_cndmask_b32_e32 v5, v3, v5, vcc
	v_add_lshl_u32 v7, v7, v4, 2
	ds_bpermute_b32 v7, v7, v5
	v_add_u32_e32 v8, 2, v6
	s_waitcnt lgkmcnt(0)
	v_cmp_lt_f32_e64 s[2:3], v5, v7
	v_cndmask_b32_e64 v7, v5, v7, s[2:3]
	v_cmp_lt_u32_e64 s[2:3], v8, v2
	v_cndmask_b32_e64 v5, v5, v7, s[2:3]
	v_cmp_gt_u32_e64 s[2:3], 12, v6
	v_cndmask_b32_e64 v7, 0, 1, s[2:3]
	v_lshlrev_b32_e32 v7, 2, v7
	v_add_lshl_u32 v7, v7, v4, 2
	ds_bpermute_b32 v7, v7, v5
	v_add_u32_e32 v8, 4, v6
	s_waitcnt lgkmcnt(0)
	v_cmp_lt_f32_e64 s[2:3], v5, v7
	v_cndmask_b32_e64 v7, v5, v7, s[2:3]
	v_cmp_lt_u32_e64 s[2:3], v8, v2
	v_cndmask_b32_e64 v5, v5, v7, s[2:3]
	v_cmp_gt_u32_e64 s[2:3], 8, v6
	v_cndmask_b32_e64 v7, 0, 1, s[2:3]
	v_lshlrev_b32_e32 v7, 3, v7
	v_add_lshl_u32 v4, v7, v4, 2
	ds_bpermute_b32 v4, v4, v5
	v_add_u32_e32 v6, 8, v6
	v_cmp_lt_u32_e64 s[2:3], v6, v2
	s_waitcnt lgkmcnt(0)
	v_cmp_lt_f32_e64 s[8:9], v5, v4
	s_and_b64 s[2:3], s[2:3], s[8:9]
	v_cndmask_b32_e64 v2, v5, v4, s[2:3]
	v_cndmask_b32_e32 v3, v3, v2, vcc
.LBB10_23:
	s_or_b64 exec, exec, s[14:15]
	s_and_saveexec_b64 s[2:3], s[12:13]
	s_cbranch_execz .LBB10_27
; %bb.24:
	s_cmp_eq_u64 s[22:23], 0
	s_cbranch_scc1 .LBB10_26
; %bb.25:
	s_load_dword s8, s[22:23], 0x0
	v_max_f32_e32 v2, v3, v3
	s_waitcnt lgkmcnt(0)
	v_max_f32_e64 v3, s8, s8
	v_min_f32_e32 v3, v2, v3
.LBB10_26:
	s_mov_b32 s10, 0x43600000
	v_div_scale_f32 v2, s[8:9], s10, s10, v3
	v_rcp_f32_e32 v4, v2
	v_div_scale_f32 v5, vcc, v3, s10, v3
	s_lshl_b64 s[8:9], s[6:7], 2
	v_fma_f32 v6, -v2, v4, 1.0
	v_fmac_f32_e32 v4, v6, v4
	v_mul_f32_e32 v6, v5, v4
	v_fma_f32 v7, -v2, v6, v5
	v_fmac_f32_e32 v6, v7, v4
	v_fma_f32 v2, -v2, v6, v5
	v_div_fmas_f32 v2, v2, v4, v6
	v_div_fixup_f32 v2, v2, s10, v3
	s_add_u32 s8, s26, s8
	v_max_f32_e32 v2, 0x37124925, v2
	v_mov_b32_e32 v3, 0
	s_addc_u32 s9, s27, s9
	ds_write_b32 v3, v2 offset:268
	global_store_dword v3, v2, s[8:9]
.LBB10_27:
	s_or_b64 exec, exec, s[2:3]
	s_waitcnt lgkmcnt(0)
	s_barrier
	s_and_saveexec_b64 s[2:3], s[0:1]
	s_cbranch_execz .LBB10_38
; %bb.28:
	s_ashr_i32 s0, s37, 31
	s_mul_hi_u32 s1, s37, s6
	s_mul_i32 s0, s0, s6
	s_add_i32 s8, s1, s0
	s_ashr_i32 s0, s38, 31
	s_mul_i32 s0, s0, s6
	s_add_i32 s35, s33, s0
	v_mov_b32_e32 v3, 0
	s_lshl_b64 s[0:1], s[34:35], 1
	s_load_dword s10, s[4:5], 0x4c
	ds_read_b32 v4, v3 offset:268
	s_add_u32 s7, s28, s0
	s_mul_i32 s9, s37, s6
	s_addc_u32 s11, s29, s1
	s_add_u32 s14, s24, s9
	s_addc_u32 s8, s25, s8
	s_waitcnt lgkmcnt(0)
	s_and_b32 s15, s10, 0xffff
	s_mov_b64 s[0:1], 0
	v_mov_b32_e32 v5, s11
	v_mov_b32_e32 v6, s31
	s_mov_b32 s16, 0x43800000
	s_mov_b32 s17, 0x3bffffff
	;; [unrolled: 1-line block ×4, first 2 shown]
	s_movk_i32 s20, 0x80
	v_mov_b32_e32 v7, s8
	v_mov_b32_e32 v2, v0
	s_branch .LBB10_31
.LBB10_29:                              ;   in Loop: Header=BB10_31 Depth=1
	s_or_b64 exec, exec, s[12:13]
.LBB10_30:                              ;   in Loop: Header=BB10_31 Depth=1
	s_or_b64 exec, exec, s[8:9]
	v_add_co_u32_e32 v8, vcc, s14, v2
	v_addc_co_u32_e32 v9, vcc, 0, v7, vcc
	v_add_u32_e32 v2, s15, v2
	v_cmp_le_u32_e32 vcc, s37, v2
	s_or_b64 s[0:1], vcc, s[0:1]
	global_store_byte v[8:9], v10, off
	s_andn2_b64 exec, exec, s[0:1]
	s_cbranch_execz .LBB10_38
.LBB10_31:                              ; =>This Inner Loop Header: Depth=1
	v_lshlrev_b64 v[8:9], 1, v[2:3]
	v_add_co_u32_e32 v10, vcc, s7, v8
	v_addc_co_u32_e32 v11, vcc, v5, v9, vcc
	v_add_co_u32_e32 v8, vcc, s30, v8
	global_load_ushort v10, v[10:11], off
	v_addc_co_u32_e32 v9, vcc, v6, v9, vcc
	global_load_ushort v8, v[8:9], off
	s_waitcnt vmcnt(1)
	v_fma_mixlo_f16 v9, v1, v10, 0 op_sel_hi:[0,1,0]
	s_waitcnt vmcnt(0)
	v_mul_f16_e32 v8, v8, v9
	v_cvt_f32_f16_e32 v8, v8
	v_div_scale_f32 v9, s[8:9], v4, v4, v8
	v_rcp_f32_e32 v10, v9
	v_div_scale_f32 v11, vcc, v8, v4, v8
	v_fma_f32 v12, -v9, v10, 1.0
	v_fmac_f32_e32 v10, v12, v10
	v_mul_f32_e32 v12, v11, v10
	v_fma_f32 v13, -v9, v12, v11
	v_fmac_f32_e32 v12, v13, v10
	v_fma_f32 v9, -v9, v12, v11
	v_div_fmas_f32 v9, v9, v10, v12
	v_div_fixup_f32 v8, v9, v4, v8
	v_min_f32_e32 v8, 0x43600000, v8
	v_max_f32_e32 v8, 0xc3600000, v8
	v_and_b32_e32 v9, 0x7fffffff, v8
	v_cmp_gt_u32_e32 vcc, s16, v9
	v_mov_b32_e32 v10, 0x80
	s_and_saveexec_b64 s[8:9], vcc
	s_cbranch_execz .LBB10_30
; %bb.32:                               ;   in Loop: Header=BB10_31 Depth=1
	v_cmp_lt_u32_e32 vcc, s17, v9
	s_mov_b64 s[10:11], 0
                                        ; implicit-def: $vgpr9
	s_and_saveexec_b64 s[12:13], vcc
	s_xor_b64 s[12:13], exec, s[12:13]
	s_cbranch_execnz .LBB10_35
; %bb.33:                               ;   in Loop: Header=BB10_31 Depth=1
	s_or_saveexec_b64 s[12:13], s[12:13]
                                        ; implicit-def: $sgpr21
	s_xor_b64 exec, exec, s[12:13]
	s_cbranch_execnz .LBB10_36
.LBB10_34:                              ;   in Loop: Header=BB10_31 Depth=1
	s_or_b64 exec, exec, s[12:13]
	v_mov_b32_e32 v10, s21
	s_and_saveexec_b64 s[12:13], s[10:11]
	s_cbranch_execz .LBB10_29
	s_branch .LBB10_37
.LBB10_35:                              ;   in Loop: Header=BB10_31 Depth=1
	v_bfe_u32 v9, v8, 20, 1
	v_add3_u32 v9, v8, v9, s18
	s_mov_b64 s[10:11], exec
	v_lshrrev_b32_e32 v9, 20, v9
	s_or_saveexec_b64 s[12:13], s[12:13]
                                        ; implicit-def: $sgpr21
	s_xor_b64 exec, exec, s[12:13]
	s_cbranch_execz .LBB10_34
.LBB10_36:                              ;   in Loop: Header=BB10_31 Depth=1
	v_add_f32_e64 v9, |v8|, s19
	v_and_b32_e32 v9, 0xff, v9
	v_cmp_ne_u32_e32 vcc, 0, v9
	s_andn2_b64 s[10:11], s[10:11], exec
	s_and_b64 s[34:35], vcc, exec
	s_mov_b32 s21, 0
	s_or_b64 s[10:11], s[10:11], s[34:35]
	s_or_b64 exec, exec, s[12:13]
	v_mov_b32_e32 v10, s21
	s_and_saveexec_b64 s[12:13], s[10:11]
	s_cbranch_execz .LBB10_29
.LBB10_37:                              ;   in Loop: Header=BB10_31 Depth=1
	v_lshrrev_b32_e32 v8, 24, v8
	v_and_or_b32 v10, v8, s20, v9
	s_branch .LBB10_29
.LBB10_38:
	s_or_b64 exec, exec, s[2:3]
	s_branch .LBB10_211
.LBB10_39:
	s_cbranch_execz .LBB10_211
; %bb.40:
	s_ashr_i32 s0, s38, 31
	s_mul_hi_u32 s1, s38, s6
	s_mul_i32 s0, s0, s6
	s_add_i32 s1, s1, s0
	s_mul_i32 s0, s38, s6
	s_lshl_b64 s[0:1], s[0:1], 1
	s_load_dword s18, s[4:5], 0x40
	s_add_u32 s33, s28, s0
	s_addc_u32 s48, s29, s1
	s_ashr_i32 s49, s37, 2
	s_add_u32 s19, s4, 64
	s_mov_b32 s7, 0
	v_cmp_gt_u32_e64 s[0:1], s49, v0
	s_addc_u32 s20, s5, 0
	v_mov_b32_e32 v10, 0
	s_and_saveexec_b64 s[2:3], s[0:1]
	s_cbranch_execz .LBB10_50
; %bb.41:
	s_waitcnt lgkmcnt(0)
	s_cmp_lt_u32 s6, s18
	s_cselect_b32 s4, 12, 18
	s_add_u32 s4, s19, s4
	s_addc_u32 s5, s20, 0
	v_mov_b32_e32 v3, 0
	global_load_ushort v1, v3, s[4:5]
	s_mov_b64 s[4:5], 0
	v_mov_b32_e32 v8, s48
	v_mov_b32_e32 v2, v0
	;; [unrolled: 1-line block ×3, first 2 shown]
                                        ; implicit-def: $sgpr8_sgpr9
	s_waitcnt vmcnt(0)
	v_add_u32_e32 v4, v1, v1
	v_mul_lo_u32 v9, v1, 3
	v_lshlrev_b32_e32 v11, 1, v1
	v_add_u32_e32 v12, v4, v1
	s_branch .LBB10_45
.LBB10_42:                              ;   in Loop: Header=BB10_45 Depth=1
	s_or_b64 exec, exec, s[14:15]
	s_orn2_b64 s[14:15], s[16:17], exec
.LBB10_43:                              ;   in Loop: Header=BB10_45 Depth=1
	s_or_b64 exec, exec, s[12:13]
	s_andn2_b64 s[8:9], s[8:9], exec
	s_and_b64 s[12:13], s[14:15], exec
	s_or_b64 s[8:9], s[8:9], s[12:13]
.LBB10_44:                              ;   in Loop: Header=BB10_45 Depth=1
	s_or_b64 exec, exec, s[10:11]
	s_and_b64 s[10:11], exec, s[8:9]
	s_or_b64 s[4:5], s[10:11], s[4:5]
	s_andn2_b64 exec, exec, s[4:5]
	s_cbranch_execz .LBB10_49
.LBB10_45:                              ; =>This Inner Loop Header: Depth=1
	v_lshlrev_b64 v[4:5], 3, v[2:3]
	v_add_co_u32_e32 v4, vcc, s33, v4
	v_addc_co_u32_e32 v5, vcc, v8, v5, vcc
	global_load_dwordx2 v[6:7], v[4:5], off
	v_add_u32_e32 v4, v2, v1
	v_cmp_gt_u32_e32 vcc, s49, v4
	s_or_b64 s[8:9], s[8:9], exec
	s_waitcnt vmcnt(0)
	v_fma_mix_f32 v5, v6, v6, v10 op_sel_hi:[1,1,0]
	v_fma_mix_f32 v5, v6, v6, v5 op_sel:[1,1,0] op_sel_hi:[1,1,0]
	v_fma_mix_f32 v5, v7, v7, v5 op_sel_hi:[1,1,0]
	v_fma_mix_f32 v10, v7, v7, v5 op_sel:[1,1,0] op_sel_hi:[1,1,0]
	s_and_saveexec_b64 s[10:11], vcc
	s_cbranch_execz .LBB10_44
; %bb.46:                               ;   in Loop: Header=BB10_45 Depth=1
	v_mov_b32_e32 v5, v3
	v_lshlrev_b64 v[6:7], 3, v[4:5]
	v_add_co_u32_e32 v6, vcc, s33, v6
	v_addc_co_u32_e32 v7, vcc, v8, v7, vcc
	global_load_dwordx2 v[14:15], v[6:7], off
	v_add_u32_e32 v6, v11, v2
	v_cmp_gt_u32_e32 vcc, s49, v6
	s_mov_b64 s[14:15], -1
	s_waitcnt vmcnt(0)
	v_fma_mix_f32 v5, v14, v14, v10 op_sel_hi:[1,1,0]
	v_fma_mix_f32 v5, v14, v14, v5 op_sel:[1,1,0] op_sel_hi:[1,1,0]
	v_fma_mix_f32 v5, v15, v15, v5 op_sel_hi:[1,1,0]
	v_fma_mix_f32 v10, v15, v15, v5 op_sel:[1,1,0] op_sel_hi:[1,1,0]
	s_and_saveexec_b64 s[12:13], vcc
	s_cbranch_execz .LBB10_43
; %bb.47:                               ;   in Loop: Header=BB10_45 Depth=1
	v_mov_b32_e32 v7, v3
	v_lshlrev_b64 v[6:7], 3, v[6:7]
	v_add_co_u32_e32 v6, vcc, s33, v6
	v_addc_co_u32_e32 v7, vcc, v8, v7, vcc
	global_load_dwordx2 v[6:7], v[6:7], off
	v_add_u32_e32 v2, v9, v2
	v_cmp_gt_u32_e32 vcc, s49, v2
	s_mov_b64 s[16:17], -1
	s_waitcnt vmcnt(0)
	v_fma_mix_f32 v5, v6, v6, v10 op_sel_hi:[1,1,0]
	v_fma_mix_f32 v5, v6, v6, v5 op_sel:[1,1,0] op_sel_hi:[1,1,0]
	v_fma_mix_f32 v5, v7, v7, v5 op_sel_hi:[1,1,0]
	v_fma_mix_f32 v10, v7, v7, v5 op_sel:[1,1,0] op_sel_hi:[1,1,0]
	s_and_saveexec_b64 s[14:15], vcc
	s_xor_b64 s[14:15], exec, s[14:15]
	s_cbranch_execz .LBB10_42
; %bb.48:                               ;   in Loop: Header=BB10_45 Depth=1
	v_lshlrev_b64 v[6:7], 3, v[2:3]
	v_add_co_u32_e32 v6, vcc, s33, v6
	v_addc_co_u32_e32 v7, vcc, v8, v7, vcc
	global_load_dwordx2 v[6:7], v[6:7], off
	v_add_u32_e32 v2, v12, v4
	v_cmp_le_u32_e32 vcc, s49, v2
	s_orn2_b64 s[16:17], vcc, exec
	s_waitcnt vmcnt(0)
	v_fma_mix_f32 v4, v6, v6, v10 op_sel_hi:[1,1,0]
	v_fma_mix_f32 v4, v6, v6, v4 op_sel:[1,1,0] op_sel_hi:[1,1,0]
	v_fma_mix_f32 v4, v7, v7, v4 op_sel_hi:[1,1,0]
	v_fma_mix_f32 v10, v7, v7, v4 op_sel:[1,1,0] op_sel_hi:[1,1,0]
	s_branch .LBB10_42
.LBB10_49:
	s_or_b64 exec, exec, s[4:5]
.LBB10_50:
	s_or_b64 exec, exec, s[2:3]
	s_waitcnt lgkmcnt(0)
	s_cmp_lt_u32 s6, s18
	s_cselect_b32 s2, 12, 18
	s_add_u32 s2, s19, s2
	s_addc_u32 s3, s20, 0
	v_mov_b32_e32 v1, 0
	global_load_ushort v2, v1, s[2:3]
	v_mbcnt_lo_u32_b32 v1, -1, 0
	v_mbcnt_hi_u32_b32 v1, -1, v1
	v_and_b32_e32 v4, 63, v1
	v_cmp_ne_u32_e32 vcc, 63, v4
	v_addc_co_u32_e32 v8, vcc, 0, v1, vcc
	v_lshlrev_b32_e32 v8, 2, v8
	ds_bpermute_b32 v11, v8, v10
	v_and_b32_e32 v3, 0x3c0, v0
	v_cmp_gt_u32_e32 vcc, 62, v4
	v_add_u32_e32 v5, 1, v1
	v_cndmask_b32_e64 v9, 0, 1, vcc
	v_lshlrev_b32_e32 v9, 1, v9
	s_waitcnt lgkmcnt(0)
	v_add_f32_e32 v11, v10, v11
	v_add_lshl_u32 v9, v9, v1, 2
	v_cmp_gt_u32_e32 vcc, 60, v4
	v_add_u32_e32 v6, 2, v1
	v_add_u32_e32 v7, 4, v1
	;; [unrolled: 1-line block ×4, first 2 shown]
	v_cmp_eq_u32_e64 s[14:15], 0, v1
	s_waitcnt vmcnt(0)
	v_sub_u32_e64 v3, v2, v3 clamp
	v_cmp_lt_u32_e64 s[2:3], v5, v3
	v_cndmask_b32_e64 v5, v10, v11, s[2:3]
	ds_bpermute_b32 v10, v9, v5
	v_cndmask_b32_e64 v11, 0, 1, vcc
	v_lshlrev_b32_e32 v11, 2, v11
	v_cmp_lt_u32_e64 s[4:5], v6, v3
	v_add_lshl_u32 v11, v11, v1, 2
	s_waitcnt lgkmcnt(0)
	v_add_f32_e32 v10, v5, v10
	v_cndmask_b32_e64 v5, v5, v10, s[4:5]
	ds_bpermute_b32 v6, v11, v5
	v_cmp_gt_u32_e32 vcc, 56, v4
	v_cndmask_b32_e64 v10, 0, 1, vcc
	v_lshlrev_b32_e32 v10, 3, v10
	v_cmp_lt_u32_e64 s[8:9], v7, v3
	s_waitcnt lgkmcnt(0)
	v_add_f32_e32 v6, v5, v6
	v_add_lshl_u32 v12, v10, v1, 2
	v_cndmask_b32_e64 v5, v5, v6, s[8:9]
	ds_bpermute_b32 v6, v12, v5
	v_cmp_gt_u32_e32 vcc, 48, v4
	v_cndmask_b32_e64 v7, 0, 1, vcc
	v_lshlrev_b32_e32 v7, 4, v7
	v_cmp_lt_u32_e64 s[10:11], v14, v3
	s_waitcnt lgkmcnt(0)
	v_add_f32_e32 v6, v5, v6
	v_add_lshl_u32 v13, v7, v1, 2
	v_cndmask_b32_e64 v5, v5, v6, s[10:11]
	ds_bpermute_b32 v6, v13, v5
	v_cmp_gt_u32_e32 vcc, 32, v4
	v_cndmask_b32_e64 v4, 0, 1, vcc
	v_lshlrev_b32_e32 v4, 5, v4
	v_add_lshl_u32 v14, v4, v1, 2
	s_waitcnt lgkmcnt(0)
	v_add_f32_e32 v4, v5, v6
	v_cmp_lt_u32_e64 s[12:13], v15, v3
	v_cndmask_b32_e64 v4, v5, v4, s[12:13]
	ds_bpermute_b32 v5, v14, v4
	v_add_u32_e32 v6, 32, v1
	v_readfirstlane_b32 s50, v2
	v_cmp_lt_u32_e64 s[20:21], v6, v3
	s_waitcnt lgkmcnt(0)
	v_add_f32_e32 v2, v4, v5
	v_cndmask_b32_e64 v2, v4, v2, s[20:21]
	s_and_saveexec_b64 s[16:17], s[14:15]
	s_cbranch_execz .LBB10_52
; %bb.51:
	v_lshrrev_b32_e32 v3, 4, v0
	v_and_b32_e32 v3, 60, v3
	ds_write_b32 v3, v2
.LBB10_52:
	s_or_b64 exec, exec, s[16:17]
	v_cmp_gt_u32_e64 s[16:17], 16, v0
	s_waitcnt lgkmcnt(0)
	s_barrier
	s_and_saveexec_b64 s[28:29], s[16:17]
	s_cbranch_execz .LBB10_54
; %bb.53:
	v_lshlrev_b32_e32 v2, 2, v1
	ds_read_b32 v2, v2
	v_and_b32_e32 v3, 15, v1
	v_cmp_ne_u32_e32 vcc, 15, v3
	v_addc_co_u32_e32 v4, vcc, 0, v1, vcc
	v_lshlrev_b32_e32 v4, 2, v4
	s_waitcnt lgkmcnt(0)
	ds_bpermute_b32 v4, v4, v2
	s_add_i32 s18, s50, 63
	s_lshr_b32 s34, s18, 6
	v_add_u32_e32 v5, 1, v3
	v_cmp_gt_u32_e64 s[18:19], 14, v3
	v_cmp_gt_u32_e32 vcc, s34, v5
	v_cndmask_b32_e64 v5, 0, 1, s[18:19]
	s_waitcnt lgkmcnt(0)
	v_add_f32_e32 v4, v2, v4
	v_lshlrev_b32_e32 v5, 1, v5
	v_cndmask_b32_e32 v4, v2, v4, vcc
	v_add_lshl_u32 v5, v5, v1, 2
	ds_bpermute_b32 v5, v5, v4
	v_add_u32_e32 v6, 2, v3
	v_cmp_gt_u32_e64 s[18:19], s34, v6
	v_add_u32_e32 v6, 4, v3
	s_waitcnt lgkmcnt(0)
	v_add_f32_e32 v5, v4, v5
	v_cndmask_b32_e64 v4, v4, v5, s[18:19]
	v_cmp_gt_u32_e64 s[18:19], 12, v3
	v_cndmask_b32_e64 v5, 0, 1, s[18:19]
	v_lshlrev_b32_e32 v5, 2, v5
	v_add_lshl_u32 v5, v5, v1, 2
	ds_bpermute_b32 v5, v5, v4
	v_cmp_gt_u32_e64 s[18:19], s34, v6
	s_waitcnt lgkmcnt(0)
	v_add_f32_e32 v5, v4, v5
	v_cndmask_b32_e64 v4, v4, v5, s[18:19]
	v_cmp_gt_u32_e64 s[18:19], 8, v3
	v_cndmask_b32_e64 v5, 0, 1, s[18:19]
	v_lshlrev_b32_e32 v5, 3, v5
	v_add_lshl_u32 v5, v5, v1, 2
	ds_bpermute_b32 v5, v5, v4
	v_add_u32_e32 v3, 8, v3
	v_cmp_gt_u32_e64 s[18:19], s34, v3
	s_waitcnt lgkmcnt(0)
	v_add_f32_e32 v5, v4, v5
	v_cndmask_b32_e64 v3, v4, v5, s[18:19]
	v_cndmask_b32_e32 v2, v2, v3, vcc
.LBB10_54:
	s_or_b64 exec, exec, s[28:29]
	v_cmp_eq_u32_e64 s[18:19], 0, v0
	s_and_saveexec_b64 s[28:29], s[18:19]
	s_cbranch_execz .LBB10_56
; %bb.55:
	v_cvt_f32_i32_e32 v3, s37
	v_div_scale_f32 v4, s[34:35], v3, v3, v2
	v_rcp_f32_e32 v5, v4
	v_div_scale_f32 v6, vcc, v2, v3, v2
	s_mov_b32 s34, 0x800000
	v_fma_f32 v7, -v4, v5, 1.0
	v_fmac_f32_e32 v5, v7, v5
	v_mul_f32_e32 v7, v6, v5
	v_fma_f32 v10, -v4, v7, v6
	v_fmac_f32_e32 v7, v10, v5
	v_fma_f32 v4, -v4, v7, v6
	v_div_fmas_f32 v4, v4, v5, v7
	v_div_fixup_f32 v2, v4, v3, v2
	v_add_f32_e32 v2, s36, v2
	v_mul_f32_e32 v3, 0x4b800000, v2
	v_cmp_gt_f32_e32 vcc, s34, v2
	v_cndmask_b32_e32 v2, v2, v3, vcc
	v_rsq_f32_e32 v2, v2
	v_mul_f32_e32 v3, 0x45800000, v2
	v_cndmask_b32_e32 v2, v2, v3, vcc
	v_mov_b32_e32 v3, 0
	ds_write_b32 v3, v2 offset:256
.LBB10_56:
	s_or_b64 exec, exec, s[28:29]
	v_mov_b32_e32 v15, 0
	s_waitcnt lgkmcnt(0)
	s_barrier
	ds_read_b32 v10, v15 offset:256
	s_and_saveexec_b64 s[28:29], s[0:1]
	s_cbranch_execz .LBB10_66
; %bb.57:
	s_add_i32 s52, s50, s50
	s_mul_i32 s36, s50, 3
	s_lshl_b32 s51, s50, 1
	s_mov_b64 s[34:35], 0
	v_mov_b32_e32 v3, 0
	v_mov_b32_e32 v16, s48
	;; [unrolled: 1-line block ×3, first 2 shown]
	s_add_i32 s52, s52, s50
	v_mov_b32_e32 v15, 0
	v_mov_b32_e32 v2, v0
                                        ; implicit-def: $sgpr38_sgpr39
	s_branch .LBB10_61
.LBB10_58:                              ;   in Loop: Header=BB10_61 Depth=1
	s_or_b64 exec, exec, s[44:45]
	s_orn2_b64 s[44:45], s[46:47], exec
.LBB10_59:                              ;   in Loop: Header=BB10_61 Depth=1
	s_or_b64 exec, exec, s[42:43]
	s_andn2_b64 s[38:39], s[38:39], exec
	s_and_b64 s[42:43], s[44:45], exec
	s_or_b64 s[38:39], s[38:39], s[42:43]
.LBB10_60:                              ;   in Loop: Header=BB10_61 Depth=1
	s_or_b64 exec, exec, s[40:41]
	s_and_b64 s[40:41], exec, s[38:39]
	s_or_b64 s[34:35], s[40:41], s[34:35]
	s_andn2_b64 exec, exec, s[34:35]
	s_cbranch_execz .LBB10_65
.LBB10_61:                              ; =>This Inner Loop Header: Depth=1
	v_lshlrev_b64 v[4:5], 3, v[2:3]
	v_add_co_u32_e32 v6, vcc, s33, v4
	v_addc_co_u32_e32 v7, vcc, v16, v5, vcc
	v_add_co_u32_e32 v4, vcc, s30, v4
	global_load_dwordx2 v[6:7], v[6:7], off
	v_addc_co_u32_e32 v5, vcc, v17, v5, vcc
	global_load_dwordx2 v[4:5], v[4:5], off
	s_or_b64 s[38:39], s[38:39], exec
	s_waitcnt vmcnt(1) lgkmcnt(0)
	v_fma_mixlo_f16 v18, v10, v6, 0 op_sel_hi:[0,1,0]
	v_fma_mixlo_f16 v6, v10, v6, 0 op_sel:[0,1,0] op_sel_hi:[0,1,0]
	v_fma_mixlo_f16 v19, v10, v7, 0 op_sel_hi:[0,1,0]
	v_fma_mixlo_f16 v7, v10, v7, 0 op_sel:[0,1,0] op_sel_hi:[0,1,0]
	s_waitcnt vmcnt(0)
	v_mul_f16_e32 v18, v4, v18
	v_mul_f16_sdwa v4, v4, v6 dst_sel:DWORD dst_unused:UNUSED_PAD src0_sel:WORD_1 src1_sel:DWORD
	v_mul_f16_e32 v6, v5, v19
	v_mul_f16_sdwa v5, v5, v7 dst_sel:DWORD dst_unused:UNUSED_PAD src0_sel:WORD_1 src1_sel:DWORD
	v_cvt_f32_f16_e64 v7, |v18|
	v_cvt_f32_f16_e64 v18, |v4|
	;; [unrolled: 1-line block ×4, first 2 shown]
	v_add_u32_e32 v4, s50, v2
	v_max3_f32 v7, v15, v7, v18
	v_cmp_gt_u32_e32 vcc, s49, v4
	v_max3_f32 v15, v7, v6, v5
	s_and_saveexec_b64 s[40:41], vcc
	s_cbranch_execz .LBB10_60
; %bb.62:                               ;   in Loop: Header=BB10_61 Depth=1
	v_mov_b32_e32 v5, v3
	v_lshlrev_b64 v[6:7], 3, v[4:5]
	v_add_co_u32_e32 v18, vcc, s33, v6
	v_addc_co_u32_e32 v19, vcc, v16, v7, vcc
	v_add_co_u32_e32 v6, vcc, s30, v6
	global_load_dwordx2 v[18:19], v[18:19], off
	v_addc_co_u32_e32 v7, vcc, v17, v7, vcc
	global_load_dwordx2 v[6:7], v[6:7], off
	s_mov_b64 s[44:45], -1
	s_waitcnt vmcnt(1)
	v_fma_mixlo_f16 v5, v10, v18, 0 op_sel_hi:[0,1,0]
	v_fma_mixlo_f16 v18, v10, v18, 0 op_sel:[0,1,0] op_sel_hi:[0,1,0]
	v_fma_mixlo_f16 v20, v10, v19, 0 op_sel_hi:[0,1,0]
	v_fma_mixlo_f16 v19, v10, v19, 0 op_sel:[0,1,0] op_sel_hi:[0,1,0]
	s_waitcnt vmcnt(0)
	v_mul_f16_e32 v5, v6, v5
	v_mul_f16_sdwa v6, v6, v18 dst_sel:DWORD dst_unused:UNUSED_PAD src0_sel:WORD_1 src1_sel:DWORD
	v_mul_f16_e32 v18, v7, v20
	v_mul_f16_sdwa v7, v7, v19 dst_sel:DWORD dst_unused:UNUSED_PAD src0_sel:WORD_1 src1_sel:DWORD
	v_cvt_f32_f16_e64 v5, |v5|
	v_cvt_f32_f16_e64 v19, |v6|
	;; [unrolled: 1-line block ×4, first 2 shown]
	v_add_u32_e32 v6, s51, v2
	v_max3_f32 v5, v15, v5, v19
	v_cmp_gt_u32_e32 vcc, s49, v6
	v_max3_f32 v15, v5, v18, v7
	s_and_saveexec_b64 s[42:43], vcc
	s_cbranch_execz .LBB10_59
; %bb.63:                               ;   in Loop: Header=BB10_61 Depth=1
	v_mov_b32_e32 v7, v3
	v_lshlrev_b64 v[6:7], 3, v[6:7]
	v_add_co_u32_e32 v18, vcc, s33, v6
	v_addc_co_u32_e32 v19, vcc, v16, v7, vcc
	v_add_co_u32_e32 v6, vcc, s30, v6
	global_load_dwordx2 v[18:19], v[18:19], off
	v_addc_co_u32_e32 v7, vcc, v17, v7, vcc
	global_load_dwordx2 v[6:7], v[6:7], off
	v_add_u32_e32 v2, s36, v2
	v_cmp_gt_u32_e32 vcc, s49, v2
	s_mov_b64 s[46:47], -1
	s_waitcnt vmcnt(1)
	v_fma_mixlo_f16 v5, v10, v18, 0 op_sel_hi:[0,1,0]
	v_fma_mixlo_f16 v18, v10, v18, 0 op_sel:[0,1,0] op_sel_hi:[0,1,0]
	v_fma_mixlo_f16 v20, v10, v19, 0 op_sel_hi:[0,1,0]
	v_fma_mixlo_f16 v19, v10, v19, 0 op_sel:[0,1,0] op_sel_hi:[0,1,0]
	s_waitcnt vmcnt(0)
	v_mul_f16_e32 v5, v6, v5
	v_mul_f16_sdwa v6, v6, v18 dst_sel:DWORD dst_unused:UNUSED_PAD src0_sel:WORD_1 src1_sel:DWORD
	v_mul_f16_e32 v18, v7, v20
	v_mul_f16_sdwa v7, v7, v19 dst_sel:DWORD dst_unused:UNUSED_PAD src0_sel:WORD_1 src1_sel:DWORD
	v_cvt_f32_f16_e64 v5, |v5|
	v_cvt_f32_f16_e64 v6, |v6|
	;; [unrolled: 1-line block ×4, first 2 shown]
	v_max3_f32 v5, v15, v5, v6
	v_max3_f32 v15, v5, v18, v7
	s_and_saveexec_b64 s[44:45], vcc
	s_xor_b64 s[44:45], exec, s[44:45]
	s_cbranch_execz .LBB10_58
; %bb.64:                               ;   in Loop: Header=BB10_61 Depth=1
	v_lshlrev_b64 v[6:7], 3, v[2:3]
	v_add_co_u32_e32 v18, vcc, s33, v6
	v_addc_co_u32_e32 v19, vcc, v16, v7, vcc
	v_add_co_u32_e32 v6, vcc, s30, v6
	global_load_dwordx2 v[18:19], v[18:19], off
	v_addc_co_u32_e32 v7, vcc, v17, v7, vcc
	global_load_dwordx2 v[6:7], v[6:7], off
	s_waitcnt vmcnt(1)
	v_fma_mixlo_f16 v2, v10, v18, 0 op_sel_hi:[0,1,0]
	v_fma_mixlo_f16 v5, v10, v18, 0 op_sel:[0,1,0] op_sel_hi:[0,1,0]
	v_fma_mixlo_f16 v18, v10, v19, 0 op_sel_hi:[0,1,0]
	v_fma_mixlo_f16 v19, v10, v19, 0 op_sel:[0,1,0] op_sel_hi:[0,1,0]
	s_waitcnt vmcnt(0)
	v_mul_f16_e32 v2, v6, v2
	v_mul_f16_sdwa v5, v6, v5 dst_sel:DWORD dst_unused:UNUSED_PAD src0_sel:WORD_1 src1_sel:DWORD
	v_mul_f16_e32 v6, v7, v18
	v_mul_f16_sdwa v7, v7, v19 dst_sel:DWORD dst_unused:UNUSED_PAD src0_sel:WORD_1 src1_sel:DWORD
	v_cvt_f32_f16_e64 v18, |v2|
	v_cvt_f32_f16_e64 v5, |v5|
	;; [unrolled: 1-line block ×4, first 2 shown]
	v_add_u32_e32 v2, s52, v4
	v_cmp_le_u32_e32 vcc, s49, v2
	v_max3_f32 v4, v15, v18, v5
	v_max3_f32 v15, v4, v6, v7
	s_orn2_b64 s[46:47], vcc, exec
	s_branch .LBB10_58
.LBB10_65:
	s_or_b64 exec, exec, s[34:35]
.LBB10_66:
	s_or_b64 exec, exec, s[28:29]
	ds_bpermute_b32 v2, v8, v15
	s_waitcnt lgkmcnt(0)
	v_cmp_lt_f32_e32 vcc, v15, v2
	v_cndmask_b32_e32 v2, v15, v2, vcc
	v_cndmask_b32_e64 v2, v15, v2, s[2:3]
	ds_bpermute_b32 v3, v9, v2
	s_or_b64 s[2:3], s[2:3], s[4:5]
	s_or_b64 s[2:3], s[8:9], s[2:3]
	;; [unrolled: 1-line block ×4, first 2 shown]
	s_waitcnt lgkmcnt(0)
	v_cmp_lt_f32_e32 vcc, v2, v3
	v_cndmask_b32_e32 v3, v2, v3, vcc
	v_cndmask_b32_e64 v2, v2, v3, s[4:5]
	ds_bpermute_b32 v3, v11, v2
	s_waitcnt lgkmcnt(0)
	v_cmp_lt_f32_e32 vcc, v2, v3
	v_cndmask_b32_e32 v3, v2, v3, vcc
	v_cndmask_b32_e64 v2, v2, v3, s[8:9]
	ds_bpermute_b32 v3, v12, v2
	;; [unrolled: 5-line block ×4, first 2 shown]
	s_waitcnt lgkmcnt(0)
	v_cmp_lt_f32_e32 vcc, v2, v3
	s_and_b64 vcc, s[20:21], vcc
	v_cndmask_b32_e32 v2, v2, v3, vcc
	s_or_b64 vcc, s[20:21], s[2:3]
	v_cndmask_b32_e32 v2, v15, v2, vcc
	s_and_saveexec_b64 s[2:3], s[14:15]
	s_cbranch_execz .LBB10_68
; %bb.67:
	v_lshrrev_b32_e32 v3, 4, v0
	v_and_b32_e32 v3, 60, v3
	ds_write_b32 v3, v2 offset:64
.LBB10_68:
	s_or_b64 exec, exec, s[2:3]
	s_waitcnt lgkmcnt(0)
	s_barrier
	s_and_saveexec_b64 s[8:9], s[16:17]
	s_cbranch_execz .LBB10_70
; %bb.69:
	v_lshlrev_b32_e32 v2, 2, v1
	ds_read_b32 v2, v2 offset:64
	v_and_b32_e32 v3, 15, v1
	v_cmp_ne_u32_e32 vcc, 15, v3
	v_addc_co_u32_e32 v4, vcc, 0, v1, vcc
	v_lshlrev_b32_e32 v4, 2, v4
	s_waitcnt lgkmcnt(0)
	ds_bpermute_b32 v4, v4, v2
	s_add_i32 s2, s50, 63
	s_lshr_b32 s4, s2, 6
	v_add_u32_e32 v5, 1, v3
	v_cmp_gt_u32_e64 s[2:3], 14, v3
	s_waitcnt lgkmcnt(0)
	v_cmp_lt_f32_e32 vcc, v2, v4
	v_cndmask_b32_e32 v4, v2, v4, vcc
	v_cmp_gt_u32_e32 vcc, s4, v5
	v_cndmask_b32_e64 v5, 0, 1, s[2:3]
	v_lshlrev_b32_e32 v5, 1, v5
	v_cndmask_b32_e32 v4, v2, v4, vcc
	v_add_lshl_u32 v5, v5, v1, 2
	ds_bpermute_b32 v5, v5, v4
	v_add_u32_e32 v6, 2, v3
	s_waitcnt lgkmcnt(0)
	v_cmp_lt_f32_e64 s[2:3], v4, v5
	v_cndmask_b32_e64 v5, v4, v5, s[2:3]
	v_cmp_gt_u32_e64 s[2:3], s4, v6
	v_cndmask_b32_e64 v4, v4, v5, s[2:3]
	v_cmp_gt_u32_e64 s[2:3], 12, v3
	v_cndmask_b32_e64 v5, 0, 1, s[2:3]
	v_lshlrev_b32_e32 v5, 2, v5
	v_add_lshl_u32 v5, v5, v1, 2
	ds_bpermute_b32 v5, v5, v4
	v_add_u32_e32 v6, 4, v3
	s_waitcnt lgkmcnt(0)
	v_cmp_lt_f32_e64 s[2:3], v4, v5
	v_cndmask_b32_e64 v5, v4, v5, s[2:3]
	v_cmp_gt_u32_e64 s[2:3], s4, v6
	v_cndmask_b32_e64 v4, v4, v5, s[2:3]
	v_cmp_gt_u32_e64 s[2:3], 8, v3
	v_cndmask_b32_e64 v5, 0, 1, s[2:3]
	v_lshlrev_b32_e32 v5, 3, v5
	v_add_lshl_u32 v1, v5, v1, 2
	ds_bpermute_b32 v1, v1, v4
	v_add_u32_e32 v3, 8, v3
	v_cmp_gt_u32_e64 s[2:3], s4, v3
	s_waitcnt lgkmcnt(0)
	v_cmp_lt_f32_e64 s[4:5], v4, v1
	s_and_b64 s[2:3], s[2:3], s[4:5]
	v_cndmask_b32_e64 v1, v4, v1, s[2:3]
	v_cndmask_b32_e32 v2, v2, v1, vcc
.LBB10_70:
	s_or_b64 exec, exec, s[8:9]
	s_and_saveexec_b64 s[2:3], s[18:19]
	s_cbranch_execz .LBB10_74
; %bb.71:
	s_cmp_eq_u64 s[22:23], 0
	s_cbranch_scc1 .LBB10_73
; %bb.72:
	s_load_dword s4, s[22:23], 0x0
	v_max_f32_e32 v1, v2, v2
	s_waitcnt lgkmcnt(0)
	v_max_f32_e64 v2, s4, s4
	v_min_f32_e32 v2, v1, v2
.LBB10_73:
	s_mov_b32 s8, 0x43600000
	v_div_scale_f32 v1, s[4:5], s8, s8, v2
	v_rcp_f32_e32 v3, v1
	v_div_scale_f32 v4, vcc, v2, s8, v2
	s_lshl_b64 s[4:5], s[6:7], 2
	v_fma_f32 v5, -v1, v3, 1.0
	v_fmac_f32_e32 v3, v5, v3
	v_mul_f32_e32 v5, v4, v3
	v_fma_f32 v6, -v1, v5, v4
	v_fmac_f32_e32 v5, v6, v3
	v_fma_f32 v1, -v1, v5, v4
	v_div_fmas_f32 v1, v1, v3, v5
	v_div_fixup_f32 v1, v1, s8, v2
	s_add_u32 s4, s26, s4
	v_max_f32_e32 v1, 0x37124925, v1
	v_mov_b32_e32 v2, 0
	s_addc_u32 s5, s27, s5
	ds_write_b32 v2, v1 offset:260
	global_store_dword v2, v1, s[4:5]
.LBB10_74:
	s_or_b64 exec, exec, s[2:3]
	s_waitcnt lgkmcnt(0)
	s_barrier
	s_and_saveexec_b64 s[2:3], s[0:1]
	s_cbranch_execz .LBB10_211
; %bb.75:
	v_mov_b32_e32 v1, 0
	ds_read_b32 v11, v1 offset:260
	s_ashr_i32 s0, s37, 31
	s_mul_hi_u32 s1, s37, s6
	s_mul_i32 s0, s0, s6
	s_add_i32 s1, s1, s0
	s_mul_i32 s0, s37, s6
	s_add_u32 s14, s24, s0
	s_addc_u32 s15, s25, s1
	s_mul_i32 s16, s50, 3
	s_lshl_b32 s17, s50, 1
	s_mov_b64 s[0:1], 0
	v_mov_b32_e32 v12, s48
	v_mov_b32_e32 v13, s31
	s_mov_b32 s18, 0x43800000
	s_mov_b32 s19, 0x3bffffff
	;; [unrolled: 1-line block ×4, first 2 shown]
	s_movk_i32 s22, 0x80
	s_mov_b32 s23, 0x4020c0c
	s_branch .LBB10_81
.LBB10_76:                              ;   in Loop: Header=BB10_81 Depth=1
	s_or_b64 exec, exec, s[12:13]
.LBB10_77:                              ;   in Loop: Header=BB10_81 Depth=1
	s_or_b64 exec, exec, s[8:9]
	v_lshlrev_b64 v[14:15], 2, v[0:1]
	v_mov_b32_e32 v0, s15
	v_add_co_u32_e32 v14, vcc, s14, v14
	v_addc_co_u32_e32 v15, vcc, v0, v15, vcc
	v_lshlrev_b32_e32 v0, 16, v6
	v_lshlrev_b32_e32 v3, 8, v3
	v_perm_b32 v0, v4, v0, s23
	v_and_b32_e32 v3, 0xff00, v3
	v_and_b32_e32 v4, 0xff, v8
	s_add_i32 s8, s50, s50
	v_or3_b32 v0, v0, v3, v4
	s_add_i32 s8, s8, s50
	global_store_dword v[14:15], v0, off
	v_add_u32_e32 v0, s8, v2
	v_cmp_le_u32_e32 vcc, s49, v0
	s_orn2_b64 s[8:9], vcc, exec
.LBB10_78:                              ;   in Loop: Header=BB10_81 Depth=1
	s_or_b64 exec, exec, s[6:7]
	s_orn2_b64 s[6:7], s[8:9], exec
.LBB10_79:                              ;   in Loop: Header=BB10_81 Depth=1
	s_or_b64 exec, exec, s[4:5]
	s_orn2_b64 s[4:5], s[6:7], exec
.LBB10_80:                              ;   in Loop: Header=BB10_81 Depth=1
	s_or_b64 exec, exec, s[2:3]
	s_and_b64 s[2:3], exec, s[4:5]
	s_or_b64 s[0:1], s[2:3], s[0:1]
	s_andn2_b64 exec, exec, s[0:1]
	s_cbranch_execz .LBB10_211
.LBB10_81:                              ; =>This Inner Loop Header: Depth=1
	v_lshlrev_b64 v[4:5], 3, v[0:1]
	v_add_co_u32_e32 v2, vcc, s33, v4
	v_addc_co_u32_e32 v3, vcc, v12, v5, vcc
	v_add_co_u32_e32 v4, vcc, s30, v4
	global_load_dwordx2 v[2:3], v[2:3], off
	v_addc_co_u32_e32 v5, vcc, v13, v5, vcc
	global_load_dwordx2 v[4:5], v[4:5], off
	s_waitcnt vmcnt(1)
	v_fma_mixlo_f16 v6, v10, v2, 0 op_sel_hi:[0,1,0]
	s_waitcnt vmcnt(0)
	v_mul_f16_e32 v6, v4, v6
	v_cvt_f32_f16_e32 v7, v6
	v_mov_b32_e32 v6, 0x80
	s_waitcnt lgkmcnt(0)
	v_div_scale_f32 v8, s[2:3], v11, v11, v7
	v_rcp_f32_e32 v9, v8
	v_div_scale_f32 v14, vcc, v7, v11, v7
	v_fma_f32 v15, -v8, v9, 1.0
	v_fmac_f32_e32 v9, v15, v9
	v_mul_f32_e32 v15, v14, v9
	v_fma_f32 v16, -v8, v15, v14
	v_fmac_f32_e32 v15, v16, v9
	v_fma_f32 v8, -v8, v15, v14
	v_div_fmas_f32 v8, v8, v9, v15
	v_div_fixup_f32 v7, v8, v11, v7
	v_min_f32_e32 v7, 0x43600000, v7
	v_max_f32_e32 v8, 0xc3600000, v7
	v_and_b32_e32 v9, 0x7fffffff, v8
	v_cmp_gt_u32_e32 vcc, s18, v9
	v_mov_b32_e32 v7, 0x80
	s_and_saveexec_b64 s[2:3], vcc
	s_cbranch_execz .LBB10_87
; %bb.82:                               ;   in Loop: Header=BB10_81 Depth=1
	v_cmp_lt_u32_e32 vcc, s19, v9
	s_mov_b64 s[4:5], 0
                                        ; implicit-def: $vgpr9
	s_and_saveexec_b64 s[6:7], vcc
	s_xor_b64 s[6:7], exec, s[6:7]
	s_cbranch_execnz .LBB10_178
; %bb.83:                               ;   in Loop: Header=BB10_81 Depth=1
	s_or_saveexec_b64 s[6:7], s[6:7]
                                        ; implicit-def: $sgpr8
	s_xor_b64 exec, exec, s[6:7]
	s_cbranch_execnz .LBB10_179
.LBB10_84:                              ;   in Loop: Header=BB10_81 Depth=1
	s_or_b64 exec, exec, s[6:7]
	v_mov_b32_e32 v7, s8
	s_and_saveexec_b64 s[6:7], s[4:5]
.LBB10_85:                              ;   in Loop: Header=BB10_81 Depth=1
	v_lshrrev_b32_e32 v7, 24, v8
	v_and_or_b32 v7, v7, s22, v9
.LBB10_86:                              ;   in Loop: Header=BB10_81 Depth=1
	s_or_b64 exec, exec, s[6:7]
.LBB10_87:                              ;   in Loop: Header=BB10_81 Depth=1
	s_or_b64 exec, exec, s[2:3]
	v_fma_mixlo_f16 v2, v10, v2, 0 op_sel:[0,1,0] op_sel_hi:[0,1,0]
	v_mul_f16_sdwa v2, v4, v2 dst_sel:DWORD dst_unused:UNUSED_PAD src0_sel:WORD_1 src1_sel:DWORD
	v_cvt_f32_f16_e32 v2, v2
	v_div_scale_f32 v4, s[2:3], v11, v11, v2
	v_rcp_f32_e32 v8, v4
	v_div_scale_f32 v9, vcc, v2, v11, v2
	v_fma_f32 v14, -v4, v8, 1.0
	v_fmac_f32_e32 v8, v14, v8
	v_mul_f32_e32 v14, v9, v8
	v_fma_f32 v15, -v4, v14, v9
	v_fmac_f32_e32 v14, v15, v8
	v_fma_f32 v4, -v4, v14, v9
	v_div_fmas_f32 v4, v4, v8, v14
	v_div_fixup_f32 v2, v4, v11, v2
	v_min_f32_e32 v2, 0x43600000, v2
	v_max_f32_e32 v2, 0xc3600000, v2
	v_and_b32_e32 v4, 0x7fffffff, v2
	v_cmp_gt_u32_e32 vcc, s18, v4
	s_and_saveexec_b64 s[2:3], vcc
	s_cbranch_execz .LBB10_93
; %bb.88:                               ;   in Loop: Header=BB10_81 Depth=1
	v_cmp_lt_u32_e32 vcc, s19, v4
	s_mov_b64 s[4:5], 0
                                        ; implicit-def: $vgpr4
	s_and_saveexec_b64 s[6:7], vcc
	s_xor_b64 s[6:7], exec, s[6:7]
	s_cbranch_execnz .LBB10_180
; %bb.89:                               ;   in Loop: Header=BB10_81 Depth=1
	s_or_saveexec_b64 s[6:7], s[6:7]
                                        ; implicit-def: $sgpr8
	s_xor_b64 exec, exec, s[6:7]
	s_cbranch_execnz .LBB10_181
.LBB10_90:                              ;   in Loop: Header=BB10_81 Depth=1
	s_or_b64 exec, exec, s[6:7]
	v_mov_b32_e32 v6, s8
	s_and_saveexec_b64 s[6:7], s[4:5]
.LBB10_91:                              ;   in Loop: Header=BB10_81 Depth=1
	v_lshrrev_b32_e32 v2, 24, v2
	v_and_or_b32 v6, v2, s22, v4
.LBB10_92:                              ;   in Loop: Header=BB10_81 Depth=1
	s_or_b64 exec, exec, s[6:7]
.LBB10_93:                              ;   in Loop: Header=BB10_81 Depth=1
	s_or_b64 exec, exec, s[2:3]
	v_fma_mixlo_f16 v2, v10, v3, 0 op_sel_hi:[0,1,0]
	v_mul_f16_e32 v2, v5, v2
	v_cvt_f32_f16_e32 v4, v2
	v_mov_b32_e32 v2, 0x80
	v_div_scale_f32 v8, s[2:3], v11, v11, v4
	v_rcp_f32_e32 v9, v8
	v_div_scale_f32 v14, vcc, v4, v11, v4
	v_fma_f32 v15, -v8, v9, 1.0
	v_fmac_f32_e32 v9, v15, v9
	v_mul_f32_e32 v15, v14, v9
	v_fma_f32 v16, -v8, v15, v14
	v_fmac_f32_e32 v15, v16, v9
	v_fma_f32 v8, -v8, v15, v14
	v_div_fmas_f32 v8, v8, v9, v15
	v_div_fixup_f32 v4, v8, v11, v4
	v_min_f32_e32 v4, 0x43600000, v4
	v_max_f32_e32 v8, 0xc3600000, v4
	v_and_b32_e32 v9, 0x7fffffff, v8
	v_cmp_gt_u32_e32 vcc, s18, v9
	v_mov_b32_e32 v4, 0x80
	s_and_saveexec_b64 s[2:3], vcc
	s_cbranch_execz .LBB10_99
; %bb.94:                               ;   in Loop: Header=BB10_81 Depth=1
	v_cmp_lt_u32_e32 vcc, s19, v9
	s_mov_b64 s[4:5], 0
                                        ; implicit-def: $vgpr9
	s_and_saveexec_b64 s[6:7], vcc
	s_xor_b64 s[6:7], exec, s[6:7]
	s_cbranch_execnz .LBB10_182
; %bb.95:                               ;   in Loop: Header=BB10_81 Depth=1
	s_or_saveexec_b64 s[6:7], s[6:7]
                                        ; implicit-def: $sgpr8
	s_xor_b64 exec, exec, s[6:7]
	s_cbranch_execnz .LBB10_183
.LBB10_96:                              ;   in Loop: Header=BB10_81 Depth=1
	s_or_b64 exec, exec, s[6:7]
	v_mov_b32_e32 v4, s8
	s_and_saveexec_b64 s[6:7], s[4:5]
.LBB10_97:                              ;   in Loop: Header=BB10_81 Depth=1
	v_lshrrev_b32_e32 v4, 24, v8
	v_and_or_b32 v4, v4, s22, v9
.LBB10_98:                              ;   in Loop: Header=BB10_81 Depth=1
	s_or_b64 exec, exec, s[6:7]
.LBB10_99:                              ;   in Loop: Header=BB10_81 Depth=1
	s_or_b64 exec, exec, s[2:3]
	v_fma_mixlo_f16 v3, v10, v3, 0 op_sel:[0,1,0] op_sel_hi:[0,1,0]
	v_mul_f16_sdwa v3, v5, v3 dst_sel:DWORD dst_unused:UNUSED_PAD src0_sel:WORD_1 src1_sel:DWORD
	v_cvt_f32_f16_e32 v3, v3
	v_div_scale_f32 v5, s[2:3], v11, v11, v3
	v_rcp_f32_e32 v8, v5
	v_div_scale_f32 v9, vcc, v3, v11, v3
	v_fma_f32 v14, -v5, v8, 1.0
	v_fmac_f32_e32 v8, v14, v8
	v_mul_f32_e32 v14, v9, v8
	v_fma_f32 v15, -v5, v14, v9
	v_fmac_f32_e32 v14, v15, v8
	v_fma_f32 v5, -v5, v14, v9
	v_div_fmas_f32 v5, v5, v8, v14
	v_div_fixup_f32 v3, v5, v11, v3
	v_min_f32_e32 v3, 0x43600000, v3
	v_max_f32_e32 v3, 0xc3600000, v3
	v_and_b32_e32 v5, 0x7fffffff, v3
	v_cmp_gt_u32_e32 vcc, s18, v5
	s_and_saveexec_b64 s[2:3], vcc
	s_cbranch_execz .LBB10_105
; %bb.100:                              ;   in Loop: Header=BB10_81 Depth=1
	v_cmp_lt_u32_e32 vcc, s19, v5
	s_mov_b64 s[4:5], 0
                                        ; implicit-def: $vgpr5
	s_and_saveexec_b64 s[6:7], vcc
	s_xor_b64 s[6:7], exec, s[6:7]
	s_cbranch_execnz .LBB10_184
; %bb.101:                              ;   in Loop: Header=BB10_81 Depth=1
	s_or_saveexec_b64 s[6:7], s[6:7]
                                        ; implicit-def: $sgpr8
	s_xor_b64 exec, exec, s[6:7]
	s_cbranch_execnz .LBB10_185
.LBB10_102:                             ;   in Loop: Header=BB10_81 Depth=1
	s_or_b64 exec, exec, s[6:7]
	v_mov_b32_e32 v2, s8
	s_and_saveexec_b64 s[6:7], s[4:5]
.LBB10_103:                             ;   in Loop: Header=BB10_81 Depth=1
	v_lshrrev_b32_e32 v2, 24, v3
	v_and_or_b32 v2, v2, s22, v5
.LBB10_104:                             ;   in Loop: Header=BB10_81 Depth=1
	s_or_b64 exec, exec, s[6:7]
.LBB10_105:                             ;   in Loop: Header=BB10_81 Depth=1
	s_or_b64 exec, exec, s[2:3]
	v_lshlrev_b64 v[8:9], 2, v[0:1]
	v_mov_b32_e32 v3, s15
	v_add_co_u32_e32 v8, vcc, s14, v8
	v_addc_co_u32_e32 v9, vcc, v3, v9, vcc
	v_lshlrev_b32_e32 v3, 16, v4
	v_perm_b32 v2, v2, v3, s23
	v_lshlrev_b32_e32 v3, 8, v6
	v_and_b32_e32 v3, 0xff00, v3
	v_and_b32_e32 v4, 0xff, v7
	v_or3_b32 v2, v2, v3, v4
	global_store_dword v[8:9], v2, off
	v_add_u32_e32 v2, s50, v0
	v_cmp_gt_u32_e32 vcc, s49, v2
	s_mov_b64 s[4:5], -1
	s_and_saveexec_b64 s[2:3], vcc
	s_cbranch_execz .LBB10_80
; %bb.106:                              ;   in Loop: Header=BB10_81 Depth=1
	v_mov_b32_e32 v3, v1
	v_lshlrev_b64 v[6:7], 3, v[2:3]
	v_mov_b32_e32 v5, s48
	v_add_co_u32_e32 v4, vcc, s33, v6
	v_addc_co_u32_e32 v5, vcc, v5, v7, vcc
	v_mov_b32_e32 v8, s31
	v_add_co_u32_e32 v6, vcc, s30, v6
	global_load_dwordx2 v[4:5], v[4:5], off
	v_addc_co_u32_e32 v7, vcc, v8, v7, vcc
	global_load_dwordx2 v[6:7], v[6:7], off
	s_waitcnt vmcnt(1)
	v_fma_mixlo_f16 v8, v10, v4, 0 op_sel_hi:[0,1,0]
	s_waitcnt vmcnt(0)
	v_mul_f16_e32 v8, v6, v8
	v_cvt_f32_f16_e32 v9, v8
	v_mov_b32_e32 v8, 0x80
	v_div_scale_f32 v14, s[4:5], v11, v11, v9
	v_rcp_f32_e32 v15, v14
	v_div_scale_f32 v16, vcc, v9, v11, v9
	v_fma_f32 v17, -v14, v15, 1.0
	v_fmac_f32_e32 v15, v17, v15
	v_mul_f32_e32 v17, v16, v15
	v_fma_f32 v18, -v14, v17, v16
	v_fmac_f32_e32 v17, v18, v15
	v_fma_f32 v14, -v14, v17, v16
	v_div_fmas_f32 v14, v14, v15, v17
	v_div_fixup_f32 v9, v14, v11, v9
	v_min_f32_e32 v9, 0x43600000, v9
	v_max_f32_e32 v14, 0xc3600000, v9
	v_and_b32_e32 v15, 0x7fffffff, v14
	v_cmp_gt_u32_e32 vcc, s18, v15
	v_mov_b32_e32 v9, 0x80
	s_and_saveexec_b64 s[4:5], vcc
	s_cbranch_execz .LBB10_112
; %bb.107:                              ;   in Loop: Header=BB10_81 Depth=1
	v_cmp_lt_u32_e32 vcc, s19, v15
	s_mov_b64 s[6:7], 0
                                        ; implicit-def: $vgpr15
	s_and_saveexec_b64 s[8:9], vcc
	s_xor_b64 s[8:9], exec, s[8:9]
	s_cbranch_execnz .LBB10_186
; %bb.108:                              ;   in Loop: Header=BB10_81 Depth=1
	s_or_saveexec_b64 s[8:9], s[8:9]
                                        ; implicit-def: $sgpr10
	s_xor_b64 exec, exec, s[8:9]
	s_cbranch_execnz .LBB10_187
.LBB10_109:                             ;   in Loop: Header=BB10_81 Depth=1
	s_or_b64 exec, exec, s[8:9]
	v_mov_b32_e32 v9, s10
	s_and_saveexec_b64 s[8:9], s[6:7]
.LBB10_110:                             ;   in Loop: Header=BB10_81 Depth=1
	v_lshrrev_b32_e32 v9, 24, v14
	v_and_or_b32 v9, v9, s22, v15
.LBB10_111:                             ;   in Loop: Header=BB10_81 Depth=1
	s_or_b64 exec, exec, s[8:9]
.LBB10_112:                             ;   in Loop: Header=BB10_81 Depth=1
	s_or_b64 exec, exec, s[4:5]
	v_fma_mixlo_f16 v4, v10, v4, 0 op_sel:[0,1,0] op_sel_hi:[0,1,0]
	v_mul_f16_sdwa v4, v6, v4 dst_sel:DWORD dst_unused:UNUSED_PAD src0_sel:WORD_1 src1_sel:DWORD
	v_cvt_f32_f16_e32 v4, v4
	v_div_scale_f32 v6, s[4:5], v11, v11, v4
	v_rcp_f32_e32 v14, v6
	v_div_scale_f32 v15, vcc, v4, v11, v4
	v_fma_f32 v16, -v6, v14, 1.0
	v_fmac_f32_e32 v14, v16, v14
	v_mul_f32_e32 v16, v15, v14
	v_fma_f32 v17, -v6, v16, v15
	v_fmac_f32_e32 v16, v17, v14
	v_fma_f32 v6, -v6, v16, v15
	v_div_fmas_f32 v6, v6, v14, v16
	v_div_fixup_f32 v4, v6, v11, v4
	v_min_f32_e32 v4, 0x43600000, v4
	v_max_f32_e32 v4, 0xc3600000, v4
	v_and_b32_e32 v6, 0x7fffffff, v4
	v_cmp_gt_u32_e32 vcc, s18, v6
	s_and_saveexec_b64 s[4:5], vcc
	s_cbranch_execz .LBB10_118
; %bb.113:                              ;   in Loop: Header=BB10_81 Depth=1
	v_cmp_lt_u32_e32 vcc, s19, v6
	s_mov_b64 s[6:7], 0
                                        ; implicit-def: $vgpr6
	s_and_saveexec_b64 s[8:9], vcc
	s_xor_b64 s[8:9], exec, s[8:9]
	s_cbranch_execnz .LBB10_188
; %bb.114:                              ;   in Loop: Header=BB10_81 Depth=1
	s_or_saveexec_b64 s[8:9], s[8:9]
                                        ; implicit-def: $sgpr10
	s_xor_b64 exec, exec, s[8:9]
	s_cbranch_execnz .LBB10_189
.LBB10_115:                             ;   in Loop: Header=BB10_81 Depth=1
	s_or_b64 exec, exec, s[8:9]
	v_mov_b32_e32 v8, s10
	s_and_saveexec_b64 s[8:9], s[6:7]
.LBB10_116:                             ;   in Loop: Header=BB10_81 Depth=1
	v_lshrrev_b32_e32 v4, 24, v4
	v_and_or_b32 v8, v4, s22, v6
.LBB10_117:                             ;   in Loop: Header=BB10_81 Depth=1
	s_or_b64 exec, exec, s[8:9]
.LBB10_118:                             ;   in Loop: Header=BB10_81 Depth=1
	s_or_b64 exec, exec, s[4:5]
	v_fma_mixlo_f16 v4, v10, v5, 0 op_sel_hi:[0,1,0]
	v_mul_f16_e32 v4, v7, v4
	v_cvt_f32_f16_e32 v6, v4
	v_mov_b32_e32 v4, 0x80
	v_div_scale_f32 v14, s[4:5], v11, v11, v6
	v_rcp_f32_e32 v15, v14
	v_div_scale_f32 v16, vcc, v6, v11, v6
	v_fma_f32 v17, -v14, v15, 1.0
	v_fmac_f32_e32 v15, v17, v15
	v_mul_f32_e32 v17, v16, v15
	v_fma_f32 v18, -v14, v17, v16
	v_fmac_f32_e32 v17, v18, v15
	v_fma_f32 v14, -v14, v17, v16
	v_div_fmas_f32 v14, v14, v15, v17
	v_div_fixup_f32 v6, v14, v11, v6
	v_min_f32_e32 v6, 0x43600000, v6
	v_max_f32_e32 v14, 0xc3600000, v6
	v_and_b32_e32 v15, 0x7fffffff, v14
	v_cmp_gt_u32_e32 vcc, s18, v15
	v_mov_b32_e32 v6, 0x80
	s_and_saveexec_b64 s[4:5], vcc
	s_cbranch_execz .LBB10_124
; %bb.119:                              ;   in Loop: Header=BB10_81 Depth=1
	v_cmp_lt_u32_e32 vcc, s19, v15
	s_mov_b64 s[6:7], 0
                                        ; implicit-def: $vgpr15
	s_and_saveexec_b64 s[8:9], vcc
	s_xor_b64 s[8:9], exec, s[8:9]
	s_cbranch_execnz .LBB10_190
; %bb.120:                              ;   in Loop: Header=BB10_81 Depth=1
	s_or_saveexec_b64 s[8:9], s[8:9]
                                        ; implicit-def: $sgpr10
	s_xor_b64 exec, exec, s[8:9]
	s_cbranch_execnz .LBB10_191
.LBB10_121:                             ;   in Loop: Header=BB10_81 Depth=1
	s_or_b64 exec, exec, s[8:9]
	v_mov_b32_e32 v6, s10
	s_and_saveexec_b64 s[8:9], s[6:7]
.LBB10_122:                             ;   in Loop: Header=BB10_81 Depth=1
	v_lshrrev_b32_e32 v6, 24, v14
	v_and_or_b32 v6, v6, s22, v15
.LBB10_123:                             ;   in Loop: Header=BB10_81 Depth=1
	s_or_b64 exec, exec, s[8:9]
.LBB10_124:                             ;   in Loop: Header=BB10_81 Depth=1
	s_or_b64 exec, exec, s[4:5]
	v_fma_mixlo_f16 v5, v10, v5, 0 op_sel:[0,1,0] op_sel_hi:[0,1,0]
	v_mul_f16_sdwa v5, v7, v5 dst_sel:DWORD dst_unused:UNUSED_PAD src0_sel:WORD_1 src1_sel:DWORD
	v_cvt_f32_f16_e32 v5, v5
	v_div_scale_f32 v7, s[4:5], v11, v11, v5
	v_rcp_f32_e32 v14, v7
	v_div_scale_f32 v15, vcc, v5, v11, v5
	v_fma_f32 v16, -v7, v14, 1.0
	v_fmac_f32_e32 v14, v16, v14
	v_mul_f32_e32 v16, v15, v14
	v_fma_f32 v17, -v7, v16, v15
	v_fmac_f32_e32 v16, v17, v14
	v_fma_f32 v7, -v7, v16, v15
	v_div_fmas_f32 v7, v7, v14, v16
	v_div_fixup_f32 v5, v7, v11, v5
	v_min_f32_e32 v5, 0x43600000, v5
	v_max_f32_e32 v5, 0xc3600000, v5
	v_and_b32_e32 v7, 0x7fffffff, v5
	v_cmp_gt_u32_e32 vcc, s18, v7
	s_and_saveexec_b64 s[4:5], vcc
	s_cbranch_execz .LBB10_130
; %bb.125:                              ;   in Loop: Header=BB10_81 Depth=1
	v_cmp_lt_u32_e32 vcc, s19, v7
	s_mov_b64 s[6:7], 0
                                        ; implicit-def: $vgpr7
	s_and_saveexec_b64 s[8:9], vcc
	s_xor_b64 s[8:9], exec, s[8:9]
	s_cbranch_execnz .LBB10_192
; %bb.126:                              ;   in Loop: Header=BB10_81 Depth=1
	s_or_saveexec_b64 s[8:9], s[8:9]
                                        ; implicit-def: $sgpr10
	s_xor_b64 exec, exec, s[8:9]
	s_cbranch_execnz .LBB10_193
.LBB10_127:                             ;   in Loop: Header=BB10_81 Depth=1
	s_or_b64 exec, exec, s[8:9]
	v_mov_b32_e32 v4, s10
	s_and_saveexec_b64 s[8:9], s[6:7]
.LBB10_128:                             ;   in Loop: Header=BB10_81 Depth=1
	v_lshrrev_b32_e32 v4, 24, v5
	v_and_or_b32 v4, v4, s22, v7
.LBB10_129:                             ;   in Loop: Header=BB10_81 Depth=1
	s_or_b64 exec, exec, s[8:9]
.LBB10_130:                             ;   in Loop: Header=BB10_81 Depth=1
	s_or_b64 exec, exec, s[4:5]
	v_lshlrev_b64 v[14:15], 2, v[2:3]
	v_mov_b32_e32 v3, s15
	v_add_co_u32_e32 v14, vcc, s14, v14
	v_addc_co_u32_e32 v15, vcc, v3, v15, vcc
	v_lshlrev_b32_e32 v3, 16, v6
	v_perm_b32 v3, v4, v3, s23
	v_lshlrev_b32_e32 v4, 8, v8
	v_and_b32_e32 v4, 0xff00, v4
	v_and_b32_e32 v5, 0xff, v9
	v_or3_b32 v3, v3, v4, v5
	v_add_u32_e32 v4, s17, v0
	v_cmp_gt_u32_e32 vcc, s49, v4
	s_mov_b64 s[6:7], -1
	global_store_dword v[14:15], v3, off
	s_and_saveexec_b64 s[4:5], vcc
	s_cbranch_execz .LBB10_79
; %bb.131:                              ;   in Loop: Header=BB10_81 Depth=1
	v_mov_b32_e32 v5, v1
	v_lshlrev_b64 v[8:9], 3, v[4:5]
	v_mov_b32_e32 v3, s48
	v_add_co_u32_e32 v6, vcc, s33, v8
	v_addc_co_u32_e32 v7, vcc, v3, v9, vcc
	v_mov_b32_e32 v3, s31
	v_add_co_u32_e32 v8, vcc, s30, v8
	global_load_dwordx2 v[6:7], v[6:7], off
	v_addc_co_u32_e32 v9, vcc, v3, v9, vcc
	global_load_dwordx2 v[8:9], v[8:9], off
	s_waitcnt vmcnt(1)
	v_fma_mixlo_f16 v3, v10, v6, 0 op_sel_hi:[0,1,0]
	s_waitcnt vmcnt(0)
	v_mul_f16_e32 v3, v8, v3
	v_cvt_f32_f16_e32 v14, v3
	v_mov_b32_e32 v3, 0x80
	v_div_scale_f32 v15, s[6:7], v11, v11, v14
	v_rcp_f32_e32 v16, v15
	v_div_scale_f32 v17, vcc, v14, v11, v14
	v_fma_f32 v18, -v15, v16, 1.0
	v_fmac_f32_e32 v16, v18, v16
	v_mul_f32_e32 v18, v17, v16
	v_fma_f32 v19, -v15, v18, v17
	v_fmac_f32_e32 v18, v19, v16
	v_fma_f32 v15, -v15, v18, v17
	v_div_fmas_f32 v15, v15, v16, v18
	v_div_fixup_f32 v14, v15, v11, v14
	v_min_f32_e32 v14, 0x43600000, v14
	v_max_f32_e32 v15, 0xc3600000, v14
	v_and_b32_e32 v16, 0x7fffffff, v15
	v_cmp_gt_u32_e32 vcc, s18, v16
	v_mov_b32_e32 v14, 0x80
	s_and_saveexec_b64 s[6:7], vcc
	s_cbranch_execz .LBB10_137
; %bb.132:                              ;   in Loop: Header=BB10_81 Depth=1
	v_cmp_lt_u32_e32 vcc, s19, v16
	s_mov_b64 s[8:9], 0
                                        ; implicit-def: $vgpr16
	s_and_saveexec_b64 s[10:11], vcc
	s_xor_b64 s[10:11], exec, s[10:11]
	s_cbranch_execnz .LBB10_194
; %bb.133:                              ;   in Loop: Header=BB10_81 Depth=1
	s_or_saveexec_b64 s[10:11], s[10:11]
                                        ; implicit-def: $sgpr12
	s_xor_b64 exec, exec, s[10:11]
	s_cbranch_execnz .LBB10_195
.LBB10_134:                             ;   in Loop: Header=BB10_81 Depth=1
	s_or_b64 exec, exec, s[10:11]
	v_mov_b32_e32 v14, s12
	s_and_saveexec_b64 s[10:11], s[8:9]
.LBB10_135:                             ;   in Loop: Header=BB10_81 Depth=1
	v_lshrrev_b32_e32 v14, 24, v15
	v_and_or_b32 v14, v14, s22, v16
.LBB10_136:                             ;   in Loop: Header=BB10_81 Depth=1
	s_or_b64 exec, exec, s[10:11]
.LBB10_137:                             ;   in Loop: Header=BB10_81 Depth=1
	s_or_b64 exec, exec, s[6:7]
	v_fma_mixlo_f16 v6, v10, v6, 0 op_sel:[0,1,0] op_sel_hi:[0,1,0]
	v_mul_f16_sdwa v6, v8, v6 dst_sel:DWORD dst_unused:UNUSED_PAD src0_sel:WORD_1 src1_sel:DWORD
	v_cvt_f32_f16_e32 v6, v6
	v_div_scale_f32 v8, s[6:7], v11, v11, v6
	v_rcp_f32_e32 v15, v8
	v_div_scale_f32 v16, vcc, v6, v11, v6
	v_fma_f32 v17, -v8, v15, 1.0
	v_fmac_f32_e32 v15, v17, v15
	v_mul_f32_e32 v17, v16, v15
	v_fma_f32 v18, -v8, v17, v16
	v_fmac_f32_e32 v17, v18, v15
	v_fma_f32 v8, -v8, v17, v16
	v_div_fmas_f32 v8, v8, v15, v17
	v_div_fixup_f32 v6, v8, v11, v6
	v_min_f32_e32 v6, 0x43600000, v6
	v_max_f32_e32 v6, 0xc3600000, v6
	v_and_b32_e32 v8, 0x7fffffff, v6
	v_cmp_gt_u32_e32 vcc, s18, v8
	s_and_saveexec_b64 s[6:7], vcc
	s_cbranch_execz .LBB10_143
; %bb.138:                              ;   in Loop: Header=BB10_81 Depth=1
	v_cmp_lt_u32_e32 vcc, s19, v8
	s_mov_b64 s[8:9], 0
                                        ; implicit-def: $vgpr8
	s_and_saveexec_b64 s[10:11], vcc
	s_xor_b64 s[10:11], exec, s[10:11]
	s_cbranch_execnz .LBB10_196
; %bb.139:                              ;   in Loop: Header=BB10_81 Depth=1
	s_or_saveexec_b64 s[10:11], s[10:11]
                                        ; implicit-def: $sgpr12
	s_xor_b64 exec, exec, s[10:11]
	s_cbranch_execnz .LBB10_197
.LBB10_140:                             ;   in Loop: Header=BB10_81 Depth=1
	s_or_b64 exec, exec, s[10:11]
	v_mov_b32_e32 v3, s12
	s_and_saveexec_b64 s[10:11], s[8:9]
.LBB10_141:                             ;   in Loop: Header=BB10_81 Depth=1
	v_lshrrev_b32_e32 v3, 24, v6
	v_and_or_b32 v3, v3, s22, v8
.LBB10_142:                             ;   in Loop: Header=BB10_81 Depth=1
	s_or_b64 exec, exec, s[10:11]
.LBB10_143:                             ;   in Loop: Header=BB10_81 Depth=1
	s_or_b64 exec, exec, s[6:7]
	v_fma_mixlo_f16 v6, v10, v7, 0 op_sel_hi:[0,1,0]
	v_mul_f16_e32 v6, v9, v6
	v_cvt_f32_f16_e32 v8, v6
	v_mov_b32_e32 v6, 0x80
	v_div_scale_f32 v15, s[6:7], v11, v11, v8
	v_rcp_f32_e32 v16, v15
	v_div_scale_f32 v17, vcc, v8, v11, v8
	v_fma_f32 v18, -v15, v16, 1.0
	v_fmac_f32_e32 v16, v18, v16
	v_mul_f32_e32 v18, v17, v16
	v_fma_f32 v19, -v15, v18, v17
	v_fmac_f32_e32 v18, v19, v16
	v_fma_f32 v15, -v15, v18, v17
	v_div_fmas_f32 v15, v15, v16, v18
	v_div_fixup_f32 v8, v15, v11, v8
	v_min_f32_e32 v8, 0x43600000, v8
	v_max_f32_e32 v15, 0xc3600000, v8
	v_and_b32_e32 v16, 0x7fffffff, v15
	v_cmp_gt_u32_e32 vcc, s18, v16
	v_mov_b32_e32 v8, 0x80
	s_and_saveexec_b64 s[6:7], vcc
	s_cbranch_execz .LBB10_149
; %bb.144:                              ;   in Loop: Header=BB10_81 Depth=1
	v_cmp_lt_u32_e32 vcc, s19, v16
	s_mov_b64 s[8:9], 0
                                        ; implicit-def: $vgpr16
	s_and_saveexec_b64 s[10:11], vcc
	s_xor_b64 s[10:11], exec, s[10:11]
	s_cbranch_execnz .LBB10_198
; %bb.145:                              ;   in Loop: Header=BB10_81 Depth=1
	s_or_saveexec_b64 s[10:11], s[10:11]
                                        ; implicit-def: $sgpr12
	s_xor_b64 exec, exec, s[10:11]
	s_cbranch_execnz .LBB10_199
.LBB10_146:                             ;   in Loop: Header=BB10_81 Depth=1
	s_or_b64 exec, exec, s[10:11]
	v_mov_b32_e32 v8, s12
	s_and_saveexec_b64 s[10:11], s[8:9]
.LBB10_147:                             ;   in Loop: Header=BB10_81 Depth=1
	v_lshrrev_b32_e32 v8, 24, v15
	v_and_or_b32 v8, v8, s22, v16
.LBB10_148:                             ;   in Loop: Header=BB10_81 Depth=1
	s_or_b64 exec, exec, s[10:11]
.LBB10_149:                             ;   in Loop: Header=BB10_81 Depth=1
	s_or_b64 exec, exec, s[6:7]
	v_fma_mixlo_f16 v7, v10, v7, 0 op_sel:[0,1,0] op_sel_hi:[0,1,0]
	v_mul_f16_sdwa v7, v9, v7 dst_sel:DWORD dst_unused:UNUSED_PAD src0_sel:WORD_1 src1_sel:DWORD
	v_cvt_f32_f16_e32 v7, v7
	v_div_scale_f32 v9, s[6:7], v11, v11, v7
	v_rcp_f32_e32 v15, v9
	v_div_scale_f32 v16, vcc, v7, v11, v7
	v_fma_f32 v17, -v9, v15, 1.0
	v_fmac_f32_e32 v15, v17, v15
	v_mul_f32_e32 v17, v16, v15
	v_fma_f32 v18, -v9, v17, v16
	v_fmac_f32_e32 v17, v18, v15
	v_fma_f32 v9, -v9, v17, v16
	v_div_fmas_f32 v9, v9, v15, v17
	v_div_fixup_f32 v7, v9, v11, v7
	v_min_f32_e32 v7, 0x43600000, v7
	v_max_f32_e32 v7, 0xc3600000, v7
	v_and_b32_e32 v9, 0x7fffffff, v7
	v_cmp_gt_u32_e32 vcc, s18, v9
	s_and_saveexec_b64 s[6:7], vcc
	s_cbranch_execz .LBB10_155
; %bb.150:                              ;   in Loop: Header=BB10_81 Depth=1
	v_cmp_lt_u32_e32 vcc, s19, v9
	s_mov_b64 s[8:9], 0
                                        ; implicit-def: $vgpr9
	s_and_saveexec_b64 s[10:11], vcc
	s_xor_b64 s[10:11], exec, s[10:11]
	s_cbranch_execnz .LBB10_200
; %bb.151:                              ;   in Loop: Header=BB10_81 Depth=1
	s_or_saveexec_b64 s[10:11], s[10:11]
                                        ; implicit-def: $sgpr12
	s_xor_b64 exec, exec, s[10:11]
	s_cbranch_execnz .LBB10_201
.LBB10_152:                             ;   in Loop: Header=BB10_81 Depth=1
	s_or_b64 exec, exec, s[10:11]
	v_mov_b32_e32 v6, s12
	s_and_saveexec_b64 s[10:11], s[8:9]
.LBB10_153:                             ;   in Loop: Header=BB10_81 Depth=1
	v_lshrrev_b32_e32 v6, 24, v7
	v_and_or_b32 v6, v6, s22, v9
.LBB10_154:                             ;   in Loop: Header=BB10_81 Depth=1
	s_or_b64 exec, exec, s[10:11]
.LBB10_155:                             ;   in Loop: Header=BB10_81 Depth=1
	s_or_b64 exec, exec, s[6:7]
	v_lshlrev_b64 v[4:5], 2, v[4:5]
	v_mov_b32_e32 v7, s15
	v_add_co_u32_e32 v4, vcc, s14, v4
	v_addc_co_u32_e32 v5, vcc, v7, v5, vcc
	v_lshlrev_b32_e32 v7, 16, v8
	v_lshlrev_b32_e32 v3, 8, v3
	v_perm_b32 v6, v6, v7, s23
	v_and_b32_e32 v3, 0xff00, v3
	v_and_b32_e32 v7, 0xff, v14
	v_add_u32_e32 v0, s16, v0
	v_or3_b32 v3, v6, v3, v7
	v_cmp_gt_u32_e32 vcc, s49, v0
	s_mov_b64 s[8:9], -1
	global_store_dword v[4:5], v3, off
	s_and_saveexec_b64 s[6:7], vcc
	s_cbranch_execz .LBB10_78
; %bb.156:                              ;   in Loop: Header=BB10_81 Depth=1
	v_lshlrev_b64 v[6:7], 3, v[0:1]
	v_mov_b32_e32 v3, s48
	v_add_co_u32_e32 v4, vcc, s33, v6
	v_addc_co_u32_e32 v5, vcc, v3, v7, vcc
	v_mov_b32_e32 v3, s31
	v_add_co_u32_e32 v6, vcc, s30, v6
	global_load_dwordx2 v[4:5], v[4:5], off
	v_addc_co_u32_e32 v7, vcc, v3, v7, vcc
	global_load_dwordx2 v[6:7], v[6:7], off
	s_waitcnt vmcnt(1)
	v_fma_mixlo_f16 v3, v10, v4, 0 op_sel_hi:[0,1,0]
	s_waitcnt vmcnt(0)
	v_mul_f16_e32 v3, v6, v3
	v_cvt_f32_f16_e32 v8, v3
	v_mov_b32_e32 v3, 0x80
	v_div_scale_f32 v9, s[8:9], v11, v11, v8
	v_rcp_f32_e32 v14, v9
	v_div_scale_f32 v15, vcc, v8, v11, v8
	v_fma_f32 v16, -v9, v14, 1.0
	v_fmac_f32_e32 v14, v16, v14
	v_mul_f32_e32 v16, v15, v14
	v_fma_f32 v17, -v9, v16, v15
	v_fmac_f32_e32 v16, v17, v14
	v_fma_f32 v9, -v9, v16, v15
	v_div_fmas_f32 v9, v9, v14, v16
	v_div_fixup_f32 v8, v9, v11, v8
	v_min_f32_e32 v8, 0x43600000, v8
	v_max_f32_e32 v9, 0xc3600000, v8
	v_and_b32_e32 v14, 0x7fffffff, v9
	v_cmp_gt_u32_e32 vcc, s18, v14
	v_mov_b32_e32 v8, 0x80
	s_and_saveexec_b64 s[8:9], vcc
	s_cbranch_execz .LBB10_162
; %bb.157:                              ;   in Loop: Header=BB10_81 Depth=1
	v_cmp_lt_u32_e32 vcc, s19, v14
	s_mov_b64 s[10:11], 0
                                        ; implicit-def: $vgpr14
	s_and_saveexec_b64 s[12:13], vcc
	s_xor_b64 s[12:13], exec, s[12:13]
	s_cbranch_execnz .LBB10_202
; %bb.158:                              ;   in Loop: Header=BB10_81 Depth=1
	s_or_saveexec_b64 s[12:13], s[12:13]
                                        ; implicit-def: $sgpr24
	s_xor_b64 exec, exec, s[12:13]
	s_cbranch_execnz .LBB10_203
.LBB10_159:                             ;   in Loop: Header=BB10_81 Depth=1
	s_or_b64 exec, exec, s[12:13]
	v_mov_b32_e32 v8, s24
	s_and_saveexec_b64 s[12:13], s[10:11]
.LBB10_160:                             ;   in Loop: Header=BB10_81 Depth=1
	v_lshrrev_b32_e32 v8, 24, v9
	v_and_or_b32 v8, v8, s22, v14
.LBB10_161:                             ;   in Loop: Header=BB10_81 Depth=1
	s_or_b64 exec, exec, s[12:13]
.LBB10_162:                             ;   in Loop: Header=BB10_81 Depth=1
	s_or_b64 exec, exec, s[8:9]
	v_fma_mixlo_f16 v4, v10, v4, 0 op_sel:[0,1,0] op_sel_hi:[0,1,0]
	v_mul_f16_sdwa v4, v6, v4 dst_sel:DWORD dst_unused:UNUSED_PAD src0_sel:WORD_1 src1_sel:DWORD
	v_cvt_f32_f16_e32 v4, v4
	v_div_scale_f32 v6, s[8:9], v11, v11, v4
	v_rcp_f32_e32 v9, v6
	v_div_scale_f32 v14, vcc, v4, v11, v4
	v_fma_f32 v15, -v6, v9, 1.0
	v_fmac_f32_e32 v9, v15, v9
	v_mul_f32_e32 v15, v14, v9
	v_fma_f32 v16, -v6, v15, v14
	v_fmac_f32_e32 v15, v16, v9
	v_fma_f32 v6, -v6, v15, v14
	v_div_fmas_f32 v6, v6, v9, v15
	v_div_fixup_f32 v4, v6, v11, v4
	v_min_f32_e32 v4, 0x43600000, v4
	v_max_f32_e32 v4, 0xc3600000, v4
	v_and_b32_e32 v6, 0x7fffffff, v4
	v_cmp_gt_u32_e32 vcc, s18, v6
	s_and_saveexec_b64 s[8:9], vcc
	s_cbranch_execz .LBB10_168
; %bb.163:                              ;   in Loop: Header=BB10_81 Depth=1
	v_cmp_lt_u32_e32 vcc, s19, v6
	s_mov_b64 s[10:11], 0
                                        ; implicit-def: $vgpr6
	s_and_saveexec_b64 s[12:13], vcc
	s_xor_b64 s[12:13], exec, s[12:13]
	s_cbranch_execnz .LBB10_204
; %bb.164:                              ;   in Loop: Header=BB10_81 Depth=1
	s_or_saveexec_b64 s[12:13], s[12:13]
                                        ; implicit-def: $sgpr24
	s_xor_b64 exec, exec, s[12:13]
	s_cbranch_execnz .LBB10_205
.LBB10_165:                             ;   in Loop: Header=BB10_81 Depth=1
	s_or_b64 exec, exec, s[12:13]
	v_mov_b32_e32 v3, s24
	s_and_saveexec_b64 s[12:13], s[10:11]
.LBB10_166:                             ;   in Loop: Header=BB10_81 Depth=1
	v_lshrrev_b32_e32 v3, 24, v4
	v_and_or_b32 v3, v3, s22, v6
.LBB10_167:                             ;   in Loop: Header=BB10_81 Depth=1
	s_or_b64 exec, exec, s[12:13]
.LBB10_168:                             ;   in Loop: Header=BB10_81 Depth=1
	s_or_b64 exec, exec, s[8:9]
	v_fma_mixlo_f16 v4, v10, v5, 0 op_sel_hi:[0,1,0]
	v_mul_f16_e32 v4, v7, v4
	v_cvt_f32_f16_e32 v6, v4
	v_mov_b32_e32 v4, 0x80
	v_div_scale_f32 v9, s[8:9], v11, v11, v6
	v_rcp_f32_e32 v14, v9
	v_div_scale_f32 v15, vcc, v6, v11, v6
	v_fma_f32 v16, -v9, v14, 1.0
	v_fmac_f32_e32 v14, v16, v14
	v_mul_f32_e32 v16, v15, v14
	v_fma_f32 v17, -v9, v16, v15
	v_fmac_f32_e32 v16, v17, v14
	v_fma_f32 v9, -v9, v16, v15
	v_div_fmas_f32 v9, v9, v14, v16
	v_div_fixup_f32 v6, v9, v11, v6
	v_min_f32_e32 v6, 0x43600000, v6
	v_max_f32_e32 v9, 0xc3600000, v6
	v_and_b32_e32 v14, 0x7fffffff, v9
	v_cmp_gt_u32_e32 vcc, s18, v14
	v_mov_b32_e32 v6, 0x80
	s_and_saveexec_b64 s[8:9], vcc
	s_cbranch_execz .LBB10_174
; %bb.169:                              ;   in Loop: Header=BB10_81 Depth=1
	v_cmp_lt_u32_e32 vcc, s19, v14
	s_mov_b64 s[10:11], 0
                                        ; implicit-def: $vgpr14
	s_and_saveexec_b64 s[12:13], vcc
	s_xor_b64 s[12:13], exec, s[12:13]
	s_cbranch_execnz .LBB10_206
; %bb.170:                              ;   in Loop: Header=BB10_81 Depth=1
	s_or_saveexec_b64 s[12:13], s[12:13]
                                        ; implicit-def: $sgpr24
	s_xor_b64 exec, exec, s[12:13]
	s_cbranch_execnz .LBB10_207
.LBB10_171:                             ;   in Loop: Header=BB10_81 Depth=1
	s_or_b64 exec, exec, s[12:13]
	v_mov_b32_e32 v6, s24
	s_and_saveexec_b64 s[12:13], s[10:11]
.LBB10_172:                             ;   in Loop: Header=BB10_81 Depth=1
	v_lshrrev_b32_e32 v6, 24, v9
	v_and_or_b32 v6, v6, s22, v14
.LBB10_173:                             ;   in Loop: Header=BB10_81 Depth=1
	s_or_b64 exec, exec, s[12:13]
.LBB10_174:                             ;   in Loop: Header=BB10_81 Depth=1
	s_or_b64 exec, exec, s[8:9]
	v_fma_mixlo_f16 v5, v10, v5, 0 op_sel:[0,1,0] op_sel_hi:[0,1,0]
	v_mul_f16_sdwa v5, v7, v5 dst_sel:DWORD dst_unused:UNUSED_PAD src0_sel:WORD_1 src1_sel:DWORD
	v_cvt_f32_f16_e32 v5, v5
	v_div_scale_f32 v7, s[8:9], v11, v11, v5
	v_rcp_f32_e32 v9, v7
	v_div_scale_f32 v14, vcc, v5, v11, v5
	v_fma_f32 v15, -v7, v9, 1.0
	v_fmac_f32_e32 v9, v15, v9
	v_mul_f32_e32 v15, v14, v9
	v_fma_f32 v16, -v7, v15, v14
	v_fmac_f32_e32 v15, v16, v9
	v_fma_f32 v7, -v7, v15, v14
	v_div_fmas_f32 v7, v7, v9, v15
	v_div_fixup_f32 v5, v7, v11, v5
	v_min_f32_e32 v5, 0x43600000, v5
	v_max_f32_e32 v5, 0xc3600000, v5
	v_and_b32_e32 v7, 0x7fffffff, v5
	v_cmp_gt_u32_e32 vcc, s18, v7
	s_and_saveexec_b64 s[8:9], vcc
	s_cbranch_execz .LBB10_77
; %bb.175:                              ;   in Loop: Header=BB10_81 Depth=1
	v_cmp_lt_u32_e32 vcc, s19, v7
	s_mov_b64 s[10:11], 0
                                        ; implicit-def: $vgpr7
	s_and_saveexec_b64 s[12:13], vcc
	s_xor_b64 s[12:13], exec, s[12:13]
	s_cbranch_execnz .LBB10_208
; %bb.176:                              ;   in Loop: Header=BB10_81 Depth=1
	s_or_saveexec_b64 s[12:13], s[12:13]
                                        ; implicit-def: $sgpr24
	s_xor_b64 exec, exec, s[12:13]
	s_cbranch_execnz .LBB10_209
.LBB10_177:                             ;   in Loop: Header=BB10_81 Depth=1
	s_or_b64 exec, exec, s[12:13]
	v_mov_b32_e32 v4, s24
	s_and_saveexec_b64 s[12:13], s[10:11]
	s_cbranch_execz .LBB10_76
	s_branch .LBB10_210
.LBB10_178:                             ;   in Loop: Header=BB10_81 Depth=1
	v_bfe_u32 v7, v8, 20, 1
	v_add3_u32 v7, v8, v7, s20
	s_mov_b64 s[4:5], exec
	v_lshrrev_b32_e32 v9, 20, v7
	s_or_saveexec_b64 s[6:7], s[6:7]
                                        ; implicit-def: $sgpr8
	s_xor_b64 exec, exec, s[6:7]
	s_cbranch_execz .LBB10_84
.LBB10_179:                             ;   in Loop: Header=BB10_81 Depth=1
	v_add_f32_e64 v7, |v8|, s21
	v_and_b32_e32 v9, 0xff, v7
	v_cmp_ne_u32_e32 vcc, 0, v9
	s_andn2_b64 s[4:5], s[4:5], exec
	s_and_b64 s[10:11], vcc, exec
	s_mov_b32 s8, 0
	s_or_b64 s[4:5], s[4:5], s[10:11]
	s_or_b64 exec, exec, s[6:7]
	v_mov_b32_e32 v7, s8
	s_and_saveexec_b64 s[6:7], s[4:5]
	s_cbranch_execnz .LBB10_85
	s_branch .LBB10_86
.LBB10_180:                             ;   in Loop: Header=BB10_81 Depth=1
	v_bfe_u32 v4, v2, 20, 1
	v_add3_u32 v4, v2, v4, s20
	s_mov_b64 s[4:5], exec
	v_lshrrev_b32_e32 v4, 20, v4
	s_or_saveexec_b64 s[6:7], s[6:7]
                                        ; implicit-def: $sgpr8
	s_xor_b64 exec, exec, s[6:7]
	s_cbranch_execz .LBB10_90
.LBB10_181:                             ;   in Loop: Header=BB10_81 Depth=1
	v_add_f32_e64 v4, |v2|, s21
	v_and_b32_e32 v4, 0xff, v4
	v_cmp_ne_u32_e32 vcc, 0, v4
	s_andn2_b64 s[4:5], s[4:5], exec
	s_and_b64 s[10:11], vcc, exec
	s_mov_b32 s8, 0
	s_or_b64 s[4:5], s[4:5], s[10:11]
	s_or_b64 exec, exec, s[6:7]
	v_mov_b32_e32 v6, s8
	s_and_saveexec_b64 s[6:7], s[4:5]
	s_cbranch_execnz .LBB10_91
	s_branch .LBB10_92
.LBB10_182:                             ;   in Loop: Header=BB10_81 Depth=1
	v_bfe_u32 v4, v8, 20, 1
	v_add3_u32 v4, v8, v4, s20
	s_mov_b64 s[4:5], exec
	v_lshrrev_b32_e32 v9, 20, v4
	s_or_saveexec_b64 s[6:7], s[6:7]
                                        ; implicit-def: $sgpr8
	s_xor_b64 exec, exec, s[6:7]
	s_cbranch_execz .LBB10_96
.LBB10_183:                             ;   in Loop: Header=BB10_81 Depth=1
	v_add_f32_e64 v4, |v8|, s21
	v_and_b32_e32 v9, 0xff, v4
	v_cmp_ne_u32_e32 vcc, 0, v9
	s_andn2_b64 s[4:5], s[4:5], exec
	s_and_b64 s[10:11], vcc, exec
	s_mov_b32 s8, 0
	s_or_b64 s[4:5], s[4:5], s[10:11]
	s_or_b64 exec, exec, s[6:7]
	v_mov_b32_e32 v4, s8
	s_and_saveexec_b64 s[6:7], s[4:5]
	s_cbranch_execnz .LBB10_97
	s_branch .LBB10_98
.LBB10_184:                             ;   in Loop: Header=BB10_81 Depth=1
	v_bfe_u32 v2, v3, 20, 1
	v_add3_u32 v2, v3, v2, s20
	s_mov_b64 s[4:5], exec
	v_lshrrev_b32_e32 v5, 20, v2
	s_or_saveexec_b64 s[6:7], s[6:7]
                                        ; implicit-def: $sgpr8
	s_xor_b64 exec, exec, s[6:7]
	s_cbranch_execz .LBB10_102
.LBB10_185:                             ;   in Loop: Header=BB10_81 Depth=1
	v_add_f32_e64 v2, |v3|, s21
	v_and_b32_e32 v5, 0xff, v2
	v_cmp_ne_u32_e32 vcc, 0, v5
	s_andn2_b64 s[4:5], s[4:5], exec
	s_and_b64 s[10:11], vcc, exec
	s_mov_b32 s8, 0
	s_or_b64 s[4:5], s[4:5], s[10:11]
	s_or_b64 exec, exec, s[6:7]
	v_mov_b32_e32 v2, s8
	s_and_saveexec_b64 s[6:7], s[4:5]
	s_cbranch_execnz .LBB10_103
	s_branch .LBB10_104
.LBB10_186:                             ;   in Loop: Header=BB10_81 Depth=1
	v_bfe_u32 v9, v14, 20, 1
	v_add3_u32 v9, v14, v9, s20
	s_mov_b64 s[6:7], exec
	v_lshrrev_b32_e32 v15, 20, v9
	s_or_saveexec_b64 s[8:9], s[8:9]
                                        ; implicit-def: $sgpr10
	s_xor_b64 exec, exec, s[8:9]
	s_cbranch_execz .LBB10_109
.LBB10_187:                             ;   in Loop: Header=BB10_81 Depth=1
	v_add_f32_e64 v9, |v14|, s21
	v_and_b32_e32 v15, 0xff, v9
	v_cmp_ne_u32_e32 vcc, 0, v15
	s_andn2_b64 s[6:7], s[6:7], exec
	s_and_b64 s[12:13], vcc, exec
	s_mov_b32 s10, 0
	s_or_b64 s[6:7], s[6:7], s[12:13]
	s_or_b64 exec, exec, s[8:9]
	v_mov_b32_e32 v9, s10
	s_and_saveexec_b64 s[8:9], s[6:7]
	s_cbranch_execnz .LBB10_110
	s_branch .LBB10_111
.LBB10_188:                             ;   in Loop: Header=BB10_81 Depth=1
	v_bfe_u32 v6, v4, 20, 1
	v_add3_u32 v6, v4, v6, s20
	s_mov_b64 s[6:7], exec
	v_lshrrev_b32_e32 v6, 20, v6
	s_or_saveexec_b64 s[8:9], s[8:9]
                                        ; implicit-def: $sgpr10
	s_xor_b64 exec, exec, s[8:9]
	s_cbranch_execz .LBB10_115
.LBB10_189:                             ;   in Loop: Header=BB10_81 Depth=1
	v_add_f32_e64 v6, |v4|, s21
	v_and_b32_e32 v6, 0xff, v6
	v_cmp_ne_u32_e32 vcc, 0, v6
	s_andn2_b64 s[6:7], s[6:7], exec
	s_and_b64 s[12:13], vcc, exec
	s_mov_b32 s10, 0
	s_or_b64 s[6:7], s[6:7], s[12:13]
	s_or_b64 exec, exec, s[8:9]
	v_mov_b32_e32 v8, s10
	s_and_saveexec_b64 s[8:9], s[6:7]
	s_cbranch_execnz .LBB10_116
	s_branch .LBB10_117
.LBB10_190:                             ;   in Loop: Header=BB10_81 Depth=1
	v_bfe_u32 v6, v14, 20, 1
	v_add3_u32 v6, v14, v6, s20
	s_mov_b64 s[6:7], exec
	v_lshrrev_b32_e32 v15, 20, v6
	s_or_saveexec_b64 s[8:9], s[8:9]
                                        ; implicit-def: $sgpr10
	s_xor_b64 exec, exec, s[8:9]
	s_cbranch_execz .LBB10_121
.LBB10_191:                             ;   in Loop: Header=BB10_81 Depth=1
	v_add_f32_e64 v6, |v14|, s21
	v_and_b32_e32 v15, 0xff, v6
	v_cmp_ne_u32_e32 vcc, 0, v15
	s_andn2_b64 s[6:7], s[6:7], exec
	s_and_b64 s[12:13], vcc, exec
	s_mov_b32 s10, 0
	s_or_b64 s[6:7], s[6:7], s[12:13]
	s_or_b64 exec, exec, s[8:9]
	v_mov_b32_e32 v6, s10
	s_and_saveexec_b64 s[8:9], s[6:7]
	s_cbranch_execnz .LBB10_122
	s_branch .LBB10_123
.LBB10_192:                             ;   in Loop: Header=BB10_81 Depth=1
	v_bfe_u32 v4, v5, 20, 1
	v_add3_u32 v4, v5, v4, s20
	s_mov_b64 s[6:7], exec
	v_lshrrev_b32_e32 v7, 20, v4
	s_or_saveexec_b64 s[8:9], s[8:9]
                                        ; implicit-def: $sgpr10
	s_xor_b64 exec, exec, s[8:9]
	s_cbranch_execz .LBB10_127
.LBB10_193:                             ;   in Loop: Header=BB10_81 Depth=1
	v_add_f32_e64 v4, |v5|, s21
	v_and_b32_e32 v7, 0xff, v4
	v_cmp_ne_u32_e32 vcc, 0, v7
	s_andn2_b64 s[6:7], s[6:7], exec
	s_and_b64 s[12:13], vcc, exec
	s_mov_b32 s10, 0
	s_or_b64 s[6:7], s[6:7], s[12:13]
	s_or_b64 exec, exec, s[8:9]
	v_mov_b32_e32 v4, s10
	s_and_saveexec_b64 s[8:9], s[6:7]
	s_cbranch_execnz .LBB10_128
	s_branch .LBB10_129
.LBB10_194:                             ;   in Loop: Header=BB10_81 Depth=1
	v_bfe_u32 v14, v15, 20, 1
	v_add3_u32 v14, v15, v14, s20
	s_mov_b64 s[8:9], exec
	v_lshrrev_b32_e32 v16, 20, v14
	s_or_saveexec_b64 s[10:11], s[10:11]
                                        ; implicit-def: $sgpr12
	s_xor_b64 exec, exec, s[10:11]
	s_cbranch_execz .LBB10_134
.LBB10_195:                             ;   in Loop: Header=BB10_81 Depth=1
	v_add_f32_e64 v14, |v15|, s21
	v_and_b32_e32 v16, 0xff, v14
	v_cmp_ne_u32_e32 vcc, 0, v16
	s_andn2_b64 s[8:9], s[8:9], exec
	s_and_b64 s[24:25], vcc, exec
	s_mov_b32 s12, 0
	s_or_b64 s[8:9], s[8:9], s[24:25]
	s_or_b64 exec, exec, s[10:11]
	v_mov_b32_e32 v14, s12
	s_and_saveexec_b64 s[10:11], s[8:9]
	s_cbranch_execnz .LBB10_135
	s_branch .LBB10_136
.LBB10_196:                             ;   in Loop: Header=BB10_81 Depth=1
	v_bfe_u32 v3, v6, 20, 1
	v_add3_u32 v3, v6, v3, s20
	s_mov_b64 s[8:9], exec
	v_lshrrev_b32_e32 v8, 20, v3
	s_or_saveexec_b64 s[10:11], s[10:11]
                                        ; implicit-def: $sgpr12
	s_xor_b64 exec, exec, s[10:11]
	s_cbranch_execz .LBB10_140
.LBB10_197:                             ;   in Loop: Header=BB10_81 Depth=1
	v_add_f32_e64 v3, |v6|, s21
	v_and_b32_e32 v8, 0xff, v3
	v_cmp_ne_u32_e32 vcc, 0, v8
	s_andn2_b64 s[8:9], s[8:9], exec
	s_and_b64 s[24:25], vcc, exec
	s_mov_b32 s12, 0
	s_or_b64 s[8:9], s[8:9], s[24:25]
	s_or_b64 exec, exec, s[10:11]
	v_mov_b32_e32 v3, s12
	s_and_saveexec_b64 s[10:11], s[8:9]
	s_cbranch_execnz .LBB10_141
	s_branch .LBB10_142
.LBB10_198:                             ;   in Loop: Header=BB10_81 Depth=1
	v_bfe_u32 v8, v15, 20, 1
	v_add3_u32 v8, v15, v8, s20
	s_mov_b64 s[8:9], exec
	v_lshrrev_b32_e32 v16, 20, v8
	s_or_saveexec_b64 s[10:11], s[10:11]
                                        ; implicit-def: $sgpr12
	s_xor_b64 exec, exec, s[10:11]
	s_cbranch_execz .LBB10_146
.LBB10_199:                             ;   in Loop: Header=BB10_81 Depth=1
	v_add_f32_e64 v8, |v15|, s21
	v_and_b32_e32 v16, 0xff, v8
	v_cmp_ne_u32_e32 vcc, 0, v16
	s_andn2_b64 s[8:9], s[8:9], exec
	s_and_b64 s[24:25], vcc, exec
	s_mov_b32 s12, 0
	s_or_b64 s[8:9], s[8:9], s[24:25]
	s_or_b64 exec, exec, s[10:11]
	v_mov_b32_e32 v8, s12
	s_and_saveexec_b64 s[10:11], s[8:9]
	s_cbranch_execnz .LBB10_147
	s_branch .LBB10_148
.LBB10_200:                             ;   in Loop: Header=BB10_81 Depth=1
	v_bfe_u32 v6, v7, 20, 1
	v_add3_u32 v6, v7, v6, s20
	s_mov_b64 s[8:9], exec
	v_lshrrev_b32_e32 v9, 20, v6
	s_or_saveexec_b64 s[10:11], s[10:11]
                                        ; implicit-def: $sgpr12
	s_xor_b64 exec, exec, s[10:11]
	s_cbranch_execz .LBB10_152
.LBB10_201:                             ;   in Loop: Header=BB10_81 Depth=1
	v_add_f32_e64 v6, |v7|, s21
	v_and_b32_e32 v9, 0xff, v6
	v_cmp_ne_u32_e32 vcc, 0, v9
	s_andn2_b64 s[8:9], s[8:9], exec
	s_and_b64 s[24:25], vcc, exec
	s_mov_b32 s12, 0
	s_or_b64 s[8:9], s[8:9], s[24:25]
	s_or_b64 exec, exec, s[10:11]
	v_mov_b32_e32 v6, s12
	s_and_saveexec_b64 s[10:11], s[8:9]
	s_cbranch_execnz .LBB10_153
	s_branch .LBB10_154
.LBB10_202:                             ;   in Loop: Header=BB10_81 Depth=1
	v_bfe_u32 v8, v9, 20, 1
	v_add3_u32 v8, v9, v8, s20
	s_mov_b64 s[10:11], exec
	v_lshrrev_b32_e32 v14, 20, v8
	s_or_saveexec_b64 s[12:13], s[12:13]
                                        ; implicit-def: $sgpr24
	s_xor_b64 exec, exec, s[12:13]
	s_cbranch_execz .LBB10_159
.LBB10_203:                             ;   in Loop: Header=BB10_81 Depth=1
	v_add_f32_e64 v8, |v9|, s21
	v_and_b32_e32 v14, 0xff, v8
	v_cmp_ne_u32_e32 vcc, 0, v14
	s_andn2_b64 s[10:11], s[10:11], exec
	s_and_b64 s[26:27], vcc, exec
	s_mov_b32 s24, 0
	s_or_b64 s[10:11], s[10:11], s[26:27]
	s_or_b64 exec, exec, s[12:13]
	v_mov_b32_e32 v8, s24
	s_and_saveexec_b64 s[12:13], s[10:11]
	s_cbranch_execnz .LBB10_160
	s_branch .LBB10_161
.LBB10_204:                             ;   in Loop: Header=BB10_81 Depth=1
	v_bfe_u32 v3, v4, 20, 1
	v_add3_u32 v3, v4, v3, s20
	s_mov_b64 s[10:11], exec
	v_lshrrev_b32_e32 v6, 20, v3
	s_or_saveexec_b64 s[12:13], s[12:13]
                                        ; implicit-def: $sgpr24
	s_xor_b64 exec, exec, s[12:13]
	s_cbranch_execz .LBB10_165
.LBB10_205:                             ;   in Loop: Header=BB10_81 Depth=1
	v_add_f32_e64 v3, |v4|, s21
	v_and_b32_e32 v6, 0xff, v3
	v_cmp_ne_u32_e32 vcc, 0, v6
	s_andn2_b64 s[10:11], s[10:11], exec
	s_and_b64 s[26:27], vcc, exec
	s_mov_b32 s24, 0
	s_or_b64 s[10:11], s[10:11], s[26:27]
	s_or_b64 exec, exec, s[12:13]
	v_mov_b32_e32 v3, s24
	s_and_saveexec_b64 s[12:13], s[10:11]
	s_cbranch_execnz .LBB10_166
	s_branch .LBB10_167
.LBB10_206:                             ;   in Loop: Header=BB10_81 Depth=1
	v_bfe_u32 v6, v9, 20, 1
	v_add3_u32 v6, v9, v6, s20
	s_mov_b64 s[10:11], exec
	v_lshrrev_b32_e32 v14, 20, v6
	s_or_saveexec_b64 s[12:13], s[12:13]
                                        ; implicit-def: $sgpr24
	s_xor_b64 exec, exec, s[12:13]
	s_cbranch_execz .LBB10_171
.LBB10_207:                             ;   in Loop: Header=BB10_81 Depth=1
	v_add_f32_e64 v6, |v9|, s21
	v_and_b32_e32 v14, 0xff, v6
	v_cmp_ne_u32_e32 vcc, 0, v14
	s_andn2_b64 s[10:11], s[10:11], exec
	s_and_b64 s[26:27], vcc, exec
	s_mov_b32 s24, 0
	s_or_b64 s[10:11], s[10:11], s[26:27]
	s_or_b64 exec, exec, s[12:13]
	v_mov_b32_e32 v6, s24
	s_and_saveexec_b64 s[12:13], s[10:11]
	s_cbranch_execnz .LBB10_172
	s_branch .LBB10_173
.LBB10_208:                             ;   in Loop: Header=BB10_81 Depth=1
	v_bfe_u32 v4, v5, 20, 1
	v_add3_u32 v4, v5, v4, s20
	s_mov_b64 s[10:11], exec
	v_lshrrev_b32_e32 v7, 20, v4
	s_or_saveexec_b64 s[12:13], s[12:13]
                                        ; implicit-def: $sgpr24
	s_xor_b64 exec, exec, s[12:13]
	s_cbranch_execz .LBB10_177
.LBB10_209:                             ;   in Loop: Header=BB10_81 Depth=1
	v_add_f32_e64 v4, |v5|, s21
	v_and_b32_e32 v7, 0xff, v4
	v_cmp_ne_u32_e32 vcc, 0, v7
	s_andn2_b64 s[10:11], s[10:11], exec
	s_and_b64 s[26:27], vcc, exec
	s_mov_b32 s24, 0
	s_or_b64 s[10:11], s[10:11], s[26:27]
	s_or_b64 exec, exec, s[12:13]
	v_mov_b32_e32 v4, s24
	s_and_saveexec_b64 s[12:13], s[10:11]
	s_cbranch_execz .LBB10_76
.LBB10_210:                             ;   in Loop: Header=BB10_81 Depth=1
	v_lshrrev_b32_e32 v4, 24, v5
	v_and_or_b32 v4, v4, s22, v7
	s_branch .LBB10_76
.LBB10_211:
	s_endpgm
	.section	.rodata,"a",@progbits
	.p2align	6, 0x0
	.amdhsa_kernel _ZN4vllm39rms_norm_dynamic_per_token_quant_kernelIN3c104HalfENS1_15Float8_e4m3fnuzELb0EEEvPT0_PfPKT_S9_PKffiiPS7_
		.amdhsa_group_segment_fixed_size 272
		.amdhsa_private_segment_fixed_size 0
		.amdhsa_kernarg_size 320
		.amdhsa_user_sgpr_count 6
		.amdhsa_user_sgpr_private_segment_buffer 1
		.amdhsa_user_sgpr_dispatch_ptr 0
		.amdhsa_user_sgpr_queue_ptr 0
		.amdhsa_user_sgpr_kernarg_segment_ptr 1
		.amdhsa_user_sgpr_dispatch_id 0
		.amdhsa_user_sgpr_flat_scratch_init 0
		.amdhsa_user_sgpr_kernarg_preload_length 0
		.amdhsa_user_sgpr_kernarg_preload_offset 0
		.amdhsa_user_sgpr_private_segment_size 0
		.amdhsa_uses_dynamic_stack 0
		.amdhsa_system_sgpr_private_segment_wavefront_offset 0
		.amdhsa_system_sgpr_workgroup_id_x 1
		.amdhsa_system_sgpr_workgroup_id_y 0
		.amdhsa_system_sgpr_workgroup_id_z 0
		.amdhsa_system_sgpr_workgroup_info 0
		.amdhsa_system_vgpr_workitem_id 0
		.amdhsa_next_free_vgpr 29
		.amdhsa_next_free_sgpr 53
		.amdhsa_accum_offset 32
		.amdhsa_reserve_vcc 1
		.amdhsa_reserve_flat_scratch 0
		.amdhsa_float_round_mode_32 0
		.amdhsa_float_round_mode_16_64 0
		.amdhsa_float_denorm_mode_32 3
		.amdhsa_float_denorm_mode_16_64 3
		.amdhsa_dx10_clamp 1
		.amdhsa_ieee_mode 1
		.amdhsa_fp16_overflow 0
		.amdhsa_tg_split 0
		.amdhsa_exception_fp_ieee_invalid_op 0
		.amdhsa_exception_fp_denorm_src 0
		.amdhsa_exception_fp_ieee_div_zero 0
		.amdhsa_exception_fp_ieee_overflow 0
		.amdhsa_exception_fp_ieee_underflow 0
		.amdhsa_exception_fp_ieee_inexact 0
		.amdhsa_exception_int_div_zero 0
	.end_amdhsa_kernel
	.section	.text._ZN4vllm39rms_norm_dynamic_per_token_quant_kernelIN3c104HalfENS1_15Float8_e4m3fnuzELb0EEEvPT0_PfPKT_S9_PKffiiPS7_,"axG",@progbits,_ZN4vllm39rms_norm_dynamic_per_token_quant_kernelIN3c104HalfENS1_15Float8_e4m3fnuzELb0EEEvPT0_PfPKT_S9_PKffiiPS7_,comdat
.Lfunc_end10:
	.size	_ZN4vllm39rms_norm_dynamic_per_token_quant_kernelIN3c104HalfENS1_15Float8_e4m3fnuzELb0EEEvPT0_PfPKT_S9_PKffiiPS7_, .Lfunc_end10-_ZN4vllm39rms_norm_dynamic_per_token_quant_kernelIN3c104HalfENS1_15Float8_e4m3fnuzELb0EEEvPT0_PfPKT_S9_PKffiiPS7_
                                        ; -- End function
	.section	.AMDGPU.csdata,"",@progbits
; Kernel info:
; codeLenInByte = 11124
; NumSgprs: 57
; NumVgprs: 29
; NumAgprs: 0
; TotalNumVgprs: 29
; ScratchSize: 0
; MemoryBound: 0
; FloatMode: 240
; IeeeMode: 1
; LDSByteSize: 272 bytes/workgroup (compile time only)
; SGPRBlocks: 7
; VGPRBlocks: 3
; NumSGPRsForWavesPerEU: 57
; NumVGPRsForWavesPerEU: 29
; AccumOffset: 32
; Occupancy: 8
; WaveLimiterHint : 0
; COMPUTE_PGM_RSRC2:SCRATCH_EN: 0
; COMPUTE_PGM_RSRC2:USER_SGPR: 6
; COMPUTE_PGM_RSRC2:TRAP_HANDLER: 0
; COMPUTE_PGM_RSRC2:TGID_X_EN: 1
; COMPUTE_PGM_RSRC2:TGID_Y_EN: 0
; COMPUTE_PGM_RSRC2:TGID_Z_EN: 0
; COMPUTE_PGM_RSRC2:TIDIG_COMP_CNT: 0
; COMPUTE_PGM_RSRC3_GFX90A:ACCUM_OFFSET: 7
; COMPUTE_PGM_RSRC3_GFX90A:TG_SPLIT: 0
	.section	.text._ZN4vllm39rms_norm_dynamic_per_token_quant_kernelIN3c104HalfEaLb0EEEvPT0_PfPKT_S8_PKffiiPS6_,"axG",@progbits,_ZN4vllm39rms_norm_dynamic_per_token_quant_kernelIN3c104HalfEaLb0EEEvPT0_PfPKT_S8_PKffiiPS6_,comdat
	.protected	_ZN4vllm39rms_norm_dynamic_per_token_quant_kernelIN3c104HalfEaLb0EEEvPT0_PfPKT_S8_PKffiiPS6_ ; -- Begin function _ZN4vllm39rms_norm_dynamic_per_token_quant_kernelIN3c104HalfEaLb0EEEvPT0_PfPKT_S8_PKffiiPS6_
	.globl	_ZN4vllm39rms_norm_dynamic_per_token_quant_kernelIN3c104HalfEaLb0EEEvPT0_PfPKT_S8_PKffiiPS6_
	.p2align	8
	.type	_ZN4vllm39rms_norm_dynamic_per_token_quant_kernelIN3c104HalfEaLb0EEEvPT0_PfPKT_S8_PKffiiPS6_,@function
_ZN4vllm39rms_norm_dynamic_per_token_quant_kernelIN3c104HalfEaLb0EEEvPT0_PfPKT_S8_PKffiiPS6_: ; @_ZN4vllm39rms_norm_dynamic_per_token_quant_kernelIN3c104HalfEaLb0EEEvPT0_PfPKT_S8_PKffiiPS6_
; %bb.0:
	s_load_dwordx4 s[36:39], s[4:5], 0x28
	s_load_dwordx2 s[22:23], s[4:5], 0x20
	s_load_dwordx8 s[24:31], s[4:5], 0x0
	s_waitcnt lgkmcnt(0)
	s_or_b32 s0, s38, s37
	s_and_b32 s0, s0, 3
	s_cmp_lg_u32 s0, 0
	s_cbranch_scc0 .LBB11_31
; %bb.1:
	v_cmp_gt_u32_e64 s[0:1], s37, v0
	v_cmp_le_u32_e64 s[2:3], s37, v0
                                        ; implicit-def: $sgpr7
                                        ; implicit-def: $sgpr10_sgpr11
	s_and_saveexec_b64 s[8:9], s[2:3]
	s_xor_b64 s[8:9], exec, s[8:9]
; %bb.2:
	s_add_u32 s10, s4, 64
	s_addc_u32 s11, s5, 0
	s_mov_b32 s7, 0
; %bb.3:
	s_or_saveexec_b64 s[8:9], s[8:9]
	v_mov_b32_e32 v4, s7
	v_pk_mov_b32 v[2:3], s[10:11], s[10:11] op_sel:[0,1]
	v_mov_b32_e32 v1, s6
	s_xor_b64 exec, exec, s[8:9]
	s_cbranch_execz .LBB11_7
; %bb.4:
	s_ashr_i32 s7, s38, 31
	s_mul_hi_u32 s10, s38, s6
	s_mul_i32 s7, s7, s6
	s_add_i32 s11, s10, s7
	s_mul_i32 s10, s38, s6
	s_load_dword s12, s[4:5], 0x4c
	s_lshl_b64 s[10:11], s[10:11], 1
	s_add_u32 s7, s28, s10
	s_addc_u32 s15, s29, s11
	s_add_u32 s10, s4, 64
	s_addc_u32 s11, s5, 0
	s_waitcnt lgkmcnt(0)
	s_and_b32 s14, s12, 0xffff
	s_mov_b64 s[12:13], 0
	v_mov_b32_e32 v3, 0
	v_mov_b32_e32 v1, s15
	;; [unrolled: 1-line block ×4, first 2 shown]
.LBB11_5:                               ; =>This Inner Loop Header: Depth=1
	v_lshlrev_b64 v[6:7], 1, v[2:3]
	v_add_co_u32_e32 v6, vcc, s7, v6
	v_addc_co_u32_e32 v7, vcc, v1, v7, vcc
	global_load_ushort v5, v[6:7], off
	v_add_u32_e32 v2, s14, v2
	v_cmp_le_u32_e32 vcc, s37, v2
	s_or_b64 s[12:13], vcc, s[12:13]
	s_waitcnt vmcnt(0)
	v_fma_mix_f32 v4, v5, v5, v4 op_sel_hi:[1,1,0]
	s_andn2_b64 exec, exec, s[12:13]
	s_cbranch_execnz .LBB11_5
; %bb.6:
	s_or_b64 exec, exec, s[12:13]
	v_pk_mov_b32 v[2:3], s[10:11], s[10:11] op_sel:[0,1]
	v_mov_b32_e32 v1, s6
.LBB11_7:
	s_or_b64 exec, exec, s[8:9]
	global_load_dword v5, v[2:3], off
	s_waitcnt vmcnt(0)
	v_cmp_lt_u32_e32 vcc, v1, v5
	v_cndmask_b32_e64 v1, 18, 12, vcc
	v_add_co_u32_e32 v2, vcc, v2, v1
	v_addc_co_u32_e32 v3, vcc, 0, v3, vcc
	global_load_ushort v2, v[2:3], off
	v_mbcnt_lo_u32_b32 v1, -1, 0
	v_mbcnt_hi_u32_b32 v1, -1, v1
	v_and_b32_e32 v3, 63, v1
	v_cmp_ne_u32_e32 vcc, 63, v3
	v_addc_co_u32_e32 v6, vcc, 0, v1, vcc
	v_lshlrev_b32_e32 v14, 2, v6
	ds_bpermute_b32 v6, v14, v4
	v_cmp_gt_u32_e32 vcc, 62, v3
	v_cndmask_b32_e64 v12, 0, 1, vcc
	v_and_b32_e32 v5, 0x3c0, v0
	v_lshlrev_b32_e32 v12, 1, v12
	v_add_u32_e32 v7, 1, v1
	v_add_lshl_u32 v13, v12, v1, 2
	s_waitcnt lgkmcnt(0)
	v_add_f32_e32 v6, v4, v6
	v_add_u32_e32 v8, 2, v1
	v_add_u32_e32 v10, 4, v1
	;; [unrolled: 1-line block ×5, first 2 shown]
	v_cmp_eq_u32_e64 s[8:9], 0, v1
	s_waitcnt vmcnt(0)
	v_sub_u32_e64 v12, v2, v5 clamp
	v_cmp_lt_u32_e32 vcc, v7, v12
	v_cndmask_b32_e32 v4, v4, v6, vcc
	ds_bpermute_b32 v6, v13, v4
	v_cmp_gt_u32_e32 vcc, 60, v3
	v_cndmask_b32_e64 v15, 0, 1, vcc
	v_lshlrev_b32_e32 v15, 2, v15
	v_cmp_lt_u32_e32 vcc, v8, v12
	s_waitcnt lgkmcnt(0)
	v_add_f32_e32 v6, v4, v6
	v_add_lshl_u32 v15, v15, v1, 2
	v_cndmask_b32_e32 v4, v4, v6, vcc
	ds_bpermute_b32 v6, v15, v4
	v_cmp_gt_u32_e32 vcc, 56, v3
	v_cndmask_b32_e64 v16, 0, 1, vcc
	v_lshlrev_b32_e32 v16, 3, v16
	v_cmp_lt_u32_e32 vcc, v10, v12
	s_waitcnt lgkmcnt(0)
	v_add_f32_e32 v6, v4, v6
	v_add_lshl_u32 v16, v16, v1, 2
	;; [unrolled: 9-line block ×3, first 2 shown]
	v_cndmask_b32_e32 v4, v4, v6, vcc
	ds_bpermute_b32 v6, v18, v4
	v_cmp_gt_u32_e32 vcc, 32, v3
	v_cndmask_b32_e64 v3, 0, 1, vcc
	v_lshlrev_b32_e32 v3, 5, v3
	v_add_lshl_u32 v17, v3, v1, 2
	s_waitcnt lgkmcnt(0)
	v_add_f32_e32 v3, v4, v6
	v_cmp_lt_u32_e32 vcc, v9, v12
	v_cndmask_b32_e32 v3, v4, v3, vcc
	ds_bpermute_b32 v4, v17, v3
	v_cmp_lt_u32_e32 vcc, v19, v12
	s_waitcnt lgkmcnt(0)
	v_add_f32_e32 v4, v3, v4
	v_cndmask_b32_e32 v3, v3, v4, vcc
	s_and_saveexec_b64 s[10:11], s[8:9]
	s_cbranch_execz .LBB11_9
; %bb.8:
	v_lshrrev_b32_e32 v4, 4, v0
	v_and_b32_e32 v4, 60, v4
	ds_write_b32 v4, v3 offset:128
.LBB11_9:
	s_or_b64 exec, exec, s[10:11]
	v_cmp_gt_u32_e64 s[10:11], 16, v0
	v_lshlrev_b32_e32 v12, 2, v1
	v_and_b32_e32 v6, 15, v1
	s_waitcnt lgkmcnt(0)
	s_barrier
	s_and_saveexec_b64 s[14:15], s[10:11]
	s_cbranch_execz .LBB11_11
; %bb.10:
	ds_read_b32 v3, v12 offset:128
	v_cmp_ne_u32_e32 vcc, 15, v6
	v_addc_co_u32_e32 v4, vcc, 0, v1, vcc
	v_lshlrev_b32_e32 v4, 2, v4
	s_waitcnt lgkmcnt(0)
	ds_bpermute_b32 v4, v4, v3
	v_add_u32_e32 v2, 63, v2
	v_add_u32_e32 v20, 1, v6
	v_lshrrev_b32_e32 v2, 6, v2
	v_cmp_gt_u32_e64 s[12:13], 14, v6
	v_cmp_lt_u32_e32 vcc, v20, v2
	v_cndmask_b32_e64 v20, 0, 1, s[12:13]
	s_waitcnt lgkmcnt(0)
	v_add_f32_e32 v4, v3, v4
	v_lshlrev_b32_e32 v20, 1, v20
	v_cndmask_b32_e32 v4, v3, v4, vcc
	v_add_lshl_u32 v20, v20, v1, 2
	ds_bpermute_b32 v20, v20, v4
	v_add_u32_e32 v21, 2, v6
	v_cmp_lt_u32_e64 s[12:13], v21, v2
	v_add_u32_e32 v21, 4, v6
	s_waitcnt lgkmcnt(0)
	v_add_f32_e32 v20, v4, v20
	v_cndmask_b32_e64 v4, v4, v20, s[12:13]
	v_cmp_gt_u32_e64 s[12:13], 12, v6
	v_cndmask_b32_e64 v20, 0, 1, s[12:13]
	v_lshlrev_b32_e32 v20, 2, v20
	v_add_lshl_u32 v20, v20, v1, 2
	ds_bpermute_b32 v20, v20, v4
	v_cmp_lt_u32_e64 s[12:13], v21, v2
	v_add_u32_e32 v21, 8, v6
	s_waitcnt lgkmcnt(0)
	v_add_f32_e32 v20, v4, v20
	v_cndmask_b32_e64 v4, v4, v20, s[12:13]
	v_cmp_gt_u32_e64 s[12:13], 8, v6
	v_cndmask_b32_e64 v20, 0, 1, s[12:13]
	v_lshlrev_b32_e32 v20, 3, v20
	v_add_lshl_u32 v20, v20, v1, 2
	ds_bpermute_b32 v20, v20, v4
	v_cmp_lt_u32_e64 s[12:13], v21, v2
	s_waitcnt lgkmcnt(0)
	v_add_f32_e32 v20, v4, v20
	v_cndmask_b32_e64 v2, v4, v20, s[12:13]
	v_cndmask_b32_e32 v3, v3, v2, vcc
.LBB11_11:
	s_or_b64 exec, exec, s[14:15]
	s_mov_b32 s7, 0
	v_cmp_eq_u32_e64 s[12:13], 0, v0
	s_and_saveexec_b64 s[14:15], s[12:13]
	s_cbranch_execz .LBB11_13
; %bb.12:
	v_cvt_f32_i32_e32 v2, s37
	v_div_scale_f32 v4, s[16:17], v2, v2, v3
	v_rcp_f32_e32 v20, v4
	v_div_scale_f32 v21, vcc, v3, v2, v3
	s_mov_b32 s16, 0x800000
	v_fma_f32 v22, -v4, v20, 1.0
	v_fmac_f32_e32 v20, v22, v20
	v_mul_f32_e32 v22, v21, v20
	v_fma_f32 v23, -v4, v22, v21
	v_fmac_f32_e32 v22, v23, v20
	v_fma_f32 v4, -v4, v22, v21
	v_div_fmas_f32 v4, v4, v20, v22
	v_div_fixup_f32 v2, v4, v2, v3
	v_add_f32_e32 v2, s36, v2
	v_mul_f32_e32 v3, 0x4b800000, v2
	v_cmp_gt_f32_e32 vcc, s16, v2
	v_cndmask_b32_e32 v2, v2, v3, vcc
	v_rsq_f32_e32 v2, v2
	v_mul_f32_e32 v3, 0x45800000, v2
	v_cndmask_b32_e32 v2, v2, v3, vcc
	v_mov_b32_e32 v3, 0
	ds_write_b32 v3, v2 offset:264
.LBB11_13:
	s_or_b64 exec, exec, s[14:15]
	v_mov_b32_e32 v2, 0
	s_waitcnt lgkmcnt(0)
	s_barrier
	ds_read_b32 v4, v2 offset:264
	s_waitcnt lgkmcnt(0)
	s_barrier
	s_waitcnt lgkmcnt(0)
                                        ; implicit-def: $sgpr16
                                        ; implicit-def: $sgpr14_sgpr15
	s_and_saveexec_b64 s[18:19], s[2:3]
	s_xor_b64 s[2:3], exec, s[18:19]
; %bb.14:
	s_add_u32 s14, s4, 64
	s_addc_u32 s15, s5, 0
	s_mov_b32 s16, 0
; %bb.15:
	s_or_saveexec_b64 s[2:3], s[2:3]
	v_mov_b32_e32 v20, s16
	v_pk_mov_b32 v[2:3], s[14:15], s[14:15] op_sel:[0,1]
	s_mul_hi_u32 s33, s38, s6
	s_mul_i32 s34, s38, s6
	s_xor_b64 exec, exec, s[2:3]
	s_cbranch_execz .LBB11_19
; %bb.16:
	s_ashr_i32 s14, s38, 31
	s_mul_i32 s14, s14, s6
	s_add_i32 s35, s33, s14
	s_load_dword s16, s[4:5], 0x4c
	s_lshl_b64 s[14:15], s[34:35], 1
	s_add_u32 s18, s28, s14
	s_addc_u32 s20, s29, s15
	s_add_u32 s14, s4, 64
	s_addc_u32 s15, s5, 0
	s_waitcnt lgkmcnt(0)
	s_and_b32 s19, s16, 0xffff
	s_mov_b64 s[16:17], 0
	v_mov_b32_e32 v3, 0
	v_mov_b32_e32 v21, s20
	;; [unrolled: 1-line block ×5, first 2 shown]
.LBB11_17:                              ; =>This Inner Loop Header: Depth=1
	v_lshlrev_b64 v[24:25], 1, v[2:3]
	v_add_co_u32_e32 v26, vcc, s18, v24
	v_addc_co_u32_e32 v27, vcc, v21, v25, vcc
	v_add_co_u32_e32 v24, vcc, s30, v24
	v_addc_co_u32_e32 v25, vcc, v22, v25, vcc
	global_load_ushort v23, v[26:27], off
	global_load_ushort v28, v[24:25], off
	v_add_u32_e32 v2, s19, v2
	v_max_f32_e32 v20, v20, v20
	v_cmp_le_u32_e32 vcc, s37, v2
	s_or_b64 s[16:17], vcc, s[16:17]
	s_waitcnt vmcnt(1)
	v_fma_mixlo_f16 v23, v4, v23, 0 op_sel_hi:[0,1,0]
	s_waitcnt vmcnt(0)
	v_mul_f16_e32 v23, v28, v23
	v_cvt_f32_f16_e64 v23, |v23|
	v_max_f32_e32 v20, v20, v23
	s_andn2_b64 exec, exec, s[16:17]
	s_cbranch_execnz .LBB11_17
; %bb.18:
	s_or_b64 exec, exec, s[16:17]
	v_pk_mov_b32 v[2:3], s[14:15], s[14:15] op_sel:[0,1]
.LBB11_19:
	s_or_b64 exec, exec, s[2:3]
	global_load_dword v21, v[2:3], off
	s_waitcnt vmcnt(0)
	v_cmp_lt_u32_e32 vcc, s6, v21
	v_cndmask_b32_e64 v21, 18, 12, vcc
	v_add_co_u32_e32 v2, vcc, v2, v21
	v_addc_co_u32_e32 v3, vcc, 0, v3, vcc
	global_load_ushort v2, v[2:3], off
	ds_bpermute_b32 v3, v14, v20
	s_waitcnt lgkmcnt(0)
	v_cmp_lt_f32_e32 vcc, v20, v3
	v_cndmask_b32_e32 v3, v20, v3, vcc
	s_waitcnt vmcnt(0)
	v_sub_u32_e64 v5, v2, v5 clamp
	v_cmp_lt_u32_e32 vcc, v7, v5
	v_cndmask_b32_e32 v3, v20, v3, vcc
	ds_bpermute_b32 v7, v13, v3
	v_cmp_lt_u32_e64 s[18:19], v19, v5
	s_waitcnt lgkmcnt(0)
	v_cmp_lt_f32_e64 s[2:3], v3, v7
	v_cndmask_b32_e64 v7, v3, v7, s[2:3]
	v_cmp_lt_u32_e64 s[2:3], v8, v5
	v_cndmask_b32_e64 v3, v3, v7, s[2:3]
	ds_bpermute_b32 v7, v15, v3
	s_or_b64 s[2:3], vcc, s[2:3]
	s_waitcnt lgkmcnt(0)
	v_cmp_lt_f32_e64 s[14:15], v3, v7
	v_cndmask_b32_e64 v7, v3, v7, s[14:15]
	v_cmp_lt_u32_e64 s[14:15], v10, v5
	v_cndmask_b32_e64 v3, v3, v7, s[14:15]
	ds_bpermute_b32 v7, v16, v3
	s_or_b64 s[2:3], s[14:15], s[2:3]
	s_waitcnt lgkmcnt(0)
	v_cmp_lt_f32_e64 s[16:17], v3, v7
	v_cndmask_b32_e64 v7, v3, v7, s[16:17]
	v_cmp_lt_u32_e64 s[16:17], v11, v5
	v_cndmask_b32_e64 v3, v3, v7, s[16:17]
	ds_bpermute_b32 v7, v18, v3
	s_or_b64 s[2:3], s[16:17], s[2:3]
	;; [unrolled: 7-line block ×3, first 2 shown]
	s_waitcnt lgkmcnt(0)
	v_cmp_lt_f32_e32 vcc, v3, v5
	s_and_b64 vcc, s[18:19], vcc
	v_cndmask_b32_e32 v3, v3, v5, vcc
	s_or_b64 vcc, s[18:19], s[2:3]
	v_cndmask_b32_e32 v3, v20, v3, vcc
	s_and_saveexec_b64 s[2:3], s[8:9]
	s_cbranch_execz .LBB11_21
; %bb.20:
	v_lshrrev_b32_e32 v5, 4, v0
	v_and_b32_e32 v5, 60, v5
	ds_write_b32 v5, v3 offset:192
.LBB11_21:
	s_or_b64 exec, exec, s[2:3]
	s_waitcnt lgkmcnt(0)
	s_barrier
	s_and_saveexec_b64 s[14:15], s[10:11]
	s_cbranch_execz .LBB11_23
; %bb.22:
	ds_read_b32 v3, v12 offset:192
	v_cmp_ne_u32_e32 vcc, 15, v6
	v_addc_co_u32_e32 v5, vcc, 0, v1, vcc
	v_lshlrev_b32_e32 v5, 2, v5
	s_waitcnt lgkmcnt(0)
	ds_bpermute_b32 v5, v5, v3
	v_add_u32_e32 v2, 63, v2
	v_add_u32_e32 v7, 1, v6
	v_lshrrev_b32_e32 v2, 6, v2
	v_cmp_gt_u32_e64 s[2:3], 14, v6
	s_waitcnt lgkmcnt(0)
	v_cmp_lt_f32_e32 vcc, v3, v5
	v_cndmask_b32_e32 v5, v3, v5, vcc
	v_cmp_lt_u32_e32 vcc, v7, v2
	v_cndmask_b32_e64 v7, 0, 1, s[2:3]
	v_lshlrev_b32_e32 v7, 1, v7
	v_cndmask_b32_e32 v5, v3, v5, vcc
	v_add_lshl_u32 v7, v7, v1, 2
	ds_bpermute_b32 v7, v7, v5
	v_add_u32_e32 v8, 2, v6
	s_waitcnt lgkmcnt(0)
	v_cmp_lt_f32_e64 s[2:3], v5, v7
	v_cndmask_b32_e64 v7, v5, v7, s[2:3]
	v_cmp_lt_u32_e64 s[2:3], v8, v2
	v_cndmask_b32_e64 v5, v5, v7, s[2:3]
	v_cmp_gt_u32_e64 s[2:3], 12, v6
	v_cndmask_b32_e64 v7, 0, 1, s[2:3]
	v_lshlrev_b32_e32 v7, 2, v7
	v_add_lshl_u32 v7, v7, v1, 2
	ds_bpermute_b32 v7, v7, v5
	v_add_u32_e32 v8, 4, v6
	s_waitcnt lgkmcnt(0)
	v_cmp_lt_f32_e64 s[2:3], v5, v7
	v_cndmask_b32_e64 v7, v5, v7, s[2:3]
	v_cmp_lt_u32_e64 s[2:3], v8, v2
	v_cndmask_b32_e64 v5, v5, v7, s[2:3]
	v_cmp_gt_u32_e64 s[2:3], 8, v6
	v_cndmask_b32_e64 v7, 0, 1, s[2:3]
	v_lshlrev_b32_e32 v7, 3, v7
	v_add_lshl_u32 v1, v7, v1, 2
	ds_bpermute_b32 v1, v1, v5
	v_add_u32_e32 v6, 8, v6
	v_cmp_lt_u32_e64 s[2:3], v6, v2
	s_waitcnt lgkmcnt(0)
	v_cmp_lt_f32_e64 s[8:9], v5, v1
	s_and_b64 s[2:3], s[2:3], s[8:9]
	v_cndmask_b32_e64 v1, v5, v1, s[2:3]
	v_cndmask_b32_e32 v3, v3, v1, vcc
.LBB11_23:
	s_or_b64 exec, exec, s[14:15]
	s_and_saveexec_b64 s[2:3], s[12:13]
	s_cbranch_execz .LBB11_27
; %bb.24:
	s_cmp_eq_u64 s[22:23], 0
	s_cbranch_scc1 .LBB11_26
; %bb.25:
	s_load_dword s8, s[22:23], 0x0
	v_max_f32_e32 v1, v3, v3
	s_waitcnt lgkmcnt(0)
	v_max_f32_e64 v2, s8, s8
	v_min_f32_e32 v3, v1, v2
.LBB11_26:
	s_mov_b32 s10, 0x42fe0000
	v_div_scale_f32 v1, s[8:9], s10, s10, v3
	v_rcp_f32_e32 v2, v1
	v_div_scale_f32 v5, vcc, v3, s10, v3
	s_lshl_b64 s[8:9], s[6:7], 2
	v_fma_f32 v6, -v1, v2, 1.0
	v_fmac_f32_e32 v2, v6, v2
	v_mul_f32_e32 v6, v5, v2
	v_fma_f32 v7, -v1, v6, v5
	v_fmac_f32_e32 v6, v7, v2
	v_fma_f32 v1, -v1, v6, v5
	v_div_fmas_f32 v1, v1, v2, v6
	v_div_fixup_f32 v1, v1, s10, v3
	s_add_u32 s8, s26, s8
	v_max_f32_e32 v1, 0x34000000, v1
	v_mov_b32_e32 v2, 0
	s_addc_u32 s9, s27, s9
	ds_write_b32 v2, v1 offset:268
	global_store_dword v2, v1, s[8:9]
.LBB11_27:
	s_or_b64 exec, exec, s[2:3]
	s_waitcnt lgkmcnt(0)
	s_barrier
	s_and_saveexec_b64 s[2:3], s[0:1]
	s_cbranch_execz .LBB11_30
; %bb.28:
	v_mov_b32_e32 v3, 0
	ds_read_b32 v1, v3 offset:268
	s_ashr_i32 s7, s37, 31
	s_mul_hi_u32 s8, s37, s6
	s_mul_i32 s7, s7, s6
	s_load_dword s10, s[4:5], 0x4c
	s_waitcnt lgkmcnt(0)
	v_div_scale_f32 v2, s[0:1], v1, v1, 1.0
	v_rcp_f32_e32 v5, v2
	s_ashr_i32 s0, s38, 31
	v_div_scale_f32 v6, vcc, 1.0, v1, 1.0
	v_fma_f32 v7, -v2, v5, 1.0
	v_fmac_f32_e32 v5, v7, v5
	s_mul_i32 s0, s0, s6
	v_mul_f32_e32 v7, v6, v5
	s_add_i32 s35, s33, s0
	v_fma_f32 v8, -v2, v7, v6
	s_add_i32 s8, s8, s7
	s_lshl_b64 s[0:1], s[34:35], 1
	v_fmac_f32_e32 v7, v8, v5
	s_add_u32 s7, s28, s0
	v_fma_f32 v2, -v2, v7, v6
	s_mul_i32 s9, s37, s6
	s_addc_u32 s11, s29, s1
	v_div_fmas_f32 v2, v2, v5, v7
	s_add_u32 s0, s24, s9
	v_div_fixup_f32 v1, v2, v1, 1.0
	s_addc_u32 s1, s25, s8
	s_and_b32 s10, s10, 0xffff
	s_mov_b64 s[8:9], 0
	v_mov_b32_e32 v5, s11
	v_mov_b32_e32 v6, s31
	s_mov_b32 s11, 0x42fe0000
	v_mov_b32_e32 v7, 0x42fe0000
	s_mov_b32 s12, 0xc3000000
	v_mov_b32_e32 v8, 0xc3000000
	v_mov_b32_e32 v2, v0
.LBB11_29:                              ; =>This Inner Loop Header: Depth=1
	v_lshlrev_b64 v[10:11], 1, v[2:3]
	v_add_co_u32_e32 v12, vcc, s7, v10
	v_addc_co_u32_e32 v13, vcc, v5, v11, vcc
	v_add_co_u32_e32 v10, vcc, s30, v10
	v_addc_co_u32_e32 v11, vcc, v6, v11, vcc
	global_load_ushort v9, v[12:13], off
	global_load_ushort v14, v[10:11], off
	s_waitcnt vmcnt(1)
	v_fma_mixlo_f16 v9, v4, v9, 0 op_sel_hi:[0,1,0]
	s_waitcnt vmcnt(0)
	v_mul_f16_e32 v9, v14, v9
	v_cvt_f32_f16_e32 v9, v9
	v_mul_f32_e32 v9, v1, v9
	v_rndne_f32_e32 v9, v9
	v_cmp_nlt_f32_e32 vcc, s11, v9
	v_cndmask_b32_e32 v10, v7, v9, vcc
	v_cmp_ngt_f32_e32 vcc, s12, v9
	v_cndmask_b32_e32 v9, v8, v10, vcc
	v_cvt_i32_f32_e32 v9, v9
	global_store_byte v2, v9, s[0:1]
	v_add_u32_e32 v2, s10, v2
	v_cmp_le_u32_e32 vcc, s37, v2
	s_or_b64 s[8:9], vcc, s[8:9]
	s_andn2_b64 exec, exec, s[8:9]
	s_cbranch_execnz .LBB11_29
.LBB11_30:
	s_or_b64 exec, exec, s[2:3]
	s_branch .LBB11_75
.LBB11_31:
	s_cbranch_execz .LBB11_75
; %bb.32:
	s_ashr_i32 s0, s38, 31
	s_mul_hi_u32 s1, s38, s6
	s_mul_i32 s0, s0, s6
	s_add_i32 s1, s1, s0
	s_mul_i32 s0, s38, s6
	s_lshl_b64 s[0:1], s[0:1], 1
	s_load_dword s18, s[4:5], 0x40
	s_add_u32 s33, s28, s0
	s_addc_u32 s48, s29, s1
	s_ashr_i32 s49, s37, 2
	s_add_u32 s19, s4, 64
	s_mov_b32 s7, 0
	v_cmp_gt_u32_e64 s[0:1], s49, v0
	s_addc_u32 s20, s5, 0
	v_mov_b32_e32 v8, 0
	s_and_saveexec_b64 s[2:3], s[0:1]
	s_cbranch_execz .LBB11_42
; %bb.33:
	s_waitcnt lgkmcnt(0)
	s_cmp_lt_u32 s6, s18
	s_cselect_b32 s4, 12, 18
	s_add_u32 s4, s19, s4
	s_addc_u32 s5, s20, 0
	v_mov_b32_e32 v3, 0
	global_load_ushort v1, v3, s[4:5]
	s_mov_b64 s[4:5], 0
	v_mov_b32_e32 v9, s48
	v_mov_b32_e32 v2, v0
	;; [unrolled: 1-line block ×3, first 2 shown]
                                        ; implicit-def: $sgpr8_sgpr9
	s_waitcnt vmcnt(0)
	v_add_u32_e32 v4, v1, v1
	v_mul_lo_u32 v10, v1, 3
	v_lshlrev_b32_e32 v11, 1, v1
	v_add_u32_e32 v12, v4, v1
	s_branch .LBB11_37
.LBB11_34:                              ;   in Loop: Header=BB11_37 Depth=1
	s_or_b64 exec, exec, s[14:15]
	s_orn2_b64 s[14:15], s[16:17], exec
.LBB11_35:                              ;   in Loop: Header=BB11_37 Depth=1
	s_or_b64 exec, exec, s[12:13]
	s_andn2_b64 s[8:9], s[8:9], exec
	s_and_b64 s[12:13], s[14:15], exec
	s_or_b64 s[8:9], s[8:9], s[12:13]
.LBB11_36:                              ;   in Loop: Header=BB11_37 Depth=1
	s_or_b64 exec, exec, s[10:11]
	s_and_b64 s[10:11], exec, s[8:9]
	s_or_b64 s[4:5], s[10:11], s[4:5]
	s_andn2_b64 exec, exec, s[4:5]
	s_cbranch_execz .LBB11_41
.LBB11_37:                              ; =>This Inner Loop Header: Depth=1
	v_lshlrev_b64 v[4:5], 3, v[2:3]
	v_add_co_u32_e32 v4, vcc, s33, v4
	v_addc_co_u32_e32 v5, vcc, v9, v5, vcc
	global_load_dwordx2 v[6:7], v[4:5], off
	v_add_u32_e32 v4, v2, v1
	v_cmp_gt_u32_e32 vcc, s49, v4
	s_or_b64 s[8:9], s[8:9], exec
	s_waitcnt vmcnt(0)
	v_fma_mix_f32 v5, v6, v6, v8 op_sel_hi:[1,1,0]
	v_fma_mix_f32 v5, v6, v6, v5 op_sel:[1,1,0] op_sel_hi:[1,1,0]
	v_fma_mix_f32 v5, v7, v7, v5 op_sel_hi:[1,1,0]
	v_fma_mix_f32 v8, v7, v7, v5 op_sel:[1,1,0] op_sel_hi:[1,1,0]
	s_and_saveexec_b64 s[10:11], vcc
	s_cbranch_execz .LBB11_36
; %bb.38:                               ;   in Loop: Header=BB11_37 Depth=1
	v_mov_b32_e32 v5, v3
	v_lshlrev_b64 v[6:7], 3, v[4:5]
	v_add_co_u32_e32 v6, vcc, s33, v6
	v_addc_co_u32_e32 v7, vcc, v9, v7, vcc
	global_load_dwordx2 v[14:15], v[6:7], off
	v_add_u32_e32 v6, v11, v2
	v_cmp_gt_u32_e32 vcc, s49, v6
	s_mov_b64 s[14:15], -1
	s_waitcnt vmcnt(0)
	v_fma_mix_f32 v5, v14, v14, v8 op_sel_hi:[1,1,0]
	v_fma_mix_f32 v5, v14, v14, v5 op_sel:[1,1,0] op_sel_hi:[1,1,0]
	v_fma_mix_f32 v5, v15, v15, v5 op_sel_hi:[1,1,0]
	v_fma_mix_f32 v8, v15, v15, v5 op_sel:[1,1,0] op_sel_hi:[1,1,0]
	s_and_saveexec_b64 s[12:13], vcc
	s_cbranch_execz .LBB11_35
; %bb.39:                               ;   in Loop: Header=BB11_37 Depth=1
	v_mov_b32_e32 v7, v3
	v_lshlrev_b64 v[6:7], 3, v[6:7]
	v_add_co_u32_e32 v6, vcc, s33, v6
	v_addc_co_u32_e32 v7, vcc, v9, v7, vcc
	global_load_dwordx2 v[6:7], v[6:7], off
	v_add_u32_e32 v2, v10, v2
	v_cmp_gt_u32_e32 vcc, s49, v2
	s_mov_b64 s[16:17], -1
	s_waitcnt vmcnt(0)
	v_fma_mix_f32 v5, v6, v6, v8 op_sel_hi:[1,1,0]
	v_fma_mix_f32 v5, v6, v6, v5 op_sel:[1,1,0] op_sel_hi:[1,1,0]
	v_fma_mix_f32 v5, v7, v7, v5 op_sel_hi:[1,1,0]
	v_fma_mix_f32 v8, v7, v7, v5 op_sel:[1,1,0] op_sel_hi:[1,1,0]
	s_and_saveexec_b64 s[14:15], vcc
	s_xor_b64 s[14:15], exec, s[14:15]
	s_cbranch_execz .LBB11_34
; %bb.40:                               ;   in Loop: Header=BB11_37 Depth=1
	v_lshlrev_b64 v[6:7], 3, v[2:3]
	v_add_co_u32_e32 v6, vcc, s33, v6
	v_addc_co_u32_e32 v7, vcc, v9, v7, vcc
	global_load_dwordx2 v[6:7], v[6:7], off
	v_add_u32_e32 v2, v12, v4
	v_cmp_le_u32_e32 vcc, s49, v2
	s_orn2_b64 s[16:17], vcc, exec
	s_waitcnt vmcnt(0)
	v_fma_mix_f32 v4, v6, v6, v8 op_sel_hi:[1,1,0]
	v_fma_mix_f32 v4, v6, v6, v4 op_sel:[1,1,0] op_sel_hi:[1,1,0]
	v_fma_mix_f32 v4, v7, v7, v4 op_sel_hi:[1,1,0]
	v_fma_mix_f32 v8, v7, v7, v4 op_sel:[1,1,0] op_sel_hi:[1,1,0]
	s_branch .LBB11_34
.LBB11_41:
	s_or_b64 exec, exec, s[4:5]
.LBB11_42:
	s_or_b64 exec, exec, s[2:3]
	s_waitcnt lgkmcnt(0)
	s_cmp_lt_u32 s6, s18
	s_cselect_b32 s2, 12, 18
	s_add_u32 s2, s19, s2
	s_addc_u32 s3, s20, 0
	v_mov_b32_e32 v1, 0
	global_load_ushort v2, v1, s[2:3]
	v_mbcnt_lo_u32_b32 v1, -1, 0
	v_mbcnt_hi_u32_b32 v1, -1, v1
	v_and_b32_e32 v4, 63, v1
	v_cmp_ne_u32_e32 vcc, 63, v4
	v_addc_co_u32_e32 v9, vcc, 0, v1, vcc
	v_lshlrev_b32_e32 v9, 2, v9
	ds_bpermute_b32 v11, v9, v8
	v_and_b32_e32 v3, 0x3c0, v0
	v_cmp_gt_u32_e32 vcc, 62, v4
	v_add_u32_e32 v5, 1, v1
	v_cndmask_b32_e64 v10, 0, 1, vcc
	v_lshlrev_b32_e32 v10, 1, v10
	s_waitcnt lgkmcnt(0)
	v_add_f32_e32 v11, v8, v11
	v_add_lshl_u32 v10, v10, v1, 2
	v_cmp_gt_u32_e32 vcc, 60, v4
	v_add_u32_e32 v6, 2, v1
	v_add_u32_e32 v7, 4, v1
	;; [unrolled: 1-line block ×4, first 2 shown]
	v_cmp_eq_u32_e64 s[14:15], 0, v1
	s_waitcnt vmcnt(0)
	v_sub_u32_e64 v3, v2, v3 clamp
	v_cmp_lt_u32_e64 s[2:3], v5, v3
	v_cndmask_b32_e64 v5, v8, v11, s[2:3]
	ds_bpermute_b32 v8, v10, v5
	v_cndmask_b32_e64 v11, 0, 1, vcc
	v_lshlrev_b32_e32 v11, 2, v11
	v_cmp_lt_u32_e64 s[4:5], v6, v3
	v_add_lshl_u32 v11, v11, v1, 2
	s_waitcnt lgkmcnt(0)
	v_add_f32_e32 v8, v5, v8
	v_cndmask_b32_e64 v5, v5, v8, s[4:5]
	ds_bpermute_b32 v6, v11, v5
	v_cmp_gt_u32_e32 vcc, 56, v4
	v_cndmask_b32_e64 v8, 0, 1, vcc
	v_lshlrev_b32_e32 v8, 3, v8
	v_cmp_lt_u32_e64 s[8:9], v7, v3
	s_waitcnt lgkmcnt(0)
	v_add_f32_e32 v6, v5, v6
	v_add_lshl_u32 v12, v8, v1, 2
	v_cndmask_b32_e64 v5, v5, v6, s[8:9]
	ds_bpermute_b32 v6, v12, v5
	v_cmp_gt_u32_e32 vcc, 48, v4
	v_cndmask_b32_e64 v7, 0, 1, vcc
	v_lshlrev_b32_e32 v7, 4, v7
	v_cmp_lt_u32_e64 s[10:11], v14, v3
	s_waitcnt lgkmcnt(0)
	v_add_f32_e32 v6, v5, v6
	v_add_lshl_u32 v13, v7, v1, 2
	v_cndmask_b32_e64 v5, v5, v6, s[10:11]
	ds_bpermute_b32 v6, v13, v5
	v_cmp_gt_u32_e32 vcc, 32, v4
	v_cndmask_b32_e64 v4, 0, 1, vcc
	v_lshlrev_b32_e32 v4, 5, v4
	v_add_lshl_u32 v14, v4, v1, 2
	s_waitcnt lgkmcnt(0)
	v_add_f32_e32 v4, v5, v6
	v_cmp_lt_u32_e64 s[12:13], v15, v3
	v_cndmask_b32_e64 v4, v5, v4, s[12:13]
	ds_bpermute_b32 v5, v14, v4
	v_add_u32_e32 v6, 32, v1
	v_readfirstlane_b32 s50, v2
	v_cmp_lt_u32_e64 s[20:21], v6, v3
	s_waitcnt lgkmcnt(0)
	v_add_f32_e32 v2, v4, v5
	v_cndmask_b32_e64 v2, v4, v2, s[20:21]
	s_and_saveexec_b64 s[16:17], s[14:15]
	s_cbranch_execz .LBB11_44
; %bb.43:
	v_lshrrev_b32_e32 v3, 4, v0
	v_and_b32_e32 v3, 60, v3
	ds_write_b32 v3, v2
.LBB11_44:
	s_or_b64 exec, exec, s[16:17]
	v_cmp_gt_u32_e64 s[16:17], 16, v0
	s_waitcnt lgkmcnt(0)
	s_barrier
	s_and_saveexec_b64 s[28:29], s[16:17]
	s_cbranch_execz .LBB11_46
; %bb.45:
	v_lshlrev_b32_e32 v2, 2, v1
	ds_read_b32 v2, v2
	v_and_b32_e32 v3, 15, v1
	v_cmp_ne_u32_e32 vcc, 15, v3
	v_addc_co_u32_e32 v4, vcc, 0, v1, vcc
	v_lshlrev_b32_e32 v4, 2, v4
	s_waitcnt lgkmcnt(0)
	ds_bpermute_b32 v4, v4, v2
	s_add_i32 s18, s50, 63
	s_lshr_b32 s34, s18, 6
	v_add_u32_e32 v5, 1, v3
	v_cmp_gt_u32_e64 s[18:19], 14, v3
	v_cmp_gt_u32_e32 vcc, s34, v5
	v_cndmask_b32_e64 v5, 0, 1, s[18:19]
	s_waitcnt lgkmcnt(0)
	v_add_f32_e32 v4, v2, v4
	v_lshlrev_b32_e32 v5, 1, v5
	v_cndmask_b32_e32 v4, v2, v4, vcc
	v_add_lshl_u32 v5, v5, v1, 2
	ds_bpermute_b32 v5, v5, v4
	v_add_u32_e32 v6, 2, v3
	v_cmp_gt_u32_e64 s[18:19], s34, v6
	v_add_u32_e32 v6, 4, v3
	s_waitcnt lgkmcnt(0)
	v_add_f32_e32 v5, v4, v5
	v_cndmask_b32_e64 v4, v4, v5, s[18:19]
	v_cmp_gt_u32_e64 s[18:19], 12, v3
	v_cndmask_b32_e64 v5, 0, 1, s[18:19]
	v_lshlrev_b32_e32 v5, 2, v5
	v_add_lshl_u32 v5, v5, v1, 2
	ds_bpermute_b32 v5, v5, v4
	v_cmp_gt_u32_e64 s[18:19], s34, v6
	s_waitcnt lgkmcnt(0)
	v_add_f32_e32 v5, v4, v5
	v_cndmask_b32_e64 v4, v4, v5, s[18:19]
	v_cmp_gt_u32_e64 s[18:19], 8, v3
	v_cndmask_b32_e64 v5, 0, 1, s[18:19]
	v_lshlrev_b32_e32 v5, 3, v5
	v_add_lshl_u32 v5, v5, v1, 2
	ds_bpermute_b32 v5, v5, v4
	v_add_u32_e32 v3, 8, v3
	v_cmp_gt_u32_e64 s[18:19], s34, v3
	s_waitcnt lgkmcnt(0)
	v_add_f32_e32 v5, v4, v5
	v_cndmask_b32_e64 v3, v4, v5, s[18:19]
	v_cndmask_b32_e32 v2, v2, v3, vcc
.LBB11_46:
	s_or_b64 exec, exec, s[28:29]
	v_cmp_eq_u32_e64 s[18:19], 0, v0
	s_and_saveexec_b64 s[28:29], s[18:19]
	s_cbranch_execz .LBB11_48
; %bb.47:
	v_cvt_f32_i32_e32 v3, s37
	v_div_scale_f32 v4, s[34:35], v3, v3, v2
	v_rcp_f32_e32 v5, v4
	v_div_scale_f32 v6, vcc, v2, v3, v2
	s_mov_b32 s34, 0x800000
	v_fma_f32 v7, -v4, v5, 1.0
	v_fmac_f32_e32 v5, v7, v5
	v_mul_f32_e32 v7, v6, v5
	v_fma_f32 v8, -v4, v7, v6
	v_fmac_f32_e32 v7, v8, v5
	v_fma_f32 v4, -v4, v7, v6
	v_div_fmas_f32 v4, v4, v5, v7
	v_div_fixup_f32 v2, v4, v3, v2
	v_add_f32_e32 v2, s36, v2
	v_mul_f32_e32 v3, 0x4b800000, v2
	v_cmp_gt_f32_e32 vcc, s34, v2
	v_cndmask_b32_e32 v2, v2, v3, vcc
	v_rsq_f32_e32 v2, v2
	v_mul_f32_e32 v3, 0x45800000, v2
	v_cndmask_b32_e32 v2, v2, v3, vcc
	v_mov_b32_e32 v3, 0
	ds_write_b32 v3, v2 offset:256
.LBB11_48:
	s_or_b64 exec, exec, s[28:29]
	v_mov_b32_e32 v15, 0
	s_waitcnt lgkmcnt(0)
	s_barrier
	ds_read_b32 v8, v15 offset:256
	s_and_saveexec_b64 s[28:29], s[0:1]
	s_cbranch_execz .LBB11_58
; %bb.49:
	v_mov_b32_e32 v3, 0
	s_add_i32 s52, s50, s50
	s_mul_i32 s36, s50, 3
	s_lshl_b32 s51, s50, 1
	s_mov_b64 s[34:35], 0
	v_mov_b32_e32 v16, s48
	v_mov_b32_e32 v17, s31
	s_add_i32 s52, s52, s50
	v_mov_b32_e32 v2, v0
	v_mov_b32_e32 v15, v3
                                        ; implicit-def: $sgpr38_sgpr39
	s_branch .LBB11_53
.LBB11_50:                              ;   in Loop: Header=BB11_53 Depth=1
	s_or_b64 exec, exec, s[44:45]
	s_orn2_b64 s[44:45], s[46:47], exec
.LBB11_51:                              ;   in Loop: Header=BB11_53 Depth=1
	s_or_b64 exec, exec, s[42:43]
	s_andn2_b64 s[38:39], s[38:39], exec
	s_and_b64 s[42:43], s[44:45], exec
	s_or_b64 s[38:39], s[38:39], s[42:43]
.LBB11_52:                              ;   in Loop: Header=BB11_53 Depth=1
	s_or_b64 exec, exec, s[40:41]
	s_and_b64 s[40:41], exec, s[38:39]
	s_or_b64 s[34:35], s[40:41], s[34:35]
	s_andn2_b64 exec, exec, s[34:35]
	s_cbranch_execz .LBB11_57
.LBB11_53:                              ; =>This Inner Loop Header: Depth=1
	v_lshlrev_b64 v[4:5], 3, v[2:3]
	v_add_co_u32_e32 v6, vcc, s33, v4
	v_addc_co_u32_e32 v7, vcc, v16, v5, vcc
	v_add_co_u32_e32 v4, vcc, s30, v4
	global_load_dwordx2 v[6:7], v[6:7], off
	v_addc_co_u32_e32 v5, vcc, v17, v5, vcc
	global_load_dwordx2 v[4:5], v[4:5], off
	s_or_b64 s[38:39], s[38:39], exec
	s_waitcnt vmcnt(1) lgkmcnt(0)
	v_fma_mixlo_f16 v18, v8, v6, 0 op_sel_hi:[0,1,0]
	v_fma_mixlo_f16 v6, v8, v6, 0 op_sel:[0,1,0] op_sel_hi:[0,1,0]
	v_fma_mixlo_f16 v19, v8, v7, 0 op_sel_hi:[0,1,0]
	v_fma_mixlo_f16 v7, v8, v7, 0 op_sel:[0,1,0] op_sel_hi:[0,1,0]
	s_waitcnt vmcnt(0)
	v_mul_f16_e32 v18, v4, v18
	v_mul_f16_sdwa v4, v4, v6 dst_sel:DWORD dst_unused:UNUSED_PAD src0_sel:WORD_1 src1_sel:DWORD
	v_mul_f16_e32 v6, v5, v19
	v_mul_f16_sdwa v5, v5, v7 dst_sel:DWORD dst_unused:UNUSED_PAD src0_sel:WORD_1 src1_sel:DWORD
	v_cvt_f32_f16_e64 v7, |v18|
	v_cvt_f32_f16_e64 v18, |v4|
	;; [unrolled: 1-line block ×4, first 2 shown]
	v_add_u32_e32 v4, s50, v2
	v_max3_f32 v7, v15, v7, v18
	v_cmp_gt_u32_e32 vcc, s49, v4
	v_max3_f32 v15, v7, v6, v5
	s_and_saveexec_b64 s[40:41], vcc
	s_cbranch_execz .LBB11_52
; %bb.54:                               ;   in Loop: Header=BB11_53 Depth=1
	v_mov_b32_e32 v5, v3
	v_lshlrev_b64 v[6:7], 3, v[4:5]
	v_add_co_u32_e32 v18, vcc, s33, v6
	v_addc_co_u32_e32 v19, vcc, v16, v7, vcc
	v_add_co_u32_e32 v6, vcc, s30, v6
	global_load_dwordx2 v[18:19], v[18:19], off
	v_addc_co_u32_e32 v7, vcc, v17, v7, vcc
	global_load_dwordx2 v[6:7], v[6:7], off
	s_mov_b64 s[44:45], -1
	s_waitcnt vmcnt(1)
	v_fma_mixlo_f16 v5, v8, v18, 0 op_sel_hi:[0,1,0]
	v_fma_mixlo_f16 v18, v8, v18, 0 op_sel:[0,1,0] op_sel_hi:[0,1,0]
	v_fma_mixlo_f16 v20, v8, v19, 0 op_sel_hi:[0,1,0]
	v_fma_mixlo_f16 v19, v8, v19, 0 op_sel:[0,1,0] op_sel_hi:[0,1,0]
	s_waitcnt vmcnt(0)
	v_mul_f16_e32 v5, v6, v5
	v_mul_f16_sdwa v6, v6, v18 dst_sel:DWORD dst_unused:UNUSED_PAD src0_sel:WORD_1 src1_sel:DWORD
	v_mul_f16_e32 v18, v7, v20
	v_mul_f16_sdwa v7, v7, v19 dst_sel:DWORD dst_unused:UNUSED_PAD src0_sel:WORD_1 src1_sel:DWORD
	v_cvt_f32_f16_e64 v5, |v5|
	v_cvt_f32_f16_e64 v19, |v6|
	;; [unrolled: 1-line block ×4, first 2 shown]
	v_add_u32_e32 v6, s51, v2
	v_max3_f32 v5, v15, v5, v19
	v_cmp_gt_u32_e32 vcc, s49, v6
	v_max3_f32 v15, v5, v18, v7
	s_and_saveexec_b64 s[42:43], vcc
	s_cbranch_execz .LBB11_51
; %bb.55:                               ;   in Loop: Header=BB11_53 Depth=1
	v_mov_b32_e32 v7, v3
	v_lshlrev_b64 v[6:7], 3, v[6:7]
	v_add_co_u32_e32 v18, vcc, s33, v6
	v_addc_co_u32_e32 v19, vcc, v16, v7, vcc
	v_add_co_u32_e32 v6, vcc, s30, v6
	global_load_dwordx2 v[18:19], v[18:19], off
	v_addc_co_u32_e32 v7, vcc, v17, v7, vcc
	global_load_dwordx2 v[6:7], v[6:7], off
	v_add_u32_e32 v2, s36, v2
	v_cmp_gt_u32_e32 vcc, s49, v2
	s_mov_b64 s[46:47], -1
	s_waitcnt vmcnt(1)
	v_fma_mixlo_f16 v5, v8, v18, 0 op_sel_hi:[0,1,0]
	v_fma_mixlo_f16 v18, v8, v18, 0 op_sel:[0,1,0] op_sel_hi:[0,1,0]
	v_fma_mixlo_f16 v20, v8, v19, 0 op_sel_hi:[0,1,0]
	v_fma_mixlo_f16 v19, v8, v19, 0 op_sel:[0,1,0] op_sel_hi:[0,1,0]
	s_waitcnt vmcnt(0)
	v_mul_f16_e32 v5, v6, v5
	v_mul_f16_sdwa v6, v6, v18 dst_sel:DWORD dst_unused:UNUSED_PAD src0_sel:WORD_1 src1_sel:DWORD
	v_mul_f16_e32 v18, v7, v20
	v_mul_f16_sdwa v7, v7, v19 dst_sel:DWORD dst_unused:UNUSED_PAD src0_sel:WORD_1 src1_sel:DWORD
	v_cvt_f32_f16_e64 v5, |v5|
	v_cvt_f32_f16_e64 v6, |v6|
	;; [unrolled: 1-line block ×4, first 2 shown]
	v_max3_f32 v5, v15, v5, v6
	v_max3_f32 v15, v5, v18, v7
	s_and_saveexec_b64 s[44:45], vcc
	s_xor_b64 s[44:45], exec, s[44:45]
	s_cbranch_execz .LBB11_50
; %bb.56:                               ;   in Loop: Header=BB11_53 Depth=1
	v_lshlrev_b64 v[6:7], 3, v[2:3]
	v_add_co_u32_e32 v18, vcc, s33, v6
	v_addc_co_u32_e32 v19, vcc, v16, v7, vcc
	v_add_co_u32_e32 v6, vcc, s30, v6
	global_load_dwordx2 v[18:19], v[18:19], off
	v_addc_co_u32_e32 v7, vcc, v17, v7, vcc
	global_load_dwordx2 v[6:7], v[6:7], off
	s_waitcnt vmcnt(1)
	v_fma_mixlo_f16 v2, v8, v18, 0 op_sel_hi:[0,1,0]
	v_fma_mixlo_f16 v5, v8, v18, 0 op_sel:[0,1,0] op_sel_hi:[0,1,0]
	v_fma_mixlo_f16 v18, v8, v19, 0 op_sel_hi:[0,1,0]
	v_fma_mixlo_f16 v19, v8, v19, 0 op_sel:[0,1,0] op_sel_hi:[0,1,0]
	s_waitcnt vmcnt(0)
	v_mul_f16_e32 v2, v6, v2
	v_mul_f16_sdwa v5, v6, v5 dst_sel:DWORD dst_unused:UNUSED_PAD src0_sel:WORD_1 src1_sel:DWORD
	v_mul_f16_e32 v6, v7, v18
	v_mul_f16_sdwa v7, v7, v19 dst_sel:DWORD dst_unused:UNUSED_PAD src0_sel:WORD_1 src1_sel:DWORD
	v_cvt_f32_f16_e64 v18, |v2|
	v_cvt_f32_f16_e64 v5, |v5|
	;; [unrolled: 1-line block ×4, first 2 shown]
	v_add_u32_e32 v2, s52, v4
	v_cmp_le_u32_e32 vcc, s49, v2
	v_max3_f32 v4, v15, v18, v5
	v_max3_f32 v15, v4, v6, v7
	s_orn2_b64 s[46:47], vcc, exec
	s_branch .LBB11_50
.LBB11_57:
	s_or_b64 exec, exec, s[34:35]
.LBB11_58:
	s_or_b64 exec, exec, s[28:29]
	ds_bpermute_b32 v2, v9, v15
	s_waitcnt lgkmcnt(0)
	v_cmp_lt_f32_e32 vcc, v15, v2
	v_cndmask_b32_e32 v2, v15, v2, vcc
	v_cndmask_b32_e64 v2, v15, v2, s[2:3]
	ds_bpermute_b32 v3, v10, v2
	s_or_b64 s[2:3], s[2:3], s[4:5]
	s_or_b64 s[2:3], s[8:9], s[2:3]
	;; [unrolled: 1-line block ×4, first 2 shown]
	s_waitcnt lgkmcnt(0)
	v_cmp_lt_f32_e32 vcc, v2, v3
	v_cndmask_b32_e32 v3, v2, v3, vcc
	v_cndmask_b32_e64 v2, v2, v3, s[4:5]
	ds_bpermute_b32 v3, v11, v2
	s_waitcnt lgkmcnt(0)
	v_cmp_lt_f32_e32 vcc, v2, v3
	v_cndmask_b32_e32 v3, v2, v3, vcc
	v_cndmask_b32_e64 v2, v2, v3, s[8:9]
	ds_bpermute_b32 v3, v12, v2
	;; [unrolled: 5-line block ×4, first 2 shown]
	s_waitcnt lgkmcnt(0)
	v_cmp_lt_f32_e32 vcc, v2, v3
	s_and_b64 vcc, s[20:21], vcc
	v_cndmask_b32_e32 v2, v2, v3, vcc
	s_or_b64 vcc, s[20:21], s[2:3]
	v_cndmask_b32_e32 v2, v15, v2, vcc
	s_and_saveexec_b64 s[2:3], s[14:15]
	s_cbranch_execz .LBB11_60
; %bb.59:
	v_lshrrev_b32_e32 v3, 4, v0
	v_and_b32_e32 v3, 60, v3
	ds_write_b32 v3, v2 offset:64
.LBB11_60:
	s_or_b64 exec, exec, s[2:3]
	s_waitcnt lgkmcnt(0)
	s_barrier
	s_and_saveexec_b64 s[8:9], s[16:17]
	s_cbranch_execz .LBB11_62
; %bb.61:
	v_lshlrev_b32_e32 v2, 2, v1
	ds_read_b32 v2, v2 offset:64
	v_and_b32_e32 v3, 15, v1
	v_cmp_ne_u32_e32 vcc, 15, v3
	v_addc_co_u32_e32 v4, vcc, 0, v1, vcc
	v_lshlrev_b32_e32 v4, 2, v4
	s_waitcnt lgkmcnt(0)
	ds_bpermute_b32 v4, v4, v2
	s_add_i32 s2, s50, 63
	s_lshr_b32 s4, s2, 6
	v_add_u32_e32 v5, 1, v3
	v_cmp_gt_u32_e64 s[2:3], 14, v3
	s_waitcnt lgkmcnt(0)
	v_cmp_lt_f32_e32 vcc, v2, v4
	v_cndmask_b32_e32 v4, v2, v4, vcc
	v_cmp_gt_u32_e32 vcc, s4, v5
	v_cndmask_b32_e64 v5, 0, 1, s[2:3]
	v_lshlrev_b32_e32 v5, 1, v5
	v_cndmask_b32_e32 v4, v2, v4, vcc
	v_add_lshl_u32 v5, v5, v1, 2
	ds_bpermute_b32 v5, v5, v4
	v_add_u32_e32 v6, 2, v3
	s_waitcnt lgkmcnt(0)
	v_cmp_lt_f32_e64 s[2:3], v4, v5
	v_cndmask_b32_e64 v5, v4, v5, s[2:3]
	v_cmp_gt_u32_e64 s[2:3], s4, v6
	v_cndmask_b32_e64 v4, v4, v5, s[2:3]
	v_cmp_gt_u32_e64 s[2:3], 12, v3
	v_cndmask_b32_e64 v5, 0, 1, s[2:3]
	v_lshlrev_b32_e32 v5, 2, v5
	v_add_lshl_u32 v5, v5, v1, 2
	ds_bpermute_b32 v5, v5, v4
	v_add_u32_e32 v6, 4, v3
	s_waitcnt lgkmcnt(0)
	v_cmp_lt_f32_e64 s[2:3], v4, v5
	v_cndmask_b32_e64 v5, v4, v5, s[2:3]
	v_cmp_gt_u32_e64 s[2:3], s4, v6
	v_cndmask_b32_e64 v4, v4, v5, s[2:3]
	v_cmp_gt_u32_e64 s[2:3], 8, v3
	v_cndmask_b32_e64 v5, 0, 1, s[2:3]
	v_lshlrev_b32_e32 v5, 3, v5
	v_add_lshl_u32 v1, v5, v1, 2
	ds_bpermute_b32 v1, v1, v4
	v_add_u32_e32 v3, 8, v3
	v_cmp_gt_u32_e64 s[2:3], s4, v3
	s_waitcnt lgkmcnt(0)
	v_cmp_lt_f32_e64 s[4:5], v4, v1
	s_and_b64 s[2:3], s[2:3], s[4:5]
	v_cndmask_b32_e64 v1, v4, v1, s[2:3]
	v_cndmask_b32_e32 v2, v2, v1, vcc
.LBB11_62:
	s_or_b64 exec, exec, s[8:9]
	s_and_saveexec_b64 s[2:3], s[18:19]
	s_cbranch_execz .LBB11_66
; %bb.63:
	s_cmp_eq_u64 s[22:23], 0
	s_cbranch_scc1 .LBB11_65
; %bb.64:
	s_load_dword s4, s[22:23], 0x0
	v_max_f32_e32 v1, v2, v2
	s_waitcnt lgkmcnt(0)
	v_max_f32_e64 v2, s4, s4
	v_min_f32_e32 v2, v1, v2
.LBB11_65:
	s_mov_b32 s8, 0x42fe0000
	v_div_scale_f32 v1, s[4:5], s8, s8, v2
	v_rcp_f32_e32 v3, v1
	v_div_scale_f32 v4, vcc, v2, s8, v2
	s_lshl_b64 s[4:5], s[6:7], 2
	v_fma_f32 v5, -v1, v3, 1.0
	v_fmac_f32_e32 v3, v5, v3
	v_mul_f32_e32 v5, v4, v3
	v_fma_f32 v6, -v1, v5, v4
	v_fmac_f32_e32 v5, v6, v3
	v_fma_f32 v1, -v1, v5, v4
	v_div_fmas_f32 v1, v1, v3, v5
	v_div_fixup_f32 v1, v1, s8, v2
	s_add_u32 s4, s26, s4
	v_max_f32_e32 v1, 0x34000000, v1
	v_mov_b32_e32 v2, 0
	s_addc_u32 s5, s27, s5
	ds_write_b32 v2, v1 offset:260
	global_store_dword v2, v1, s[4:5]
.LBB11_66:
	s_or_b64 exec, exec, s[2:3]
	s_waitcnt lgkmcnt(0)
	s_barrier
	s_and_saveexec_b64 s[2:3], s[0:1]
	s_cbranch_execz .LBB11_75
; %bb.67:
	v_mov_b32_e32 v1, 0
	ds_read_b32 v2, v1 offset:260
	s_ashr_i32 s2, s37, 31
	s_mul_hi_u32 s3, s37, s6
	s_mul_i32 s2, s2, s6
	s_add_i32 s3, s3, s2
	s_waitcnt lgkmcnt(0)
	v_div_scale_f32 v3, s[0:1], v2, v2, 1.0
	v_rcp_f32_e32 v4, v3
	v_div_scale_f32 v5, vcc, 1.0, v2, 1.0
	s_mul_i32 s0, s37, s6
	v_fma_f32 v6, -v3, v4, 1.0
	v_fmac_f32_e32 v4, v6, v4
	v_mul_f32_e32 v6, v5, v4
	v_fma_f32 v7, -v3, v6, v5
	v_fmac_f32_e32 v6, v7, v4
	v_fma_f32 v3, -v3, v6, v5
	s_add_u32 s12, s24, s0
	v_div_fmas_f32 v3, v3, v4, v6
	s_addc_u32 s13, s25, s3
	s_add_i32 s18, s50, s50
	v_div_fixup_f32 v6, v3, v2, 1.0
	s_mul_i32 s14, s50, 3
	s_lshl_b32 s15, s50, 1
	s_mov_b64 s[2:3], 0
	v_mov_b32_e32 v7, s48
	v_mov_b32_e32 v9, s31
	s_mov_b32 s16, 0x42fe0000
	v_mov_b32_e32 v10, 0x42fe0000
	s_mov_b32 s17, 0xc3000000
	v_mov_b32_e32 v11, 0xc3000000
	v_mov_b32_e32 v12, s13
	s_add_i32 s18, s18, s50
	v_mov_b32_e32 v13, 8
                                        ; implicit-def: $sgpr4_sgpr5
	s_branch .LBB11_71
.LBB11_68:                              ;   in Loop: Header=BB11_71 Depth=1
	s_or_b64 exec, exec, s[10:11]
	s_orn2_b64 s[0:1], s[0:1], exec
.LBB11_69:                              ;   in Loop: Header=BB11_71 Depth=1
	s_or_b64 exec, exec, s[8:9]
	s_andn2_b64 s[4:5], s[4:5], exec
	s_and_b64 s[0:1], s[0:1], exec
	s_or_b64 s[4:5], s[4:5], s[0:1]
.LBB11_70:                              ;   in Loop: Header=BB11_71 Depth=1
	s_or_b64 exec, exec, s[6:7]
	s_and_b64 s[0:1], exec, s[4:5]
	s_or_b64 s[2:3], s[0:1], s[2:3]
	s_andn2_b64 exec, exec, s[2:3]
	s_cbranch_execz .LBB11_75
.LBB11_71:                              ; =>This Inner Loop Header: Depth=1
	v_lshlrev_b64 v[2:3], 3, v[0:1]
	v_add_co_u32_e32 v4, vcc, s33, v2
	v_addc_co_u32_e32 v5, vcc, v7, v3, vcc
	v_add_co_u32_e32 v2, vcc, s30, v2
	global_load_dwordx2 v[4:5], v[4:5], off
	v_addc_co_u32_e32 v3, vcc, v9, v3, vcc
	global_load_dwordx2 v[14:15], v[2:3], off
	v_lshlrev_b64 v[16:17], 2, v[0:1]
	v_add_co_u32_e32 v16, vcc, s12, v16
	v_add_u32_e32 v2, s50, v0
	v_addc_co_u32_e32 v17, vcc, v12, v17, vcc
	v_cmp_gt_u32_e32 vcc, s49, v2
	s_or_b64 s[4:5], s[4:5], exec
	s_waitcnt vmcnt(1)
	v_fma_mixlo_f16 v3, v8, v4, 0 op_sel_hi:[0,1,0]
	v_fma_mixlo_f16 v4, v8, v4, 0 op_sel:[0,1,0] op_sel_hi:[0,1,0]
	v_fma_mixlo_f16 v18, v8, v5, 0 op_sel_hi:[0,1,0]
	s_waitcnt vmcnt(0)
	v_mul_f16_e32 v3, v14, v3
	v_mul_f16_sdwa v4, v14, v4 dst_sel:DWORD dst_unused:UNUSED_PAD src0_sel:WORD_1 src1_sel:DWORD
	v_cvt_f32_f16_e32 v3, v3
	v_fma_mixlo_f16 v5, v8, v5, 0 op_sel:[0,1,0] op_sel_hi:[0,1,0]
	v_mul_f16_e32 v14, v15, v18
	v_cvt_f32_f16_e32 v4, v4
	v_mul_f16_sdwa v5, v15, v5 dst_sel:DWORD dst_unused:UNUSED_PAD src0_sel:WORD_1 src1_sel:DWORD
	v_cvt_f32_f16_e32 v14, v14
	v_cvt_f32_f16_e32 v5, v5
	v_mul_f32_e32 v3, v6, v3
	v_mul_f32_e32 v4, v6, v4
	v_rndne_f32_e32 v3, v3
	v_mul_f32_e32 v14, v6, v14
	v_rndne_f32_e32 v4, v4
	v_cmp_nlt_f32_e64 s[0:1], s16, v3
	v_mul_f32_e32 v5, v6, v5
	v_rndne_f32_e32 v14, v14
	v_cndmask_b32_e64 v15, v10, v3, s[0:1]
	v_cmp_nlt_f32_e64 s[0:1], s16, v4
	v_rndne_f32_e32 v5, v5
	v_cndmask_b32_e64 v18, v10, v4, s[0:1]
	v_cmp_nlt_f32_e64 s[0:1], s16, v14
	v_cndmask_b32_e64 v19, v10, v14, s[0:1]
	v_cmp_nlt_f32_e64 s[0:1], s16, v5
	v_cndmask_b32_e64 v20, v10, v5, s[0:1]
	v_cmp_ngt_f32_e64 s[0:1], s17, v3
	v_cndmask_b32_e64 v3, v11, v15, s[0:1]
	v_cmp_ngt_f32_e64 s[0:1], s17, v4
	;; [unrolled: 2-line block ×4, first 2 shown]
	v_cvt_i32_f32_e32 v14, v14
	v_cndmask_b32_e64 v5, v11, v20, s[0:1]
	v_cvt_i32_f32_e32 v4, v4
	v_cvt_i32_f32_e32 v3, v3
	;; [unrolled: 1-line block ×3, first 2 shown]
	v_and_b32_e32 v14, 0xff, v14
	v_lshlrev_b32_e32 v14, 16, v14
	v_lshlrev_b32_sdwa v4, v13, v4 dst_sel:DWORD dst_unused:UNUSED_PAD src0_sel:DWORD src1_sel:BYTE_0
	v_and_b32_e32 v3, 0xff, v3
	v_lshl_or_b32 v5, v5, 24, v14
	v_or3_b32 v3, v5, v4, v3
	global_store_dword v[16:17], v3, off
	s_and_saveexec_b64 s[6:7], vcc
	s_cbranch_execz .LBB11_70
; %bb.72:                               ;   in Loop: Header=BB11_71 Depth=1
	v_mov_b32_e32 v3, v1
	v_lshlrev_b64 v[4:5], 3, v[2:3]
	v_add_co_u32_e32 v14, vcc, s33, v4
	v_addc_co_u32_e32 v15, vcc, v7, v5, vcc
	v_add_co_u32_e32 v4, vcc, s30, v4
	global_load_dwordx2 v[14:15], v[14:15], off
	v_addc_co_u32_e32 v5, vcc, v9, v5, vcc
	global_load_dwordx2 v[16:17], v[4:5], off
	v_lshlrev_b64 v[18:19], 2, v[2:3]
	v_add_co_u32_e64 v18, s[0:1], s12, v18
	v_addc_co_u32_e64 v19, s[0:1], v12, v19, s[0:1]
	v_add_u32_e32 v4, s15, v0
	v_cmp_gt_u32_e32 vcc, s49, v4
	s_waitcnt vmcnt(1)
	v_fma_mixlo_f16 v3, v8, v14, 0 op_sel_hi:[0,1,0]
	v_fma_mixlo_f16 v5, v8, v14, 0 op_sel:[0,1,0] op_sel_hi:[0,1,0]
	v_fma_mixlo_f16 v14, v8, v15, 0 op_sel_hi:[0,1,0]
	s_waitcnt vmcnt(0)
	v_mul_f16_e32 v3, v16, v3
	v_mul_f16_sdwa v5, v16, v5 dst_sel:DWORD dst_unused:UNUSED_PAD src0_sel:WORD_1 src1_sel:DWORD
	v_cvt_f32_f16_e32 v3, v3
	v_fma_mixlo_f16 v15, v8, v15, 0 op_sel:[0,1,0] op_sel_hi:[0,1,0]
	v_mul_f16_e32 v14, v17, v14
	v_cvt_f32_f16_e32 v5, v5
	v_mul_f16_sdwa v15, v17, v15 dst_sel:DWORD dst_unused:UNUSED_PAD src0_sel:WORD_1 src1_sel:DWORD
	v_cvt_f32_f16_e32 v14, v14
	v_cvt_f32_f16_e32 v15, v15
	v_mul_f32_e32 v3, v6, v3
	v_mul_f32_e32 v5, v6, v5
	v_rndne_f32_e32 v3, v3
	v_mul_f32_e32 v14, v6, v14
	v_rndne_f32_e32 v5, v5
	v_cmp_nlt_f32_e64 s[0:1], s16, v3
	v_mul_f32_e32 v15, v6, v15
	v_rndne_f32_e32 v14, v14
	v_cndmask_b32_e64 v16, v10, v3, s[0:1]
	v_cmp_nlt_f32_e64 s[0:1], s16, v5
	v_rndne_f32_e32 v15, v15
	v_cndmask_b32_e64 v17, v10, v5, s[0:1]
	v_cmp_nlt_f32_e64 s[0:1], s16, v14
	v_cndmask_b32_e64 v20, v10, v14, s[0:1]
	v_cmp_nlt_f32_e64 s[0:1], s16, v15
	v_cndmask_b32_e64 v21, v10, v15, s[0:1]
	v_cmp_ngt_f32_e64 s[0:1], s17, v3
	v_cndmask_b32_e64 v3, v11, v16, s[0:1]
	v_cmp_ngt_f32_e64 s[0:1], s17, v5
	v_cndmask_b32_e64 v5, v11, v17, s[0:1]
	v_cmp_ngt_f32_e64 s[0:1], s17, v14
	v_cndmask_b32_e64 v14, v11, v20, s[0:1]
	v_cmp_ngt_f32_e64 s[0:1], s17, v15
	v_cvt_i32_f32_e32 v14, v14
	v_cndmask_b32_e64 v15, v11, v21, s[0:1]
	v_cvt_i32_f32_e32 v5, v5
	v_cvt_i32_f32_e32 v3, v3
	;; [unrolled: 1-line block ×3, first 2 shown]
	v_and_b32_e32 v14, 0xff, v14
	v_lshlrev_b32_e32 v14, 16, v14
	v_lshlrev_b32_sdwa v5, v13, v5 dst_sel:DWORD dst_unused:UNUSED_PAD src0_sel:DWORD src1_sel:BYTE_0
	v_and_b32_e32 v3, 0xff, v3
	v_lshl_or_b32 v14, v15, 24, v14
	v_or3_b32 v3, v14, v5, v3
	s_mov_b64 s[0:1], -1
	global_store_dword v[18:19], v3, off
	s_and_saveexec_b64 s[8:9], vcc
	s_cbranch_execz .LBB11_69
; %bb.73:                               ;   in Loop: Header=BB11_71 Depth=1
	v_mov_b32_e32 v5, v1
	v_lshlrev_b64 v[14:15], 3, v[4:5]
	v_add_co_u32_e32 v16, vcc, s33, v14
	v_addc_co_u32_e32 v17, vcc, v7, v15, vcc
	v_add_co_u32_e32 v14, vcc, s30, v14
	global_load_dwordx2 v[16:17], v[16:17], off
	v_addc_co_u32_e32 v15, vcc, v9, v15, vcc
	global_load_dwordx2 v[14:15], v[14:15], off
	v_lshlrev_b64 v[4:5], 2, v[4:5]
	v_add_co_u32_e64 v4, s[0:1], s12, v4
	v_addc_co_u32_e64 v5, s[0:1], v12, v5, s[0:1]
	v_add_u32_e32 v0, s14, v0
	v_cmp_gt_u32_e32 vcc, s49, v0
	s_waitcnt vmcnt(1)
	v_fma_mixlo_f16 v3, v8, v16, 0 op_sel_hi:[0,1,0]
	v_fma_mixlo_f16 v16, v8, v16, 0 op_sel:[0,1,0] op_sel_hi:[0,1,0]
	v_fma_mixlo_f16 v18, v8, v17, 0 op_sel_hi:[0,1,0]
	s_waitcnt vmcnt(0)
	v_mul_f16_e32 v3, v14, v3
	v_mul_f16_sdwa v14, v14, v16 dst_sel:DWORD dst_unused:UNUSED_PAD src0_sel:WORD_1 src1_sel:DWORD
	v_cvt_f32_f16_e32 v3, v3
	v_fma_mixlo_f16 v17, v8, v17, 0 op_sel:[0,1,0] op_sel_hi:[0,1,0]
	v_mul_f16_e32 v16, v15, v18
	v_cvt_f32_f16_e32 v14, v14
	v_mul_f16_sdwa v15, v15, v17 dst_sel:DWORD dst_unused:UNUSED_PAD src0_sel:WORD_1 src1_sel:DWORD
	v_cvt_f32_f16_e32 v16, v16
	v_cvt_f32_f16_e32 v15, v15
	v_mul_f32_e32 v3, v6, v3
	v_mul_f32_e32 v14, v6, v14
	v_rndne_f32_e32 v3, v3
	v_mul_f32_e32 v16, v6, v16
	v_rndne_f32_e32 v14, v14
	v_cmp_nlt_f32_e64 s[0:1], s16, v3
	v_mul_f32_e32 v15, v6, v15
	v_rndne_f32_e32 v16, v16
	v_cndmask_b32_e64 v17, v10, v3, s[0:1]
	v_cmp_nlt_f32_e64 s[0:1], s16, v14
	v_rndne_f32_e32 v15, v15
	v_cndmask_b32_e64 v18, v10, v14, s[0:1]
	v_cmp_nlt_f32_e64 s[0:1], s16, v16
	v_cndmask_b32_e64 v19, v10, v16, s[0:1]
	v_cmp_nlt_f32_e64 s[0:1], s16, v15
	v_cndmask_b32_e64 v20, v10, v15, s[0:1]
	v_cmp_ngt_f32_e64 s[0:1], s17, v3
	v_cndmask_b32_e64 v3, v11, v17, s[0:1]
	v_cmp_ngt_f32_e64 s[0:1], s17, v14
	v_cndmask_b32_e64 v14, v11, v18, s[0:1]
	v_cmp_ngt_f32_e64 s[0:1], s17, v16
	v_cndmask_b32_e64 v16, v11, v19, s[0:1]
	v_cmp_ngt_f32_e64 s[0:1], s17, v15
	v_cvt_i32_f32_e32 v16, v16
	v_cndmask_b32_e64 v15, v11, v20, s[0:1]
	v_cvt_i32_f32_e32 v14, v14
	v_cvt_i32_f32_e32 v3, v3
	v_cvt_i32_f32_e32 v15, v15
	v_and_b32_e32 v16, 0xff, v16
	v_lshlrev_b32_e32 v16, 16, v16
	v_lshlrev_b32_sdwa v14, v13, v14 dst_sel:DWORD dst_unused:UNUSED_PAD src0_sel:DWORD src1_sel:BYTE_0
	v_and_b32_e32 v3, 0xff, v3
	v_lshl_or_b32 v15, v15, 24, v16
	v_or3_b32 v3, v15, v14, v3
	s_mov_b64 s[0:1], -1
	global_store_dword v[4:5], v3, off
	s_and_saveexec_b64 s[10:11], vcc
	s_cbranch_execz .LBB11_68
; %bb.74:                               ;   in Loop: Header=BB11_71 Depth=1
	v_lshlrev_b64 v[4:5], 3, v[0:1]
	v_mov_b32_e32 v3, s48
	v_add_co_u32_e32 v14, vcc, s33, v4
	v_addc_co_u32_e32 v15, vcc, v3, v5, vcc
	v_mov_b32_e32 v3, s31
	v_add_co_u32_e32 v4, vcc, s30, v4
	global_load_dwordx2 v[14:15], v[14:15], off
	v_addc_co_u32_e32 v5, vcc, v3, v5, vcc
	global_load_dwordx2 v[4:5], v[4:5], off
	v_lshlrev_b64 v[16:17], 2, v[0:1]
	v_mov_b32_e32 v3, s13
	v_add_u32_e32 v0, s18, v2
	v_add_co_u32_e32 v2, vcc, s12, v16
	v_addc_co_u32_e32 v3, vcc, v3, v17, vcc
	v_cmp_le_u32_e32 vcc, s49, v0
	s_waitcnt vmcnt(1)
	v_fma_mixlo_f16 v16, v8, v14, 0 op_sel_hi:[0,1,0]
	v_fma_mixlo_f16 v14, v8, v14, 0 op_sel:[0,1,0] op_sel_hi:[0,1,0]
	v_fma_mixlo_f16 v17, v8, v15, 0 op_sel_hi:[0,1,0]
	v_fma_mixlo_f16 v15, v8, v15, 0 op_sel:[0,1,0] op_sel_hi:[0,1,0]
	s_waitcnt vmcnt(0)
	v_mul_f16_e32 v16, v4, v16
	v_mul_f16_sdwa v4, v4, v14 dst_sel:DWORD dst_unused:UNUSED_PAD src0_sel:WORD_1 src1_sel:DWORD
	v_mul_f16_e32 v14, v5, v17
	v_mul_f16_sdwa v5, v5, v15 dst_sel:DWORD dst_unused:UNUSED_PAD src0_sel:WORD_1 src1_sel:DWORD
	v_cvt_f32_f16_e32 v15, v16
	v_cvt_f32_f16_e32 v4, v4
	v_cvt_f32_f16_e32 v14, v14
	v_cvt_f32_f16_e32 v5, v5
	v_mul_f32_e32 v15, v6, v15
	v_mul_f32_e32 v4, v6, v4
	v_rndne_f32_e32 v15, v15
	v_mul_f32_e32 v14, v6, v14
	v_rndne_f32_e32 v4, v4
	v_cmp_nlt_f32_e64 s[0:1], s16, v15
	v_mul_f32_e32 v5, v6, v5
	v_rndne_f32_e32 v14, v14
	v_cndmask_b32_e64 v16, v10, v15, s[0:1]
	v_cmp_nlt_f32_e64 s[0:1], s16, v4
	v_rndne_f32_e32 v5, v5
	v_cndmask_b32_e64 v17, v10, v4, s[0:1]
	v_cmp_nlt_f32_e64 s[0:1], s16, v14
	v_cndmask_b32_e64 v18, v10, v14, s[0:1]
	v_cmp_nlt_f32_e64 s[0:1], s16, v5
	v_cndmask_b32_e64 v19, v10, v5, s[0:1]
	v_cmp_ngt_f32_e64 s[0:1], s17, v15
	v_cndmask_b32_e64 v15, v11, v16, s[0:1]
	v_cmp_ngt_f32_e64 s[0:1], s17, v4
	;; [unrolled: 2-line block ×4, first 2 shown]
	v_cvt_i32_f32_e32 v14, v14
	v_cndmask_b32_e64 v5, v11, v19, s[0:1]
	v_cvt_i32_f32_e32 v4, v4
	v_cvt_i32_f32_e32 v15, v15
	;; [unrolled: 1-line block ×3, first 2 shown]
	v_and_b32_e32 v14, 0xff, v14
	v_lshlrev_b32_e32 v14, 16, v14
	v_lshlrev_b32_sdwa v4, v13, v4 dst_sel:DWORD dst_unused:UNUSED_PAD src0_sel:DWORD src1_sel:BYTE_0
	v_and_b32_e32 v15, 0xff, v15
	v_lshl_or_b32 v5, v5, 24, v14
	v_or3_b32 v4, v5, v4, v15
	s_orn2_b64 s[0:1], vcc, exec
	global_store_dword v[2:3], v4, off
	s_branch .LBB11_68
.LBB11_75:
	s_endpgm
	.section	.rodata,"a",@progbits
	.p2align	6, 0x0
	.amdhsa_kernel _ZN4vllm39rms_norm_dynamic_per_token_quant_kernelIN3c104HalfEaLb0EEEvPT0_PfPKT_S8_PKffiiPS6_
		.amdhsa_group_segment_fixed_size 272
		.amdhsa_private_segment_fixed_size 0
		.amdhsa_kernarg_size 320
		.amdhsa_user_sgpr_count 6
		.amdhsa_user_sgpr_private_segment_buffer 1
		.amdhsa_user_sgpr_dispatch_ptr 0
		.amdhsa_user_sgpr_queue_ptr 0
		.amdhsa_user_sgpr_kernarg_segment_ptr 1
		.amdhsa_user_sgpr_dispatch_id 0
		.amdhsa_user_sgpr_flat_scratch_init 0
		.amdhsa_user_sgpr_kernarg_preload_length 0
		.amdhsa_user_sgpr_kernarg_preload_offset 0
		.amdhsa_user_sgpr_private_segment_size 0
		.amdhsa_uses_dynamic_stack 0
		.amdhsa_system_sgpr_private_segment_wavefront_offset 0
		.amdhsa_system_sgpr_workgroup_id_x 1
		.amdhsa_system_sgpr_workgroup_id_y 0
		.amdhsa_system_sgpr_workgroup_id_z 0
		.amdhsa_system_sgpr_workgroup_info 0
		.amdhsa_system_vgpr_workitem_id 0
		.amdhsa_next_free_vgpr 29
		.amdhsa_next_free_sgpr 53
		.amdhsa_accum_offset 32
		.amdhsa_reserve_vcc 1
		.amdhsa_reserve_flat_scratch 0
		.amdhsa_float_round_mode_32 0
		.amdhsa_float_round_mode_16_64 0
		.amdhsa_float_denorm_mode_32 3
		.amdhsa_float_denorm_mode_16_64 3
		.amdhsa_dx10_clamp 1
		.amdhsa_ieee_mode 1
		.amdhsa_fp16_overflow 0
		.amdhsa_tg_split 0
		.amdhsa_exception_fp_ieee_invalid_op 0
		.amdhsa_exception_fp_denorm_src 0
		.amdhsa_exception_fp_ieee_div_zero 0
		.amdhsa_exception_fp_ieee_overflow 0
		.amdhsa_exception_fp_ieee_underflow 0
		.amdhsa_exception_fp_ieee_inexact 0
		.amdhsa_exception_int_div_zero 0
	.end_amdhsa_kernel
	.section	.text._ZN4vllm39rms_norm_dynamic_per_token_quant_kernelIN3c104HalfEaLb0EEEvPT0_PfPKT_S8_PKffiiPS6_,"axG",@progbits,_ZN4vllm39rms_norm_dynamic_per_token_quant_kernelIN3c104HalfEaLb0EEEvPT0_PfPKT_S8_PKffiiPS6_,comdat
.Lfunc_end11:
	.size	_ZN4vllm39rms_norm_dynamic_per_token_quant_kernelIN3c104HalfEaLb0EEEvPT0_PfPKT_S8_PKffiiPS6_, .Lfunc_end11-_ZN4vllm39rms_norm_dynamic_per_token_quant_kernelIN3c104HalfEaLb0EEEvPT0_PfPKT_S8_PKffiiPS6_
                                        ; -- End function
	.section	.AMDGPU.csdata,"",@progbits
; Kernel info:
; codeLenInByte = 7352
; NumSgprs: 57
; NumVgprs: 29
; NumAgprs: 0
; TotalNumVgprs: 29
; ScratchSize: 0
; MemoryBound: 0
; FloatMode: 240
; IeeeMode: 1
; LDSByteSize: 272 bytes/workgroup (compile time only)
; SGPRBlocks: 7
; VGPRBlocks: 3
; NumSGPRsForWavesPerEU: 57
; NumVGPRsForWavesPerEU: 29
; AccumOffset: 32
; Occupancy: 8
; WaveLimiterHint : 0
; COMPUTE_PGM_RSRC2:SCRATCH_EN: 0
; COMPUTE_PGM_RSRC2:USER_SGPR: 6
; COMPUTE_PGM_RSRC2:TRAP_HANDLER: 0
; COMPUTE_PGM_RSRC2:TGID_X_EN: 1
; COMPUTE_PGM_RSRC2:TGID_Y_EN: 0
; COMPUTE_PGM_RSRC2:TGID_Z_EN: 0
; COMPUTE_PGM_RSRC2:TIDIG_COMP_CNT: 0
; COMPUTE_PGM_RSRC3_GFX90A:ACCUM_OFFSET: 7
; COMPUTE_PGM_RSRC3_GFX90A:TG_SPLIT: 0
	.section	.text._ZN4vllm39rms_norm_dynamic_per_token_quant_kernelIN3c108BFloat16ENS1_13Float8_e4m3fnELb1EEEvPT0_PfPKT_S9_PKffiiPS7_,"axG",@progbits,_ZN4vllm39rms_norm_dynamic_per_token_quant_kernelIN3c108BFloat16ENS1_13Float8_e4m3fnELb1EEEvPT0_PfPKT_S9_PKffiiPS7_,comdat
	.protected	_ZN4vllm39rms_norm_dynamic_per_token_quant_kernelIN3c108BFloat16ENS1_13Float8_e4m3fnELb1EEEvPT0_PfPKT_S9_PKffiiPS7_ ; -- Begin function _ZN4vllm39rms_norm_dynamic_per_token_quant_kernelIN3c108BFloat16ENS1_13Float8_e4m3fnELb1EEEvPT0_PfPKT_S9_PKffiiPS7_
	.globl	_ZN4vllm39rms_norm_dynamic_per_token_quant_kernelIN3c108BFloat16ENS1_13Float8_e4m3fnELb1EEEvPT0_PfPKT_S9_PKffiiPS7_
	.p2align	8
	.type	_ZN4vllm39rms_norm_dynamic_per_token_quant_kernelIN3c108BFloat16ENS1_13Float8_e4m3fnELb1EEEvPT0_PfPKT_S9_PKffiiPS7_,@function
_ZN4vllm39rms_norm_dynamic_per_token_quant_kernelIN3c108BFloat16ENS1_13Float8_e4m3fnELb1EEEvPT0_PfPKT_S9_PKffiiPS7_: ; @_ZN4vllm39rms_norm_dynamic_per_token_quant_kernelIN3c108BFloat16ENS1_13Float8_e4m3fnELb1EEEvPT0_PfPKT_S9_PKffiiPS7_
; %bb.0:
	s_load_dwordx4 s[36:39], s[4:5], 0x28
	s_load_dwordx2 s[34:35], s[4:5], 0x20
	s_load_dwordx8 s[24:31], s[4:5], 0x0
	s_load_dwordx2 s[22:23], s[4:5], 0x38
	s_waitcnt lgkmcnt(0)
	s_or_b32 s0, s38, s37
	s_and_b32 s0, s0, 3
	s_cmp_lg_u32 s0, 0
	s_cbranch_scc0 .LBB12_37
; %bb.1:
	v_cmp_gt_u32_e64 s[0:1], s37, v0
	v_cmp_le_u32_e64 s[2:3], s37, v0
                                        ; implicit-def: $sgpr7
                                        ; implicit-def: $sgpr10_sgpr11
	s_and_saveexec_b64 s[8:9], s[2:3]
	s_xor_b64 s[8:9], exec, s[8:9]
; %bb.2:
	s_add_u32 s10, s4, 64
	s_addc_u32 s11, s5, 0
	s_mov_b32 s7, 0
; %bb.3:
	s_or_saveexec_b64 s[8:9], s[8:9]
	v_mov_b32_e32 v6, s7
	v_pk_mov_b32 v[2:3], s[10:11], s[10:11] op_sel:[0,1]
	v_mov_b32_e32 v1, s6
	s_xor_b64 exec, exec, s[8:9]
	s_cbranch_execz .LBB12_7
; %bb.4:
	s_ashr_i32 s7, s37, 31
	s_mul_hi_u32 s10, s37, s6
	s_mul_i32 s7, s7, s6
	s_add_i32 s11, s10, s7
	s_ashr_i32 s7, s38, 31
	s_mul_hi_u32 s12, s38, s6
	s_mul_i32 s7, s7, s6
	s_add_i32 s13, s12, s7
	s_mul_i32 s12, s38, s6
	s_lshl_b64 s[12:13], s[12:13], 1
	s_mul_i32 s10, s37, s6
	s_add_u32 s7, s28, s12
	s_load_dword s12, s[4:5], 0x4c
	s_addc_u32 s16, s29, s13
	s_lshl_b64 s[10:11], s[10:11], 1
	s_add_u32 s14, s22, s10
	s_addc_u32 s17, s23, s11
	s_add_u32 s10, s4, 64
	s_addc_u32 s11, s5, 0
	s_waitcnt lgkmcnt(0)
	s_and_b32 s15, s12, 0xffff
	s_mov_b64 s[12:13], 0
	v_mov_b32_e32 v3, 0
	v_mov_b32_e32 v1, s16
	v_mov_b32_e32 v4, s17
	v_mov_b32_e32 v6, 0
	v_mov_b32_e32 v2, v0
.LBB12_5:                               ; =>This Inner Loop Header: Depth=1
	v_lshlrev_b64 v[8:9], 1, v[2:3]
	v_add_co_u32_e32 v10, vcc, s7, v8
	v_addc_co_u32_e32 v11, vcc, v1, v9, vcc
	v_add_co_u32_e32 v8, vcc, s14, v8
	v_addc_co_u32_e32 v9, vcc, v4, v9, vcc
	global_load_ushort v5, v[10:11], off
	global_load_ushort v7, v[8:9], off
	v_add_u32_e32 v2, s15, v2
	v_cmp_le_u32_e32 vcc, s37, v2
	s_or_b64 s[12:13], vcc, s[12:13]
	s_waitcnt vmcnt(1)
	v_lshlrev_b32_e32 v5, 16, v5
	s_waitcnt vmcnt(0)
	v_lshlrev_b32_e32 v7, 16, v7
	v_add_f32_e32 v5, v7, v5
	v_fmac_f32_e32 v6, v5, v5
	s_andn2_b64 exec, exec, s[12:13]
	s_cbranch_execnz .LBB12_5
; %bb.6:
	s_or_b64 exec, exec, s[12:13]
	v_pk_mov_b32 v[2:3], s[10:11], s[10:11] op_sel:[0,1]
	v_mov_b32_e32 v1, s6
.LBB12_7:
	s_or_b64 exec, exec, s[8:9]
	global_load_dword v4, v[2:3], off
	v_and_b32_e32 v5, 0x3c0, v0
	s_waitcnt vmcnt(0)
	v_cmp_lt_u32_e32 vcc, v1, v4
	v_cndmask_b32_e64 v1, 18, 12, vcc
	v_add_co_u32_e32 v2, vcc, v2, v1
	v_addc_co_u32_e32 v3, vcc, 0, v3, vcc
	global_load_ushort v1, v[2:3], off
	v_mbcnt_lo_u32_b32 v2, -1, 0
	v_mbcnt_hi_u32_b32 v4, -1, v2
	v_and_b32_e32 v2, 63, v4
	v_cmp_ne_u32_e32 vcc, 63, v2
	v_addc_co_u32_e32 v3, vcc, 0, v4, vcc
	v_lshlrev_b32_e32 v14, 2, v3
	ds_bpermute_b32 v3, v14, v6
	v_cmp_gt_u32_e32 vcc, 62, v2
	v_cndmask_b32_e64 v12, 0, 1, vcc
	v_lshlrev_b32_e32 v12, 1, v12
	v_add_u32_e32 v7, 1, v4
	v_add_lshl_u32 v13, v12, v4, 2
	s_waitcnt lgkmcnt(0)
	v_add_f32_e32 v3, v6, v3
	v_add_u32_e32 v8, 2, v4
	v_add_u32_e32 v10, 4, v4
	;; [unrolled: 1-line block ×5, first 2 shown]
	v_cmp_eq_u32_e64 s[8:9], 0, v4
	s_waitcnt vmcnt(0)
	v_sub_u32_e64 v12, v1, v5 clamp
	v_cmp_lt_u32_e32 vcc, v7, v12
	v_cndmask_b32_e32 v3, v6, v3, vcc
	ds_bpermute_b32 v6, v13, v3
	v_cmp_gt_u32_e32 vcc, 60, v2
	v_cndmask_b32_e64 v15, 0, 1, vcc
	v_lshlrev_b32_e32 v15, 2, v15
	v_cmp_lt_u32_e32 vcc, v8, v12
	s_waitcnt lgkmcnt(0)
	v_add_f32_e32 v6, v3, v6
	v_add_lshl_u32 v15, v15, v4, 2
	v_cndmask_b32_e32 v3, v3, v6, vcc
	ds_bpermute_b32 v6, v15, v3
	v_cmp_gt_u32_e32 vcc, 56, v2
	v_cndmask_b32_e64 v16, 0, 1, vcc
	v_lshlrev_b32_e32 v16, 3, v16
	v_cmp_lt_u32_e32 vcc, v10, v12
	s_waitcnt lgkmcnt(0)
	v_add_f32_e32 v6, v3, v6
	v_add_lshl_u32 v16, v16, v4, 2
	;; [unrolled: 9-line block ×3, first 2 shown]
	v_cndmask_b32_e32 v3, v3, v6, vcc
	ds_bpermute_b32 v6, v18, v3
	v_cmp_gt_u32_e32 vcc, 32, v2
	v_cndmask_b32_e64 v2, 0, 1, vcc
	v_lshlrev_b32_e32 v2, 5, v2
	v_add_lshl_u32 v17, v2, v4, 2
	s_waitcnt lgkmcnt(0)
	v_add_f32_e32 v2, v3, v6
	v_cmp_lt_u32_e32 vcc, v9, v12
	v_cndmask_b32_e32 v2, v3, v2, vcc
	ds_bpermute_b32 v3, v17, v2
	v_cmp_lt_u32_e32 vcc, v19, v12
	s_waitcnt lgkmcnt(0)
	v_add_f32_e32 v3, v2, v3
	v_cndmask_b32_e32 v2, v2, v3, vcc
	s_and_saveexec_b64 s[10:11], s[8:9]
	s_cbranch_execz .LBB12_9
; %bb.8:
	v_lshrrev_b32_e32 v3, 4, v0
	v_and_b32_e32 v3, 60, v3
	ds_write_b32 v3, v2 offset:128
.LBB12_9:
	s_or_b64 exec, exec, s[10:11]
	v_cmp_gt_u32_e64 s[10:11], 16, v0
	v_lshlrev_b32_e32 v12, 2, v4
	v_and_b32_e32 v6, 15, v4
	s_waitcnt lgkmcnt(0)
	s_barrier
	s_and_saveexec_b64 s[14:15], s[10:11]
	s_cbranch_execz .LBB12_11
; %bb.10:
	ds_read_b32 v2, v12 offset:128
	v_cmp_ne_u32_e32 vcc, 15, v6
	v_addc_co_u32_e32 v3, vcc, 0, v4, vcc
	v_lshlrev_b32_e32 v3, 2, v3
	s_waitcnt lgkmcnt(0)
	ds_bpermute_b32 v3, v3, v2
	v_add_u32_e32 v1, 63, v1
	v_add_u32_e32 v20, 1, v6
	v_lshrrev_b32_e32 v1, 6, v1
	v_cmp_gt_u32_e64 s[12:13], 14, v6
	v_cmp_lt_u32_e32 vcc, v20, v1
	v_cndmask_b32_e64 v20, 0, 1, s[12:13]
	s_waitcnt lgkmcnt(0)
	v_add_f32_e32 v3, v2, v3
	v_lshlrev_b32_e32 v20, 1, v20
	v_cndmask_b32_e32 v3, v2, v3, vcc
	v_add_lshl_u32 v20, v20, v4, 2
	ds_bpermute_b32 v20, v20, v3
	v_add_u32_e32 v21, 2, v6
	v_cmp_lt_u32_e64 s[12:13], v21, v1
	v_add_u32_e32 v21, 4, v6
	s_waitcnt lgkmcnt(0)
	v_add_f32_e32 v20, v3, v20
	v_cndmask_b32_e64 v3, v3, v20, s[12:13]
	v_cmp_gt_u32_e64 s[12:13], 12, v6
	v_cndmask_b32_e64 v20, 0, 1, s[12:13]
	v_lshlrev_b32_e32 v20, 2, v20
	v_add_lshl_u32 v20, v20, v4, 2
	ds_bpermute_b32 v20, v20, v3
	v_cmp_lt_u32_e64 s[12:13], v21, v1
	v_add_u32_e32 v21, 8, v6
	s_waitcnt lgkmcnt(0)
	v_add_f32_e32 v20, v3, v20
	v_cndmask_b32_e64 v3, v3, v20, s[12:13]
	v_cmp_gt_u32_e64 s[12:13], 8, v6
	v_cndmask_b32_e64 v20, 0, 1, s[12:13]
	v_lshlrev_b32_e32 v20, 3, v20
	v_add_lshl_u32 v20, v20, v4, 2
	ds_bpermute_b32 v20, v20, v3
	v_cmp_lt_u32_e64 s[12:13], v21, v1
	s_waitcnt lgkmcnt(0)
	v_add_f32_e32 v20, v3, v20
	v_cndmask_b32_e64 v1, v3, v20, s[12:13]
	v_cndmask_b32_e32 v2, v2, v1, vcc
.LBB12_11:
	s_or_b64 exec, exec, s[14:15]
	s_mov_b32 s7, 0
	v_cmp_eq_u32_e64 s[12:13], 0, v0
	s_and_saveexec_b64 s[14:15], s[12:13]
	s_cbranch_execz .LBB12_13
; %bb.12:
	v_cvt_f32_i32_e32 v1, s37
	v_div_scale_f32 v3, s[16:17], v1, v1, v2
	v_rcp_f32_e32 v20, v3
	v_div_scale_f32 v21, vcc, v2, v1, v2
	s_mov_b32 s16, 0x800000
	v_fma_f32 v22, -v3, v20, 1.0
	v_fmac_f32_e32 v20, v22, v20
	v_mul_f32_e32 v22, v21, v20
	v_fma_f32 v23, -v3, v22, v21
	v_fmac_f32_e32 v22, v23, v20
	v_fma_f32 v3, -v3, v22, v21
	v_div_fmas_f32 v3, v3, v20, v22
	v_div_fixup_f32 v1, v3, v1, v2
	v_add_f32_e32 v1, s36, v1
	v_mul_f32_e32 v2, 0x4b800000, v1
	v_cmp_gt_f32_e32 vcc, s16, v1
	v_cndmask_b32_e32 v1, v1, v2, vcc
	v_rsq_f32_e32 v1, v1
	v_mul_f32_e32 v2, 0x45800000, v1
	v_cndmask_b32_e32 v1, v1, v2, vcc
	v_mov_b32_e32 v2, 0
	ds_write_b32 v2, v1 offset:264
.LBB12_13:
	s_or_b64 exec, exec, s[14:15]
	v_mov_b32_e32 v1, 0
	s_waitcnt lgkmcnt(0)
	s_barrier
	ds_read_b32 v1, v1 offset:264
	s_waitcnt lgkmcnt(0)
	s_barrier
	s_waitcnt lgkmcnt(0)
                                        ; implicit-def: $sgpr16
                                        ; implicit-def: $sgpr14_sgpr15
	s_and_saveexec_b64 s[18:19], s[2:3]
	s_xor_b64 s[2:3], exec, s[18:19]
; %bb.14:
	s_add_u32 s14, s4, 64
	s_addc_u32 s15, s5, 0
	s_mov_b32 s16, 0
; %bb.15:
	s_or_saveexec_b64 s[2:3], s[2:3]
	v_mov_b32_e32 v20, s16
	v_pk_mov_b32 v[2:3], s[14:15], s[14:15] op_sel:[0,1]
	s_mul_hi_u32 s39, s37, s6
	s_mul_i32 s40, s37, s6
	s_mul_hi_u32 s33, s38, s6
	s_mul_i32 s42, s38, s6
	s_xor_b64 exec, exec, s[2:3]
	s_cbranch_execz .LBB12_19
; %bb.16:
	s_ashr_i32 s14, s37, 31
	s_mul_i32 s14, s14, s6
	s_add_i32 s41, s39, s14
	s_ashr_i32 s14, s38, 31
	s_mul_i32 s14, s14, s6
	s_add_i32 s43, s33, s14
	s_lshl_b64 s[14:15], s[42:43], 1
	s_add_u32 s18, s28, s14
	s_load_dword s16, s[4:5], 0x4c
	s_addc_u32 s21, s29, s15
	s_lshl_b64 s[14:15], s[40:41], 1
	s_add_u32 s19, s22, s14
	s_addc_u32 s41, s23, s15
	s_add_u32 s14, s4, 64
	s_addc_u32 s15, s5, 0
	s_waitcnt lgkmcnt(0)
	s_and_b32 s20, s16, 0xffff
	s_mov_b64 s[16:17], 0
	v_mov_b32_e32 v3, 0
	v_mov_b32_e32 v21, s21
	;; [unrolled: 1-line block ×3, first 2 shown]
	s_movk_i32 s21, 0x7fff
	v_mov_b32_e32 v23, s31
	v_mov_b32_e32 v24, 0x7fc00000
	;; [unrolled: 1-line block ×4, first 2 shown]
.LBB12_17:                              ; =>This Inner Loop Header: Depth=1
	v_lshlrev_b64 v[26:27], 1, v[2:3]
	v_add_co_u32_e32 v28, vcc, s18, v26
	v_addc_co_u32_e32 v29, vcc, v21, v27, vcc
	v_add_co_u32_e32 v30, vcc, s19, v26
	v_addc_co_u32_e32 v31, vcc, v22, v27, vcc
	;; [unrolled: 2-line block ×3, first 2 shown]
	global_load_ushort v25, v[28:29], off
	global_load_ushort v32, v[30:31], off
	;; [unrolled: 1-line block ×3, first 2 shown]
	v_add_u32_e32 v2, s20, v2
	v_cmp_le_u32_e32 vcc, s37, v2
	s_or_b64 s[16:17], vcc, s[16:17]
	v_max_f32_e32 v20, v20, v20
	s_waitcnt vmcnt(2)
	v_lshlrev_b32_e32 v25, 16, v25
	s_waitcnt vmcnt(1)
	v_lshlrev_b32_e32 v26, 16, v32
	v_add_f32_e32 v25, v26, v25
	v_mul_f32_e32 v25, v1, v25
	v_bfe_u32 v26, v25, 16, 1
	v_add3_u32 v26, v25, v26, s21
	v_and_b32_e32 v26, 0xffff0000, v26
	v_cmp_o_f32_e32 vcc, v25, v25
	s_waitcnt vmcnt(0)
	v_lshlrev_b32_e32 v27, 16, v33
	v_cndmask_b32_e32 v25, v24, v26, vcc
	v_mul_f32_e32 v25, v25, v27
	v_bfe_u32 v26, v25, 16, 1
	v_add3_u32 v26, v25, v26, s21
	v_and_b32_e32 v26, 0xffff0000, v26
	v_cmp_o_f32_e32 vcc, v25, v25
	v_cndmask_b32_e64 v25, v24, |v26|, vcc
	v_max_f32_e32 v25, v25, v25
	v_max_f32_e32 v20, v20, v25
	s_andn2_b64 exec, exec, s[16:17]
	s_cbranch_execnz .LBB12_17
; %bb.18:
	s_or_b64 exec, exec, s[16:17]
	v_pk_mov_b32 v[2:3], s[14:15], s[14:15] op_sel:[0,1]
.LBB12_19:
	s_or_b64 exec, exec, s[2:3]
	global_load_dword v21, v[2:3], off
	s_waitcnt vmcnt(0)
	v_cmp_lt_u32_e32 vcc, s6, v21
	v_cndmask_b32_e64 v21, 18, 12, vcc
	v_add_co_u32_e32 v2, vcc, v2, v21
	v_addc_co_u32_e32 v3, vcc, 0, v3, vcc
	global_load_ushort v2, v[2:3], off
	ds_bpermute_b32 v3, v14, v20
	s_waitcnt lgkmcnt(0)
	v_cmp_lt_f32_e32 vcc, v20, v3
	v_cndmask_b32_e32 v3, v20, v3, vcc
	s_waitcnt vmcnt(0)
	v_sub_u32_e64 v5, v2, v5 clamp
	v_cmp_lt_u32_e32 vcc, v7, v5
	v_cndmask_b32_e32 v3, v20, v3, vcc
	ds_bpermute_b32 v7, v13, v3
	v_cmp_lt_u32_e64 s[18:19], v19, v5
	s_waitcnt lgkmcnt(0)
	v_cmp_lt_f32_e64 s[2:3], v3, v7
	v_cndmask_b32_e64 v7, v3, v7, s[2:3]
	v_cmp_lt_u32_e64 s[2:3], v8, v5
	v_cndmask_b32_e64 v3, v3, v7, s[2:3]
	ds_bpermute_b32 v7, v15, v3
	s_or_b64 s[2:3], vcc, s[2:3]
	s_waitcnt lgkmcnt(0)
	v_cmp_lt_f32_e64 s[14:15], v3, v7
	v_cndmask_b32_e64 v7, v3, v7, s[14:15]
	v_cmp_lt_u32_e64 s[14:15], v10, v5
	v_cndmask_b32_e64 v3, v3, v7, s[14:15]
	ds_bpermute_b32 v7, v16, v3
	s_or_b64 s[2:3], s[14:15], s[2:3]
	s_waitcnt lgkmcnt(0)
	v_cmp_lt_f32_e64 s[16:17], v3, v7
	v_cndmask_b32_e64 v7, v3, v7, s[16:17]
	v_cmp_lt_u32_e64 s[16:17], v11, v5
	v_cndmask_b32_e64 v3, v3, v7, s[16:17]
	ds_bpermute_b32 v7, v18, v3
	s_or_b64 s[2:3], s[16:17], s[2:3]
	;; [unrolled: 7-line block ×3, first 2 shown]
	s_waitcnt lgkmcnt(0)
	v_cmp_lt_f32_e32 vcc, v3, v5
	s_and_b64 vcc, s[18:19], vcc
	v_cndmask_b32_e32 v3, v3, v5, vcc
	s_or_b64 vcc, s[18:19], s[2:3]
	v_cndmask_b32_e32 v3, v20, v3, vcc
	s_and_saveexec_b64 s[2:3], s[8:9]
	s_cbranch_execz .LBB12_21
; %bb.20:
	v_lshrrev_b32_e32 v5, 4, v0
	v_and_b32_e32 v5, 60, v5
	ds_write_b32 v5, v3 offset:192
.LBB12_21:
	s_or_b64 exec, exec, s[2:3]
	s_waitcnt lgkmcnt(0)
	s_barrier
	s_and_saveexec_b64 s[14:15], s[10:11]
	s_cbranch_execz .LBB12_23
; %bb.22:
	ds_read_b32 v3, v12 offset:192
	v_cmp_ne_u32_e32 vcc, 15, v6
	v_addc_co_u32_e32 v5, vcc, 0, v4, vcc
	v_lshlrev_b32_e32 v5, 2, v5
	s_waitcnt lgkmcnt(0)
	ds_bpermute_b32 v5, v5, v3
	v_add_u32_e32 v2, 63, v2
	v_add_u32_e32 v7, 1, v6
	v_lshrrev_b32_e32 v2, 6, v2
	v_cmp_gt_u32_e64 s[2:3], 14, v6
	s_waitcnt lgkmcnt(0)
	v_cmp_lt_f32_e32 vcc, v3, v5
	v_cndmask_b32_e32 v5, v3, v5, vcc
	v_cmp_lt_u32_e32 vcc, v7, v2
	v_cndmask_b32_e64 v7, 0, 1, s[2:3]
	v_lshlrev_b32_e32 v7, 1, v7
	v_cndmask_b32_e32 v5, v3, v5, vcc
	v_add_lshl_u32 v7, v7, v4, 2
	ds_bpermute_b32 v7, v7, v5
	v_add_u32_e32 v8, 2, v6
	s_waitcnt lgkmcnt(0)
	v_cmp_lt_f32_e64 s[2:3], v5, v7
	v_cndmask_b32_e64 v7, v5, v7, s[2:3]
	v_cmp_lt_u32_e64 s[2:3], v8, v2
	v_cndmask_b32_e64 v5, v5, v7, s[2:3]
	v_cmp_gt_u32_e64 s[2:3], 12, v6
	v_cndmask_b32_e64 v7, 0, 1, s[2:3]
	v_lshlrev_b32_e32 v7, 2, v7
	v_add_lshl_u32 v7, v7, v4, 2
	ds_bpermute_b32 v7, v7, v5
	v_add_u32_e32 v8, 4, v6
	s_waitcnt lgkmcnt(0)
	v_cmp_lt_f32_e64 s[2:3], v5, v7
	v_cndmask_b32_e64 v7, v5, v7, s[2:3]
	v_cmp_lt_u32_e64 s[2:3], v8, v2
	v_cndmask_b32_e64 v5, v5, v7, s[2:3]
	v_cmp_gt_u32_e64 s[2:3], 8, v6
	v_cndmask_b32_e64 v7, 0, 1, s[2:3]
	v_lshlrev_b32_e32 v7, 3, v7
	v_add_lshl_u32 v4, v7, v4, 2
	ds_bpermute_b32 v4, v4, v5
	v_add_u32_e32 v6, 8, v6
	v_cmp_lt_u32_e64 s[2:3], v6, v2
	s_waitcnt lgkmcnt(0)
	v_cmp_lt_f32_e64 s[8:9], v5, v4
	s_and_b64 s[2:3], s[2:3], s[8:9]
	v_cndmask_b32_e64 v2, v5, v4, s[2:3]
	v_cndmask_b32_e32 v3, v3, v2, vcc
.LBB12_23:
	s_or_b64 exec, exec, s[14:15]
	s_and_saveexec_b64 s[2:3], s[12:13]
	s_cbranch_execz .LBB12_27
; %bb.24:
	s_cmp_eq_u64 s[34:35], 0
	s_cbranch_scc1 .LBB12_26
; %bb.25:
	s_load_dword s8, s[34:35], 0x0
	v_max_f32_e32 v2, v3, v3
	s_waitcnt lgkmcnt(0)
	v_max_f32_e64 v3, s8, s8
	v_min_f32_e32 v3, v2, v3
.LBB12_26:
	s_mov_b32 s10, 0x43e00000
	v_div_scale_f32 v2, s[8:9], s10, s10, v3
	v_rcp_f32_e32 v4, v2
	v_div_scale_f32 v5, vcc, v3, s10, v3
	s_lshl_b64 s[8:9], s[6:7], 2
	v_fma_f32 v6, -v2, v4, 1.0
	v_fmac_f32_e32 v4, v6, v4
	v_mul_f32_e32 v6, v5, v4
	v_fma_f32 v7, -v2, v6, v5
	v_fmac_f32_e32 v6, v7, v4
	v_fma_f32 v2, -v2, v6, v5
	v_div_fmas_f32 v2, v2, v4, v6
	v_div_fixup_f32 v2, v2, s10, v3
	s_add_u32 s8, s26, s8
	v_max_f32_e32 v2, 0x36924925, v2
	v_mov_b32_e32 v3, 0
	s_addc_u32 s9, s27, s9
	ds_write_b32 v3, v2 offset:268
	global_store_dword v3, v2, s[8:9]
.LBB12_27:
	s_or_b64 exec, exec, s[2:3]
	s_waitcnt lgkmcnt(0)
	s_barrier
	s_and_saveexec_b64 s[2:3], s[0:1]
	s_cbranch_execz .LBB12_36
; %bb.28:
	s_ashr_i32 s0, s37, 31
	s_mul_i32 s0, s0, s6
	s_add_i32 s8, s39, s0
	s_ashr_i32 s0, s38, 31
	v_mov_b32_e32 v3, 0
	s_mul_i32 s0, s0, s6
	s_load_dword s9, s[4:5], 0x4c
	ds_read_b32 v6, v3 offset:268
	s_add_i32 s43, s33, s0
	s_lshl_b64 s[0:1], s[42:43], 1
	s_add_u32 s7, s28, s0
	s_addc_u32 s10, s29, s1
	s_waitcnt lgkmcnt(0)
	s_and_b32 s12, s9, 0xffff
	s_mov_b64 s[0:1], 0
	v_mov_b32_e32 v7, s10
	v_mov_b32_e32 v8, s8
	;; [unrolled: 1-line block ×3, first 2 shown]
	s_movk_i32 s13, 0x7fff
	v_mov_b32_e32 v10, 0x7fc0
	v_mov_b32_e32 v11, s31
	;; [unrolled: 1-line block ×3, first 2 shown]
	s_mov_b32 s14, 0x43f00000
	s_mov_b32 s15, 0x3c7fffff
	;; [unrolled: 1-line block ×4, first 2 shown]
	s_movk_i32 s18, 0x80
	v_mov_b32_e32 v13, s25
	v_mov_b32_e32 v2, v0
	s_branch .LBB12_31
.LBB12_29:                              ;   in Loop: Header=BB12_31 Depth=1
	s_or_b64 exec, exec, s[10:11]
.LBB12_30:                              ;   in Loop: Header=BB12_31 Depth=1
	s_or_b64 exec, exec, s[8:9]
	v_add_co_u32_e32 v4, vcc, s24, v4
	v_addc_co_u32_e32 v5, vcc, v13, v5, vcc
	v_add_u32_e32 v2, s12, v2
	v_lshrrev_b32_e32 v14, 24, v14
	v_cmp_le_u32_e32 vcc, s37, v2
	v_and_or_b32 v14, v14, s18, v15
	s_or_b64 s[0:1], vcc, s[0:1]
	global_store_byte v[4:5], v14, off
	s_andn2_b64 exec, exec, s[0:1]
	s_cbranch_execz .LBB12_36
.LBB12_31:                              ; =>This Inner Loop Header: Depth=1
	v_lshlrev_b64 v[14:15], 1, v[2:3]
	v_add_co_u32_e32 v16, vcc, s7, v14
	v_addc_co_u32_e32 v17, vcc, v7, v15, vcc
	v_add_co_u32_e32 v4, vcc, s40, v2
	v_addc_co_u32_e32 v5, vcc, 0, v8, vcc
	v_lshlrev_b64 v[18:19], 1, v[4:5]
	v_add_co_u32_e32 v18, vcc, s22, v18
	v_addc_co_u32_e32 v19, vcc, v9, v19, vcc
	v_add_co_u32_e32 v14, vcc, s30, v14
	v_addc_co_u32_e32 v15, vcc, v11, v15, vcc
	global_load_ushort v16, v[16:17], off
	s_nop 0
	global_load_ushort v17, v[14:15], off
	global_load_ushort v20, v[18:19], off
	s_waitcnt vmcnt(2)
	v_lshlrev_b32_e32 v14, 16, v16
	s_waitcnt vmcnt(0)
	v_lshlrev_b32_e32 v16, 16, v20
	v_add_f32_e32 v14, v16, v14
	v_lshlrev_b32_e32 v15, 16, v17
	v_bfe_u32 v16, v14, 16, 1
	v_mul_f32_e32 v17, v1, v14
	v_add3_u32 v16, v14, v16, s13
	v_bfe_u32 v20, v17, 16, 1
	v_lshrrev_b32_e32 v16, 16, v16
	v_add3_u32 v20, v17, v20, s13
	v_cmp_o_f32_e32 vcc, v14, v14
	v_cndmask_b32_e32 v14, v10, v16, vcc
	v_and_b32_e32 v16, 0xffff0000, v20
	v_cmp_o_f32_e32 vcc, v17, v17
	v_cndmask_b32_e32 v16, v12, v16, vcc
	v_mul_f32_e32 v15, v16, v15
	v_bfe_u32 v16, v15, 16, 1
	v_add3_u32 v16, v15, v16, s13
	v_and_b32_e32 v16, 0xffff0000, v16
	v_cmp_o_f32_e32 vcc, v15, v15
	v_cndmask_b32_e32 v15, v12, v16, vcc
	v_div_scale_f32 v16, s[8:9], v6, v6, v15
	v_rcp_f32_e32 v17, v16
	global_store_short v[18:19], v14, off
	v_div_scale_f32 v14, vcc, v15, v6, v15
	v_fma_f32 v18, -v16, v17, 1.0
	v_fmac_f32_e32 v17, v18, v17
	v_mul_f32_e32 v18, v14, v17
	v_fma_f32 v19, -v16, v18, v14
	v_fmac_f32_e32 v18, v19, v17
	v_fma_f32 v14, -v16, v18, v14
	v_div_fmas_f32 v14, v14, v17, v18
	v_div_fixup_f32 v14, v14, v6, v15
	v_min_f32_e32 v14, 0x43e00000, v14
	v_max_f32_e32 v14, 0xc3e00000, v14
	v_and_b32_e32 v16, 0x7fffffff, v14
	v_cmp_gt_u32_e32 vcc, s14, v16
	v_mov_b32_e32 v15, 0x7f
	s_and_saveexec_b64 s[8:9], vcc
	s_cbranch_execz .LBB12_30
; %bb.32:                               ;   in Loop: Header=BB12_31 Depth=1
	v_cmp_lt_u32_e32 vcc, s15, v16
                                        ; implicit-def: $vgpr15
	s_and_saveexec_b64 s[10:11], vcc
	s_xor_b64 s[10:11], exec, s[10:11]
; %bb.33:                               ;   in Loop: Header=BB12_31 Depth=1
	v_bfe_u32 v15, v14, 20, 1
	v_add3_u32 v15, v14, v15, s16
	v_lshrrev_b32_e32 v15, 20, v15
; %bb.34:                               ;   in Loop: Header=BB12_31 Depth=1
	s_andn2_saveexec_b64 s[10:11], s[10:11]
	s_cbranch_execz .LBB12_29
; %bb.35:                               ;   in Loop: Header=BB12_31 Depth=1
	v_add_f32_e64 v15, |v14|, s17
	s_branch .LBB12_29
.LBB12_36:
	s_or_b64 exec, exec, s[2:3]
	s_branch .LBB12_177
.LBB12_37:
	s_cbranch_execz .LBB12_177
; %bb.38:
	s_ashr_i32 s0, s38, 31
	s_mul_hi_u32 s1, s38, s6
	s_mul_i32 s0, s0, s6
	s_ashr_i32 s2, s37, 31
	s_add_i32 s1, s1, s0
	s_mul_i32 s0, s38, s6
	s_mul_hi_u32 s3, s37, s6
	s_mul_i32 s2, s2, s6
	s_add_i32 s39, s3, s2
	s_lshl_b64 s[0:1], s[0:1], 1
	s_mul_i32 s38, s37, s6
	s_add_u32 s33, s28, s0
	s_addc_u32 s48, s29, s1
	s_lshl_b64 s[0:1], s[38:39], 1
	s_load_dword s18, s[4:5], 0x40
	s_add_u32 s49, s22, s0
	s_addc_u32 s50, s23, s1
	s_ashr_i32 s51, s37, 2
	s_add_u32 s19, s4, 64
	s_mov_b32 s7, 0
	v_cmp_gt_u32_e64 s[0:1], s51, v0
	s_addc_u32 s20, s5, 0
	v_mov_b32_e32 v8, 0
	s_and_saveexec_b64 s[2:3], s[0:1]
	s_cbranch_execz .LBB12_48
; %bb.39:
	s_waitcnt lgkmcnt(0)
	s_cmp_lt_u32 s6, s18
	s_cselect_b32 s4, 12, 18
	s_add_u32 s4, s19, s4
	s_addc_u32 s5, s20, 0
	v_mov_b32_e32 v3, 0
	global_load_ushort v1, v3, s[4:5]
	s_mov_b64 s[4:5], 0
	v_mov_b32_e32 v9, s48
	v_mov_b32_e32 v10, s50
	v_mov_b32_e32 v2, v0
	v_mov_b32_e32 v8, v3
                                        ; implicit-def: $sgpr8_sgpr9
	s_waitcnt vmcnt(0)
	v_add_u32_e32 v4, v1, v1
	v_mul_lo_u32 v11, v1, 3
	v_lshlrev_b32_e32 v12, 1, v1
	v_add_u32_e32 v13, v4, v1
	s_branch .LBB12_43
.LBB12_40:                              ;   in Loop: Header=BB12_43 Depth=1
	s_or_b64 exec, exec, s[14:15]
	s_orn2_b64 s[14:15], s[16:17], exec
.LBB12_41:                              ;   in Loop: Header=BB12_43 Depth=1
	s_or_b64 exec, exec, s[12:13]
	s_andn2_b64 s[8:9], s[8:9], exec
	s_and_b64 s[12:13], s[14:15], exec
	s_or_b64 s[8:9], s[8:9], s[12:13]
.LBB12_42:                              ;   in Loop: Header=BB12_43 Depth=1
	s_or_b64 exec, exec, s[10:11]
	s_and_b64 s[10:11], exec, s[8:9]
	s_or_b64 s[4:5], s[10:11], s[4:5]
	s_andn2_b64 exec, exec, s[4:5]
	s_cbranch_execz .LBB12_47
.LBB12_43:                              ; =>This Inner Loop Header: Depth=1
	v_lshlrev_b64 v[4:5], 3, v[2:3]
	v_add_co_u32_e32 v6, vcc, s33, v4
	v_addc_co_u32_e32 v7, vcc, v9, v5, vcc
	v_add_co_u32_e32 v4, vcc, s49, v4
	v_addc_co_u32_e32 v5, vcc, v10, v5, vcc
	global_load_dwordx2 v[6:7], v[6:7], off
	s_or_b64 s[8:9], s[8:9], exec
	global_load_dwordx2 v[14:15], v[4:5], off
	v_add_u32_e32 v4, v2, v1
	v_cmp_gt_u32_e32 vcc, s51, v4
	s_waitcnt vmcnt(1)
	v_lshlrev_b32_e32 v16, 16, v6
	v_and_b32_e32 v5, 0xffff0000, v6
	s_waitcnt vmcnt(0)
	v_lshlrev_b32_e32 v18, 16, v14
	v_alignbit_b32 v6, v7, v6, 16
	v_and_b32_e32 v17, 0xffff0000, v14
	v_alignbit_b32 v14, v15, v14, 16
	v_add_f32_e32 v16, v16, v18
	v_and_b32_e32 v6, 0xffff0000, v6
	v_add_f32_e32 v5, v5, v17
	v_and_b32_e32 v14, 0xffff0000, v14
	v_fmac_f32_e32 v8, v16, v16
	v_and_b32_e32 v7, 0xffff0000, v7
	v_and_b32_e32 v15, 0xffff0000, v15
	v_add_f32_e32 v6, v6, v14
	v_fmac_f32_e32 v8, v5, v5
	v_add_f32_e32 v7, v7, v15
	v_fmac_f32_e32 v8, v6, v6
	v_fmac_f32_e32 v8, v7, v7
	s_and_saveexec_b64 s[10:11], vcc
	s_cbranch_execz .LBB12_42
; %bb.44:                               ;   in Loop: Header=BB12_43 Depth=1
	v_mov_b32_e32 v5, v3
	v_lshlrev_b64 v[6:7], 3, v[4:5]
	v_add_co_u32_e32 v14, vcc, s33, v6
	v_addc_co_u32_e32 v15, vcc, v9, v7, vcc
	v_add_co_u32_e32 v6, vcc, s49, v6
	v_addc_co_u32_e32 v7, vcc, v10, v7, vcc
	global_load_dwordx2 v[14:15], v[14:15], off
	s_mov_b64 s[14:15], -1
	global_load_dwordx2 v[16:17], v[6:7], off
	v_add_u32_e32 v6, v12, v2
	v_cmp_gt_u32_e32 vcc, s51, v6
	s_waitcnt vmcnt(1)
	v_lshlrev_b32_e32 v7, 16, v14
	v_and_b32_e32 v5, 0xffff0000, v14
	s_waitcnt vmcnt(0)
	v_lshlrev_b32_e32 v19, 16, v16
	v_alignbit_b32 v14, v15, v14, 16
	v_and_b32_e32 v18, 0xffff0000, v16
	v_alignbit_b32 v16, v17, v16, 16
	v_add_f32_e32 v7, v7, v19
	v_and_b32_e32 v14, 0xffff0000, v14
	v_add_f32_e32 v5, v5, v18
	v_and_b32_e32 v16, 0xffff0000, v16
	v_fmac_f32_e32 v8, v7, v7
	v_and_b32_e32 v15, 0xffff0000, v15
	v_and_b32_e32 v17, 0xffff0000, v17
	v_add_f32_e32 v14, v14, v16
	v_fmac_f32_e32 v8, v5, v5
	v_add_f32_e32 v15, v15, v17
	v_fmac_f32_e32 v8, v14, v14
	v_fmac_f32_e32 v8, v15, v15
	s_and_saveexec_b64 s[12:13], vcc
	s_cbranch_execz .LBB12_41
; %bb.45:                               ;   in Loop: Header=BB12_43 Depth=1
	v_mov_b32_e32 v7, v3
	v_lshlrev_b64 v[6:7], 3, v[6:7]
	v_add_co_u32_e32 v14, vcc, s33, v6
	v_addc_co_u32_e32 v15, vcc, v9, v7, vcc
	v_add_co_u32_e32 v6, vcc, s49, v6
	v_addc_co_u32_e32 v7, vcc, v10, v7, vcc
	global_load_dwordx2 v[14:15], v[14:15], off
	v_add_u32_e32 v2, v11, v2
	global_load_dwordx2 v[6:7], v[6:7], off
	v_cmp_gt_u32_e32 vcc, s51, v2
	s_mov_b64 s[16:17], -1
	s_waitcnt vmcnt(1)
	v_lshlrev_b32_e32 v16, 16, v14
	v_and_b32_e32 v5, 0xffff0000, v14
	s_waitcnt vmcnt(0)
	v_lshlrev_b32_e32 v18, 16, v6
	v_alignbit_b32 v14, v15, v14, 16
	v_and_b32_e32 v17, 0xffff0000, v6
	v_alignbit_b32 v6, v7, v6, 16
	v_add_f32_e32 v16, v16, v18
	v_and_b32_e32 v14, 0xffff0000, v14
	v_add_f32_e32 v5, v5, v17
	v_and_b32_e32 v6, 0xffff0000, v6
	v_fmac_f32_e32 v8, v16, v16
	v_and_b32_e32 v15, 0xffff0000, v15
	v_and_b32_e32 v7, 0xffff0000, v7
	v_add_f32_e32 v6, v14, v6
	v_fmac_f32_e32 v8, v5, v5
	v_add_f32_e32 v7, v15, v7
	v_fmac_f32_e32 v8, v6, v6
	v_fmac_f32_e32 v8, v7, v7
	s_and_saveexec_b64 s[14:15], vcc
	s_xor_b64 s[14:15], exec, s[14:15]
	s_cbranch_execz .LBB12_40
; %bb.46:                               ;   in Loop: Header=BB12_43 Depth=1
	v_lshlrev_b64 v[6:7], 3, v[2:3]
	v_mov_b32_e32 v2, s48
	v_add_co_u32_e32 v14, vcc, s33, v6
	v_addc_co_u32_e32 v15, vcc, v2, v7, vcc
	v_mov_b32_e32 v2, s50
	v_add_co_u32_e32 v6, vcc, s49, v6
	v_addc_co_u32_e32 v7, vcc, v2, v7, vcc
	global_load_dwordx2 v[14:15], v[14:15], off
	v_add_u32_e32 v2, v13, v4
	global_load_dwordx2 v[6:7], v[6:7], off
	v_cmp_le_u32_e32 vcc, s51, v2
	s_orn2_b64 s[16:17], vcc, exec
	s_waitcnt vmcnt(1)
	v_lshlrev_b32_e32 v5, 16, v14
	v_and_b32_e32 v4, 0xffff0000, v14
	s_waitcnt vmcnt(0)
	v_lshlrev_b32_e32 v17, 16, v6
	v_alignbit_b32 v14, v15, v14, 16
	v_and_b32_e32 v16, 0xffff0000, v6
	v_alignbit_b32 v6, v7, v6, 16
	v_add_f32_e32 v5, v5, v17
	v_and_b32_e32 v14, 0xffff0000, v14
	v_add_f32_e32 v4, v4, v16
	v_and_b32_e32 v6, 0xffff0000, v6
	v_fmac_f32_e32 v8, v5, v5
	v_and_b32_e32 v15, 0xffff0000, v15
	v_and_b32_e32 v7, 0xffff0000, v7
	v_add_f32_e32 v6, v14, v6
	v_fmac_f32_e32 v8, v4, v4
	v_add_f32_e32 v7, v15, v7
	v_fmac_f32_e32 v8, v6, v6
	v_fmac_f32_e32 v8, v7, v7
	s_branch .LBB12_40
.LBB12_47:
	s_or_b64 exec, exec, s[4:5]
.LBB12_48:
	s_or_b64 exec, exec, s[2:3]
	s_waitcnt lgkmcnt(0)
	s_cmp_lt_u32 s6, s18
	s_cselect_b32 s2, 12, 18
	s_add_u32 s2, s19, s2
	s_addc_u32 s3, s20, 0
	v_mov_b32_e32 v1, 0
	global_load_ushort v2, v1, s[2:3]
	v_mbcnt_lo_u32_b32 v1, -1, 0
	v_mbcnt_hi_u32_b32 v1, -1, v1
	v_and_b32_e32 v4, 63, v1
	v_cmp_ne_u32_e32 vcc, 63, v4
	v_addc_co_u32_e32 v9, vcc, 0, v1, vcc
	v_lshlrev_b32_e32 v9, 2, v9
	ds_bpermute_b32 v11, v9, v8
	v_and_b32_e32 v3, 0x3c0, v0
	v_cmp_gt_u32_e32 vcc, 62, v4
	v_add_u32_e32 v5, 1, v1
	v_cndmask_b32_e64 v10, 0, 1, vcc
	v_lshlrev_b32_e32 v10, 1, v10
	s_waitcnt lgkmcnt(0)
	v_add_f32_e32 v11, v8, v11
	v_add_lshl_u32 v10, v10, v1, 2
	v_cmp_gt_u32_e32 vcc, 60, v4
	v_add_u32_e32 v6, 2, v1
	v_add_u32_e32 v7, 4, v1
	;; [unrolled: 1-line block ×4, first 2 shown]
	v_cmp_eq_u32_e64 s[14:15], 0, v1
	s_waitcnt vmcnt(0)
	v_sub_u32_e64 v3, v2, v3 clamp
	v_cmp_lt_u32_e64 s[2:3], v5, v3
	v_cndmask_b32_e64 v5, v8, v11, s[2:3]
	ds_bpermute_b32 v8, v10, v5
	v_cndmask_b32_e64 v11, 0, 1, vcc
	v_lshlrev_b32_e32 v11, 2, v11
	v_cmp_lt_u32_e64 s[4:5], v6, v3
	v_add_lshl_u32 v11, v11, v1, 2
	s_waitcnt lgkmcnt(0)
	v_add_f32_e32 v8, v5, v8
	v_cndmask_b32_e64 v5, v5, v8, s[4:5]
	ds_bpermute_b32 v6, v11, v5
	v_cmp_gt_u32_e32 vcc, 56, v4
	v_cndmask_b32_e64 v8, 0, 1, vcc
	v_lshlrev_b32_e32 v8, 3, v8
	v_cmp_lt_u32_e64 s[8:9], v7, v3
	s_waitcnt lgkmcnt(0)
	v_add_f32_e32 v6, v5, v6
	v_add_lshl_u32 v12, v8, v1, 2
	v_cndmask_b32_e64 v5, v5, v6, s[8:9]
	ds_bpermute_b32 v6, v12, v5
	v_cmp_gt_u32_e32 vcc, 48, v4
	v_cndmask_b32_e64 v7, 0, 1, vcc
	v_lshlrev_b32_e32 v7, 4, v7
	v_cmp_lt_u32_e64 s[10:11], v14, v3
	s_waitcnt lgkmcnt(0)
	v_add_f32_e32 v6, v5, v6
	v_add_lshl_u32 v13, v7, v1, 2
	v_cndmask_b32_e64 v5, v5, v6, s[10:11]
	ds_bpermute_b32 v6, v13, v5
	v_cmp_gt_u32_e32 vcc, 32, v4
	v_cndmask_b32_e64 v4, 0, 1, vcc
	v_lshlrev_b32_e32 v4, 5, v4
	v_add_lshl_u32 v14, v4, v1, 2
	s_waitcnt lgkmcnt(0)
	v_add_f32_e32 v4, v5, v6
	v_cmp_lt_u32_e64 s[12:13], v15, v3
	v_cndmask_b32_e64 v4, v5, v4, s[12:13]
	ds_bpermute_b32 v5, v14, v4
	v_add_u32_e32 v6, 32, v1
	v_readfirstlane_b32 s52, v2
	v_cmp_lt_u32_e64 s[20:21], v6, v3
	s_waitcnt lgkmcnt(0)
	v_add_f32_e32 v2, v4, v5
	v_cndmask_b32_e64 v2, v4, v2, s[20:21]
	s_and_saveexec_b64 s[16:17], s[14:15]
	s_cbranch_execz .LBB12_50
; %bb.49:
	v_lshrrev_b32_e32 v3, 4, v0
	v_and_b32_e32 v3, 60, v3
	ds_write_b32 v3, v2
.LBB12_50:
	s_or_b64 exec, exec, s[16:17]
	v_cmp_gt_u32_e64 s[16:17], 16, v0
	s_waitcnt lgkmcnt(0)
	s_barrier
	s_and_saveexec_b64 s[22:23], s[16:17]
	s_cbranch_execz .LBB12_52
; %bb.51:
	v_lshlrev_b32_e32 v2, 2, v1
	ds_read_b32 v2, v2
	v_and_b32_e32 v3, 15, v1
	v_cmp_ne_u32_e32 vcc, 15, v3
	v_addc_co_u32_e32 v4, vcc, 0, v1, vcc
	v_lshlrev_b32_e32 v4, 2, v4
	s_waitcnt lgkmcnt(0)
	ds_bpermute_b32 v4, v4, v2
	s_add_i32 s18, s52, 63
	s_lshr_b32 s28, s18, 6
	v_add_u32_e32 v5, 1, v3
	v_cmp_gt_u32_e64 s[18:19], 14, v3
	v_cmp_gt_u32_e32 vcc, s28, v5
	v_cndmask_b32_e64 v5, 0, 1, s[18:19]
	s_waitcnt lgkmcnt(0)
	v_add_f32_e32 v4, v2, v4
	v_lshlrev_b32_e32 v5, 1, v5
	v_cndmask_b32_e32 v4, v2, v4, vcc
	v_add_lshl_u32 v5, v5, v1, 2
	ds_bpermute_b32 v5, v5, v4
	v_add_u32_e32 v6, 2, v3
	v_cmp_gt_u32_e64 s[18:19], s28, v6
	v_add_u32_e32 v6, 4, v3
	s_waitcnt lgkmcnt(0)
	v_add_f32_e32 v5, v4, v5
	v_cndmask_b32_e64 v4, v4, v5, s[18:19]
	v_cmp_gt_u32_e64 s[18:19], 12, v3
	v_cndmask_b32_e64 v5, 0, 1, s[18:19]
	v_lshlrev_b32_e32 v5, 2, v5
	v_add_lshl_u32 v5, v5, v1, 2
	ds_bpermute_b32 v5, v5, v4
	v_cmp_gt_u32_e64 s[18:19], s28, v6
	s_waitcnt lgkmcnt(0)
	v_add_f32_e32 v5, v4, v5
	v_cndmask_b32_e64 v4, v4, v5, s[18:19]
	v_cmp_gt_u32_e64 s[18:19], 8, v3
	v_cndmask_b32_e64 v5, 0, 1, s[18:19]
	v_lshlrev_b32_e32 v5, 3, v5
	v_add_lshl_u32 v5, v5, v1, 2
	ds_bpermute_b32 v5, v5, v4
	v_add_u32_e32 v3, 8, v3
	v_cmp_gt_u32_e64 s[18:19], s28, v3
	s_waitcnt lgkmcnt(0)
	v_add_f32_e32 v5, v4, v5
	v_cndmask_b32_e64 v3, v4, v5, s[18:19]
	v_cndmask_b32_e32 v2, v2, v3, vcc
.LBB12_52:
	s_or_b64 exec, exec, s[22:23]
	v_cmp_eq_u32_e64 s[18:19], 0, v0
	s_and_saveexec_b64 s[22:23], s[18:19]
	s_cbranch_execz .LBB12_54
; %bb.53:
	v_cvt_f32_i32_e32 v3, s37
	v_div_scale_f32 v4, s[28:29], v3, v3, v2
	v_rcp_f32_e32 v5, v4
	v_div_scale_f32 v6, vcc, v2, v3, v2
	s_mov_b32 s28, 0x800000
	v_fma_f32 v7, -v4, v5, 1.0
	v_fmac_f32_e32 v5, v7, v5
	v_mul_f32_e32 v7, v6, v5
	v_fma_f32 v8, -v4, v7, v6
	v_fmac_f32_e32 v7, v8, v5
	v_fma_f32 v4, -v4, v7, v6
	v_div_fmas_f32 v4, v4, v5, v7
	v_div_fixup_f32 v2, v4, v3, v2
	v_add_f32_e32 v2, s36, v2
	v_mul_f32_e32 v3, 0x4b800000, v2
	v_cmp_gt_f32_e32 vcc, s28, v2
	v_cndmask_b32_e32 v2, v2, v3, vcc
	v_rsq_f32_e32 v2, v2
	v_mul_f32_e32 v3, 0x45800000, v2
	v_cndmask_b32_e32 v2, v2, v3, vcc
	v_mov_b32_e32 v3, 0
	ds_write_b32 v3, v2 offset:256
.LBB12_54:
	s_or_b64 exec, exec, s[22:23]
	v_mov_b32_e32 v15, 0
	s_waitcnt lgkmcnt(0)
	s_barrier
	ds_read_b32 v8, v15 offset:256
	s_and_saveexec_b64 s[28:29], s[0:1]
	s_cbranch_execz .LBB12_64
; %bb.55:
	s_add_i32 s56, s52, s52
	s_mul_i32 s53, s52, 3
	s_lshl_b32 s54, s52, 1
	s_mov_b64 s[36:37], 0
	v_mov_b32_e32 v3, 0
	v_mov_b32_e32 v16, s48
	;; [unrolled: 1-line block ×4, first 2 shown]
	s_movk_i32 s55, 0x7fff
	v_mov_b32_e32 v19, 0x7fc00000
	s_add_i32 s56, s56, s52
	v_mov_b32_e32 v15, 0
	v_mov_b32_e32 v2, v0
                                        ; implicit-def: $sgpr40_sgpr41
	s_branch .LBB12_59
.LBB12_56:                              ;   in Loop: Header=BB12_59 Depth=1
	s_or_b64 exec, exec, s[46:47]
	s_orn2_b64 s[22:23], s[22:23], exec
.LBB12_57:                              ;   in Loop: Header=BB12_59 Depth=1
	s_or_b64 exec, exec, s[44:45]
	s_andn2_b64 s[40:41], s[40:41], exec
	s_and_b64 s[22:23], s[22:23], exec
	s_or_b64 s[40:41], s[40:41], s[22:23]
.LBB12_58:                              ;   in Loop: Header=BB12_59 Depth=1
	s_or_b64 exec, exec, s[42:43]
	s_and_b64 s[22:23], exec, s[40:41]
	s_or_b64 s[36:37], s[22:23], s[36:37]
	s_andn2_b64 exec, exec, s[36:37]
	s_cbranch_execz .LBB12_63
.LBB12_59:                              ; =>This Inner Loop Header: Depth=1
	v_lshlrev_b64 v[4:5], 3, v[2:3]
	v_add_co_u32_e32 v6, vcc, s33, v4
	v_addc_co_u32_e32 v7, vcc, v16, v5, vcc
	v_add_co_u32_e32 v20, vcc, s30, v4
	v_addc_co_u32_e32 v21, vcc, v17, v5, vcc
	;; [unrolled: 2-line block ×3, first 2 shown]
	global_load_dwordx2 v[6:7], v[6:7], off
	s_or_b64 s[40:41], s[40:41], exec
	global_load_dwordx2 v[22:23], v[4:5], off
	v_add_u32_e32 v4, s52, v2
	global_load_dwordx2 v[20:21], v[20:21], off
	v_cmp_gt_u32_e32 vcc, s51, v4
	s_waitcnt vmcnt(2)
	v_and_b32_e32 v5, 0xffff0000, v6
	v_lshlrev_b32_e32 v25, 16, v6
	v_alignbit_b32 v6, v7, v6, 16
	s_waitcnt vmcnt(1)
	v_and_b32_e32 v26, 0xffff0000, v22
	v_lshlrev_b32_e32 v27, 16, v22
	v_alignbit_b32 v22, v23, v22, 16
	v_and_b32_e32 v6, 0xffff0000, v6
	v_add_f32_e32 v25, v25, v27
	v_and_b32_e32 v22, 0xffff0000, v22
	v_and_b32_e32 v7, 0xffff0000, v7
	;; [unrolled: 1-line block ×3, first 2 shown]
	v_add_f32_e32 v5, v5, v26
	v_add_f32_e32 v6, v6, v22
	s_waitcnt lgkmcnt(0)
	v_mul_f32_e32 v22, v8, v25
	v_add_f32_e32 v7, v7, v23
	v_mul_f32_e32 v5, v8, v5
	v_bfe_u32 v23, v22, 16, 1
	v_mul_f32_e32 v7, v8, v7
	v_bfe_u32 v25, v5, 16, 1
	v_add3_u32 v23, v22, v23, s55
	v_bfe_u32 v26, v7, 16, 1
	v_add3_u32 v25, v5, v25, s55
	v_and_b32_e32 v23, 0xffff0000, v23
	v_cmp_o_f32_e64 s[22:23], v22, v22
	v_mul_f32_e32 v6, v8, v6
	v_add3_u32 v26, v7, v26, s55
	v_and_b32_e32 v25, 0xffff0000, v25
	v_cndmask_b32_e64 v22, v19, v23, s[22:23]
	v_cmp_o_f32_e64 s[22:23], v5, v5
	s_waitcnt vmcnt(0)
	v_lshlrev_b32_e32 v28, 16, v20
	v_bfe_u32 v27, v6, 16, 1
	v_and_b32_e32 v26, 0xffff0000, v26
	v_cndmask_b32_e64 v5, v19, v25, s[22:23]
	v_cmp_o_f32_e64 s[22:23], v7, v7
	v_and_b32_e32 v24, 0xffff0000, v20
	v_alignbit_b32 v20, v21, v20, 16
	v_and_b32_e32 v21, 0xffff0000, v21
	v_add3_u32 v27, v6, v27, s55
	v_cndmask_b32_e64 v7, v19, v26, s[22:23]
	v_mul_f32_e32 v22, v22, v28
	v_and_b32_e32 v23, 0xffff0000, v27
	v_mul_f32_e32 v5, v5, v24
	v_cmp_o_f32_e64 s[22:23], v6, v6
	v_mul_f32_e32 v7, v7, v21
	v_bfe_u32 v21, v22, 16, 1
	v_and_b32_e32 v20, 0xffff0000, v20
	v_cndmask_b32_e64 v6, v19, v23, s[22:23]
	v_bfe_u32 v23, v5, 16, 1
	v_add3_u32 v21, v22, v21, s55
	v_mul_f32_e32 v6, v6, v20
	v_bfe_u32 v20, v7, 16, 1
	v_add3_u32 v23, v5, v23, s55
	v_and_b32_e32 v21, 0xffff0000, v21
	v_cmp_o_f32_e64 s[22:23], v22, v22
	v_bfe_u32 v24, v6, 16, 1
	v_add3_u32 v20, v7, v20, s55
	v_and_b32_e32 v23, 0xffff0000, v23
	v_cndmask_b32_e64 v21, v19, |v21|, s[22:23]
	v_cmp_o_f32_e64 s[22:23], v5, v5
	v_add3_u32 v24, v6, v24, s55
	v_and_b32_e32 v20, 0xffff0000, v20
	v_cndmask_b32_e64 v5, v19, |v23|, s[22:23]
	v_cmp_o_f32_e64 s[22:23], v7, v7
	v_and_b32_e32 v22, 0xffff0000, v24
	v_cndmask_b32_e64 v7, v19, |v20|, s[22:23]
	v_cmp_o_f32_e64 s[22:23], v6, v6
	v_max3_f32 v5, v15, v21, v5
	v_cndmask_b32_e64 v6, v19, |v22|, s[22:23]
	v_max3_f32 v15, v5, v6, v7
	s_and_saveexec_b64 s[42:43], vcc
	s_cbranch_execz .LBB12_58
; %bb.60:                               ;   in Loop: Header=BB12_59 Depth=1
	v_mov_b32_e32 v5, v3
	v_lshlrev_b64 v[6:7], 3, v[4:5]
	v_add_co_u32_e32 v20, vcc, s33, v6
	v_addc_co_u32_e32 v21, vcc, v16, v7, vcc
	v_add_co_u32_e32 v22, vcc, s30, v6
	v_addc_co_u32_e32 v23, vcc, v17, v7, vcc
	;; [unrolled: 2-line block ×3, first 2 shown]
	global_load_dwordx2 v[20:21], v[20:21], off
	s_waitcnt vmcnt(0)
	v_and_b32_e32 v5, 0xffff0000, v20
	global_load_dwordx2 v[24:25], v[6:7], off
	v_lshlrev_b32_e32 v26, 16, v20
	global_load_dwordx2 v[22:23], v[22:23], off
	v_alignbit_b32 v20, v21, v20, 16
	v_and_b32_e32 v20, 0xffff0000, v20
	v_and_b32_e32 v21, 0xffff0000, v21
	v_add_u32_e32 v6, s54, v2
	v_cmp_gt_u32_e32 vcc, s51, v6
	s_waitcnt vmcnt(1)
	v_and_b32_e32 v27, 0xffff0000, v24
	v_lshlrev_b32_e32 v28, 16, v24
	v_alignbit_b32 v24, v25, v24, 16
	v_add_f32_e32 v26, v26, v28
	v_and_b32_e32 v24, 0xffff0000, v24
	v_and_b32_e32 v25, 0xffff0000, v25
	v_add_f32_e32 v5, v5, v27
	v_add_f32_e32 v20, v20, v24
	v_mul_f32_e32 v24, v8, v26
	v_add_f32_e32 v21, v21, v25
	v_mul_f32_e32 v5, v8, v5
	v_bfe_u32 v25, v24, 16, 1
	v_mul_f32_e32 v21, v8, v21
	v_bfe_u32 v26, v5, 16, 1
	v_add3_u32 v25, v24, v25, s55
	v_bfe_u32 v27, v21, 16, 1
	v_add3_u32 v26, v5, v26, s55
	v_and_b32_e32 v25, 0xffff0000, v25
	v_cmp_o_f32_e64 s[22:23], v24, v24
	v_mul_f32_e32 v20, v8, v20
	v_add3_u32 v27, v21, v27, s55
	v_and_b32_e32 v26, 0xffff0000, v26
	v_cndmask_b32_e64 v24, v19, v25, s[22:23]
	v_cmp_o_f32_e64 s[22:23], v5, v5
	s_waitcnt vmcnt(0)
	v_lshlrev_b32_e32 v29, 16, v22
	v_bfe_u32 v28, v20, 16, 1
	v_and_b32_e32 v27, 0xffff0000, v27
	v_cndmask_b32_e64 v5, v19, v26, s[22:23]
	v_cmp_o_f32_e64 s[22:23], v21, v21
	v_and_b32_e32 v7, 0xffff0000, v22
	v_alignbit_b32 v22, v23, v22, 16
	v_and_b32_e32 v23, 0xffff0000, v23
	v_add3_u32 v28, v20, v28, s55
	v_cndmask_b32_e64 v21, v19, v27, s[22:23]
	v_mul_f32_e32 v24, v24, v29
	v_and_b32_e32 v25, 0xffff0000, v28
	v_mul_f32_e32 v5, v5, v7
	v_cmp_o_f32_e64 s[22:23], v20, v20
	v_mul_f32_e32 v20, v21, v23
	v_bfe_u32 v21, v24, 16, 1
	v_and_b32_e32 v22, 0xffff0000, v22
	v_cndmask_b32_e64 v7, v19, v25, s[22:23]
	v_bfe_u32 v23, v5, 16, 1
	v_add3_u32 v21, v24, v21, s55
	v_mul_f32_e32 v7, v7, v22
	v_bfe_u32 v22, v20, 16, 1
	v_add3_u32 v23, v5, v23, s55
	v_and_b32_e32 v21, 0xffff0000, v21
	v_cmp_o_f32_e64 s[22:23], v24, v24
	v_bfe_u32 v25, v7, 16, 1
	v_add3_u32 v22, v20, v22, s55
	v_and_b32_e32 v23, 0xffff0000, v23
	v_cndmask_b32_e64 v21, v19, |v21|, s[22:23]
	v_cmp_o_f32_e64 s[22:23], v5, v5
	v_add3_u32 v25, v7, v25, s55
	v_and_b32_e32 v22, 0xffff0000, v22
	v_cndmask_b32_e64 v5, v19, |v23|, s[22:23]
	v_cmp_o_f32_e64 s[22:23], v20, v20
	v_and_b32_e32 v23, 0xffff0000, v25
	v_cndmask_b32_e64 v20, v19, |v22|, s[22:23]
	v_cmp_o_f32_e64 s[22:23], v7, v7
	v_max3_f32 v5, v15, v21, v5
	v_cndmask_b32_e64 v7, v19, |v23|, s[22:23]
	v_max3_f32 v15, v5, v7, v20
	s_mov_b64 s[22:23], -1
	s_and_saveexec_b64 s[44:45], vcc
	s_cbranch_execz .LBB12_57
; %bb.61:                               ;   in Loop: Header=BB12_59 Depth=1
	v_mov_b32_e32 v7, v3
	v_lshlrev_b64 v[6:7], 3, v[6:7]
	v_add_co_u32_e32 v20, vcc, s33, v6
	v_addc_co_u32_e32 v21, vcc, v16, v7, vcc
	v_add_co_u32_e32 v22, vcc, s30, v6
	v_addc_co_u32_e32 v23, vcc, v17, v7, vcc
	;; [unrolled: 2-line block ×3, first 2 shown]
	global_load_dwordx2 v[20:21], v[20:21], off
	v_add_u32_e32 v2, s53, v2
	global_load_dwordx2 v[6:7], v[6:7], off
	v_cmp_gt_u32_e32 vcc, s51, v2
	global_load_dwordx2 v[22:23], v[22:23], off
	s_waitcnt vmcnt(2)
	v_and_b32_e32 v5, 0xffff0000, v20
	v_lshlrev_b32_e32 v25, 16, v20
	v_alignbit_b32 v20, v21, v20, 16
	s_waitcnt vmcnt(1)
	v_and_b32_e32 v26, 0xffff0000, v6
	v_lshlrev_b32_e32 v27, 16, v6
	v_alignbit_b32 v6, v7, v6, 16
	v_and_b32_e32 v20, 0xffff0000, v20
	v_add_f32_e32 v25, v25, v27
	v_and_b32_e32 v6, 0xffff0000, v6
	s_waitcnt vmcnt(0)
	v_and_b32_e32 v24, 0xffff0000, v22
	v_and_b32_e32 v21, 0xffff0000, v21
	;; [unrolled: 1-line block ×3, first 2 shown]
	v_lshlrev_b32_e32 v28, 16, v22
	v_alignbit_b32 v22, v23, v22, 16
	v_add_f32_e32 v5, v5, v26
	v_add_f32_e32 v6, v20, v6
	v_mul_f32_e32 v20, v8, v25
	v_add_f32_e32 v7, v21, v7
	v_and_b32_e32 v21, 0xffff0000, v22
	v_mul_f32_e32 v5, v8, v5
	v_bfe_u32 v22, v20, 16, 1
	v_mul_f32_e32 v7, v8, v7
	v_bfe_u32 v25, v5, 16, 1
	v_add3_u32 v22, v20, v22, s55
	v_mul_f32_e32 v6, v8, v6
	v_bfe_u32 v26, v7, 16, 1
	v_add3_u32 v25, v5, v25, s55
	v_and_b32_e32 v22, 0xffff0000, v22
	v_cmp_o_f32_e64 s[22:23], v20, v20
	v_bfe_u32 v27, v6, 16, 1
	v_add3_u32 v26, v7, v26, s55
	v_and_b32_e32 v25, 0xffff0000, v25
	v_cndmask_b32_e64 v20, v19, v22, s[22:23]
	v_cmp_o_f32_e64 s[22:23], v5, v5
	v_add3_u32 v27, v6, v27, s55
	v_and_b32_e32 v26, 0xffff0000, v26
	v_cndmask_b32_e64 v5, v19, v25, s[22:23]
	v_cmp_o_f32_e64 s[22:23], v7, v7
	v_and_b32_e32 v22, 0xffff0000, v27
	v_cndmask_b32_e64 v7, v19, v26, s[22:23]
	v_mul_f32_e32 v20, v20, v28
	v_cmp_o_f32_e64 s[22:23], v6, v6
	v_and_b32_e32 v23, 0xffff0000, v23
	v_mul_f32_e32 v5, v5, v24
	v_cndmask_b32_e64 v6, v19, v22, s[22:23]
	v_bfe_u32 v22, v20, 16, 1
	v_mul_f32_e32 v7, v7, v23
	v_bfe_u32 v23, v5, 16, 1
	v_add3_u32 v22, v20, v22, s55
	v_mul_f32_e32 v6, v6, v21
	v_bfe_u32 v21, v7, 16, 1
	v_add3_u32 v23, v5, v23, s55
	v_and_b32_e32 v22, 0xffff0000, v22
	v_cmp_o_f32_e64 s[22:23], v20, v20
	v_bfe_u32 v24, v6, 16, 1
	v_add3_u32 v21, v7, v21, s55
	v_and_b32_e32 v23, 0xffff0000, v23
	v_cndmask_b32_e64 v20, v19, |v22|, s[22:23]
	v_cmp_o_f32_e64 s[22:23], v5, v5
	v_add3_u32 v24, v6, v24, s55
	v_and_b32_e32 v21, 0xffff0000, v21
	v_cndmask_b32_e64 v5, v19, |v23|, s[22:23]
	v_cmp_o_f32_e64 s[22:23], v7, v7
	v_and_b32_e32 v22, 0xffff0000, v24
	v_cndmask_b32_e64 v7, v19, |v21|, s[22:23]
	v_cmp_o_f32_e64 s[22:23], v6, v6
	v_max3_f32 v5, v15, v20, v5
	v_cndmask_b32_e64 v6, v19, |v22|, s[22:23]
	v_max3_f32 v15, v5, v6, v7
	s_mov_b64 s[22:23], -1
	s_and_saveexec_b64 s[46:47], vcc
	s_xor_b64 s[46:47], exec, s[46:47]
	s_cbranch_execz .LBB12_56
; %bb.62:                               ;   in Loop: Header=BB12_59 Depth=1
	v_lshlrev_b64 v[6:7], 3, v[2:3]
	v_mov_b32_e32 v2, s48
	v_add_co_u32_e32 v20, vcc, s33, v6
	v_addc_co_u32_e32 v21, vcc, v2, v7, vcc
	v_mov_b32_e32 v2, s31
	v_add_co_u32_e32 v22, vcc, s30, v6
	v_addc_co_u32_e32 v23, vcc, v2, v7, vcc
	;; [unrolled: 3-line block ×3, first 2 shown]
	global_load_dwordx2 v[20:21], v[20:21], off
	v_add_u32_e32 v2, s56, v4
	global_load_dwordx2 v[6:7], v[6:7], off
	v_cmp_le_u32_e32 vcc, s51, v2
	global_load_dwordx2 v[22:23], v[22:23], off
	s_waitcnt vmcnt(2)
	v_and_b32_e32 v4, 0xffff0000, v20
	v_lshlrev_b32_e32 v24, 16, v20
	v_alignbit_b32 v20, v21, v20, 16
	s_waitcnt vmcnt(1)
	v_and_b32_e32 v25, 0xffff0000, v6
	v_lshlrev_b32_e32 v26, 16, v6
	v_alignbit_b32 v6, v7, v6, 16
	v_and_b32_e32 v20, 0xffff0000, v20
	v_add_f32_e32 v24, v24, v26
	v_and_b32_e32 v6, 0xffff0000, v6
	s_waitcnt vmcnt(0)
	v_and_b32_e32 v5, 0xffff0000, v22
	v_and_b32_e32 v21, 0xffff0000, v21
	;; [unrolled: 1-line block ×3, first 2 shown]
	v_lshlrev_b32_e32 v27, 16, v22
	v_alignbit_b32 v22, v23, v22, 16
	v_add_f32_e32 v4, v4, v25
	v_add_f32_e32 v6, v20, v6
	v_mul_f32_e32 v20, v8, v24
	v_add_f32_e32 v7, v21, v7
	v_and_b32_e32 v21, 0xffff0000, v22
	v_mul_f32_e32 v4, v8, v4
	v_bfe_u32 v22, v20, 16, 1
	v_mul_f32_e32 v7, v8, v7
	v_bfe_u32 v24, v4, 16, 1
	v_add3_u32 v22, v20, v22, s55
	v_bfe_u32 v25, v7, 16, 1
	v_add3_u32 v24, v4, v24, s55
	v_and_b32_e32 v22, 0xffff0000, v22
	v_cmp_o_f32_e64 s[22:23], v20, v20
	v_mul_f32_e32 v6, v8, v6
	v_add3_u32 v25, v7, v25, s55
	v_and_b32_e32 v24, 0xffff0000, v24
	v_cndmask_b32_e64 v20, v19, v22, s[22:23]
	v_cmp_o_f32_e64 s[22:23], v4, v4
	v_bfe_u32 v26, v6, 16, 1
	v_and_b32_e32 v25, 0xffff0000, v25
	v_cndmask_b32_e64 v4, v19, v24, s[22:23]
	v_cmp_o_f32_e64 s[22:23], v7, v7
	v_and_b32_e32 v23, 0xffff0000, v23
	v_add3_u32 v26, v6, v26, s55
	v_cndmask_b32_e64 v7, v19, v25, s[22:23]
	v_mul_f32_e32 v20, v20, v27
	v_and_b32_e32 v22, 0xffff0000, v26
	v_mul_f32_e32 v4, v4, v5
	v_cmp_o_f32_e64 s[22:23], v6, v6
	v_mul_f32_e32 v6, v7, v23
	v_bfe_u32 v7, v20, 16, 1
	v_cndmask_b32_e64 v5, v19, v22, s[22:23]
	v_bfe_u32 v22, v4, 16, 1
	v_add3_u32 v7, v20, v7, s55
	v_mul_f32_e32 v5, v5, v21
	v_bfe_u32 v21, v6, 16, 1
	v_add3_u32 v22, v4, v22, s55
	v_and_b32_e32 v7, 0xffff0000, v7
	v_cmp_o_f32_e64 s[22:23], v20, v20
	v_bfe_u32 v23, v5, 16, 1
	v_add3_u32 v21, v6, v21, s55
	v_and_b32_e32 v22, 0xffff0000, v22
	v_cndmask_b32_e64 v7, v19, |v7|, s[22:23]
	v_cmp_o_f32_e64 s[22:23], v4, v4
	v_add3_u32 v23, v5, v23, s55
	v_and_b32_e32 v21, 0xffff0000, v21
	v_cndmask_b32_e64 v4, v19, |v22|, s[22:23]
	v_cmp_o_f32_e64 s[22:23], v6, v6
	v_and_b32_e32 v20, 0xffff0000, v23
	v_cndmask_b32_e64 v6, v19, |v21|, s[22:23]
	v_cmp_o_f32_e64 s[22:23], v5, v5
	v_max3_f32 v4, v15, v7, v4
	v_cndmask_b32_e64 v5, v19, |v20|, s[22:23]
	v_max3_f32 v15, v4, v5, v6
	s_orn2_b64 s[22:23], vcc, exec
	s_branch .LBB12_56
.LBB12_63:
	s_or_b64 exec, exec, s[36:37]
.LBB12_64:
	s_or_b64 exec, exec, s[28:29]
	ds_bpermute_b32 v2, v9, v15
	s_waitcnt lgkmcnt(0)
	v_cmp_lt_f32_e32 vcc, v15, v2
	v_cndmask_b32_e32 v2, v15, v2, vcc
	v_cndmask_b32_e64 v2, v15, v2, s[2:3]
	ds_bpermute_b32 v3, v10, v2
	s_or_b64 s[2:3], s[2:3], s[4:5]
	s_or_b64 s[2:3], s[8:9], s[2:3]
	;; [unrolled: 1-line block ×4, first 2 shown]
	s_waitcnt lgkmcnt(0)
	v_cmp_lt_f32_e32 vcc, v2, v3
	v_cndmask_b32_e32 v3, v2, v3, vcc
	v_cndmask_b32_e64 v2, v2, v3, s[4:5]
	ds_bpermute_b32 v3, v11, v2
	s_waitcnt lgkmcnt(0)
	v_cmp_lt_f32_e32 vcc, v2, v3
	v_cndmask_b32_e32 v3, v2, v3, vcc
	v_cndmask_b32_e64 v2, v2, v3, s[8:9]
	ds_bpermute_b32 v3, v12, v2
	;; [unrolled: 5-line block ×4, first 2 shown]
	s_waitcnt lgkmcnt(0)
	v_cmp_lt_f32_e32 vcc, v2, v3
	s_and_b64 vcc, s[20:21], vcc
	v_cndmask_b32_e32 v2, v2, v3, vcc
	s_or_b64 vcc, s[20:21], s[2:3]
	v_cndmask_b32_e32 v2, v15, v2, vcc
	s_and_saveexec_b64 s[2:3], s[14:15]
	s_cbranch_execz .LBB12_66
; %bb.65:
	v_lshrrev_b32_e32 v3, 4, v0
	v_and_b32_e32 v3, 60, v3
	ds_write_b32 v3, v2 offset:64
.LBB12_66:
	s_or_b64 exec, exec, s[2:3]
	s_waitcnt lgkmcnt(0)
	s_barrier
	s_and_saveexec_b64 s[8:9], s[16:17]
	s_cbranch_execz .LBB12_68
; %bb.67:
	v_lshlrev_b32_e32 v2, 2, v1
	ds_read_b32 v2, v2 offset:64
	v_and_b32_e32 v3, 15, v1
	v_cmp_ne_u32_e32 vcc, 15, v3
	v_addc_co_u32_e32 v4, vcc, 0, v1, vcc
	v_lshlrev_b32_e32 v4, 2, v4
	s_waitcnt lgkmcnt(0)
	ds_bpermute_b32 v4, v4, v2
	s_add_i32 s2, s52, 63
	s_lshr_b32 s4, s2, 6
	v_add_u32_e32 v5, 1, v3
	v_cmp_gt_u32_e64 s[2:3], 14, v3
	s_waitcnt lgkmcnt(0)
	v_cmp_lt_f32_e32 vcc, v2, v4
	v_cndmask_b32_e32 v4, v2, v4, vcc
	v_cmp_gt_u32_e32 vcc, s4, v5
	v_cndmask_b32_e64 v5, 0, 1, s[2:3]
	v_lshlrev_b32_e32 v5, 1, v5
	v_cndmask_b32_e32 v4, v2, v4, vcc
	v_add_lshl_u32 v5, v5, v1, 2
	ds_bpermute_b32 v5, v5, v4
	v_add_u32_e32 v6, 2, v3
	s_waitcnt lgkmcnt(0)
	v_cmp_lt_f32_e64 s[2:3], v4, v5
	v_cndmask_b32_e64 v5, v4, v5, s[2:3]
	v_cmp_gt_u32_e64 s[2:3], s4, v6
	v_cndmask_b32_e64 v4, v4, v5, s[2:3]
	v_cmp_gt_u32_e64 s[2:3], 12, v3
	v_cndmask_b32_e64 v5, 0, 1, s[2:3]
	v_lshlrev_b32_e32 v5, 2, v5
	v_add_lshl_u32 v5, v5, v1, 2
	ds_bpermute_b32 v5, v5, v4
	v_add_u32_e32 v6, 4, v3
	s_waitcnt lgkmcnt(0)
	v_cmp_lt_f32_e64 s[2:3], v4, v5
	v_cndmask_b32_e64 v5, v4, v5, s[2:3]
	v_cmp_gt_u32_e64 s[2:3], s4, v6
	v_cndmask_b32_e64 v4, v4, v5, s[2:3]
	v_cmp_gt_u32_e64 s[2:3], 8, v3
	v_cndmask_b32_e64 v5, 0, 1, s[2:3]
	v_lshlrev_b32_e32 v5, 3, v5
	v_add_lshl_u32 v1, v5, v1, 2
	ds_bpermute_b32 v1, v1, v4
	v_add_u32_e32 v3, 8, v3
	v_cmp_gt_u32_e64 s[2:3], s4, v3
	s_waitcnt lgkmcnt(0)
	v_cmp_lt_f32_e64 s[4:5], v4, v1
	s_and_b64 s[2:3], s[2:3], s[4:5]
	v_cndmask_b32_e64 v1, v4, v1, s[2:3]
	v_cndmask_b32_e32 v2, v2, v1, vcc
.LBB12_68:
	s_or_b64 exec, exec, s[8:9]
	s_and_saveexec_b64 s[2:3], s[18:19]
	s_cbranch_execz .LBB12_72
; %bb.69:
	s_cmp_eq_u64 s[34:35], 0
	s_cbranch_scc1 .LBB12_71
; %bb.70:
	s_load_dword s4, s[34:35], 0x0
	v_max_f32_e32 v1, v2, v2
	s_waitcnt lgkmcnt(0)
	v_max_f32_e64 v2, s4, s4
	v_min_f32_e32 v2, v1, v2
.LBB12_71:
	s_mov_b32 s8, 0x43e00000
	v_div_scale_f32 v1, s[4:5], s8, s8, v2
	v_rcp_f32_e32 v3, v1
	v_div_scale_f32 v4, vcc, v2, s8, v2
	s_lshl_b64 s[4:5], s[6:7], 2
	v_fma_f32 v5, -v1, v3, 1.0
	v_fmac_f32_e32 v3, v5, v3
	v_mul_f32_e32 v5, v4, v3
	v_fma_f32 v6, -v1, v5, v4
	v_fmac_f32_e32 v5, v6, v3
	v_fma_f32 v1, -v1, v5, v4
	v_div_fmas_f32 v1, v1, v3, v5
	v_div_fixup_f32 v1, v1, s8, v2
	s_add_u32 s4, s26, s4
	v_max_f32_e32 v1, 0x36924925, v1
	v_mov_b32_e32 v2, 0
	s_addc_u32 s5, s27, s5
	ds_write_b32 v2, v1 offset:260
	global_store_dword v2, v1, s[4:5]
.LBB12_72:
	s_or_b64 exec, exec, s[2:3]
	s_waitcnt lgkmcnt(0)
	s_barrier
	s_and_saveexec_b64 s[2:3], s[0:1]
	s_cbranch_execz .LBB12_177
; %bb.73:
	v_mov_b32_e32 v1, 0
	ds_read_b32 v9, v1 offset:260
	s_add_u32 s12, s24, s38
	s_addc_u32 s13, s25, s39
	s_mul_i32 s14, s52, 3
	s_lshl_b32 s15, s52, 1
	s_mov_b64 s[0:1], 0
	v_mov_b32_e32 v10, s48
	v_mov_b32_e32 v11, s31
	;; [unrolled: 1-line block ×3, first 2 shown]
	s_movk_i32 s16, 0x7fff
	v_mov_b32_e32 v13, 0x7fc00000
	v_mov_b32_e32 v14, 0x7fc0
	s_mov_b32 s17, 0x43f00000
	s_mov_b32 s18, 0x3c7fffff
	;; [unrolled: 1-line block ×4, first 2 shown]
	s_movk_i32 s21, 0x80
	s_movk_i32 s22, 0xff
	s_branch .LBB12_79
.LBB12_74:                              ;   in Loop: Header=BB12_79 Depth=1
	s_or_b64 exec, exec, s[10:11]
.LBB12_75:                              ;   in Loop: Header=BB12_79 Depth=1
	s_or_b64 exec, exec, s[8:9]
	v_and_b32_sdwa v15, v18, s21 dst_sel:DWORD dst_unused:UNUSED_PAD src0_sel:BYTE_3 src1_sel:DWORD
	v_lshlrev_b64 v[18:19], 2, v[0:1]
	v_mov_b32_e32 v0, s13
	v_add_co_u32_e32 v18, vcc, s12, v18
	v_and_or_b32 v4, v4, s22, v15
	v_and_b32_sdwa v16, v16, s21 dst_sel:DWORD dst_unused:UNUSED_PAD src0_sel:BYTE_3 src1_sel:DWORD
	v_addc_co_u32_e32 v19, vcc, v0, v19, vcc
	v_lshlrev_b32_e32 v0, 24, v17
	v_and_b32_e32 v5, 0x80000000, v5
	v_lshlrev_b32_e32 v4, 16, v4
	v_lshrrev_b32_e32 v7, 24, v7
	v_or3_b32 v0, v5, v0, v4
	v_and_or_b32 v3, v3, s22, v16
	v_and_b32_e32 v4, 0xff, v6
	v_lshlrev_b32_e32 v3, 8, v3
	v_and_or_b32 v4, v7, s21, v4
	s_add_i32 s8, s52, s52
	v_or3_b32 v0, v0, v3, v4
	s_add_i32 s8, s8, s52
	global_store_dword v[18:19], v0, off
	v_add_u32_e32 v0, s8, v2
	v_cmp_le_u32_e32 vcc, s51, v0
	s_orn2_b64 s[8:9], vcc, exec
.LBB12_76:                              ;   in Loop: Header=BB12_79 Depth=1
	s_or_b64 exec, exec, s[6:7]
	s_orn2_b64 s[6:7], s[8:9], exec
.LBB12_77:                              ;   in Loop: Header=BB12_79 Depth=1
	s_or_b64 exec, exec, s[4:5]
	s_orn2_b64 s[4:5], s[6:7], exec
.LBB12_78:                              ;   in Loop: Header=BB12_79 Depth=1
	s_or_b64 exec, exec, s[2:3]
	s_and_b64 s[2:3], exec, s[4:5]
	s_or_b64 s[0:1], s[2:3], s[0:1]
	s_andn2_b64 exec, exec, s[0:1]
	s_cbranch_execz .LBB12_177
.LBB12_79:                              ; =>This Inner Loop Header: Depth=1
	v_lshlrev_b64 v[2:3], 3, v[0:1]
	v_add_co_u32_e32 v4, vcc, s33, v2
	v_addc_co_u32_e32 v5, vcc, v10, v3, vcc
	v_add_co_u32_e32 v18, vcc, s49, v2
	v_addc_co_u32_e32 v19, vcc, v12, v3, vcc
	global_load_dwordx2 v[6:7], v[4:5], off
	global_load_dwordx2 v[16:17], v[18:19], off
	v_add_co_u32_e32 v2, vcc, s30, v2
	v_addc_co_u32_e32 v3, vcc, v11, v3, vcc
	global_load_dwordx2 v[2:3], v[2:3], off
	v_mov_b32_e32 v4, 0x7f
	s_waitcnt vmcnt(2)
	v_and_b32_e32 v5, 0xffff0000, v6
	v_lshlrev_b32_e32 v15, 16, v6
	v_alignbit_b32 v6, v7, v6, 16
	v_and_b32_e32 v7, 0xffff0000, v7
	s_waitcnt vmcnt(1)
	v_and_b32_e32 v20, 0xffff0000, v16
	v_lshlrev_b32_e32 v21, 16, v16
	v_alignbit_b32 v16, v17, v16, 16
	v_and_b32_e32 v17, 0xffff0000, v17
	v_add_f32_e32 v7, v7, v17
	v_and_b32_e32 v6, 0xffff0000, v6
	v_add_f32_e32 v21, v15, v21
	v_add_f32_e32 v15, v5, v20
	v_and_b32_e32 v5, 0xffff0000, v16
	v_bfe_u32 v17, v7, 16, 1
	v_add_f32_e32 v16, v6, v5
	v_bfe_u32 v6, v15, 16, 1
	v_add3_u32 v17, v7, v17, s16
	v_bfe_u32 v5, v21, 16, 1
	v_add3_u32 v6, v15, v6, s16
	v_and_b32_e32 v17, 0xffff0000, v17
	v_cmp_o_f32_e32 vcc, v7, v7
	v_mul_f32_e32 v20, v8, v21
	v_add3_u32 v5, v21, v5, s16
	v_bfe_u32 v23, v16, 16, 1
	v_and_b32_e32 v6, 0xffff0000, v6
	v_cndmask_b32_e32 v17, v13, v17, vcc
	v_cmp_o_f32_e32 vcc, v15, v15
	v_bfe_u32 v24, v20, 16, 1
	v_lshrrev_b32_e32 v5, 16, v5
	v_add3_u32 v23, v16, v23, s16
	v_cndmask_b32_e32 v6, v13, v6, vcc
	v_cmp_o_f32_e32 vcc, v21, v21
	v_add3_u32 v24, v20, v24, s16
	v_lshrrev_b32_e32 v23, 16, v23
	v_cndmask_b32_e32 v5, v14, v5, vcc
	v_cmp_o_f32_e32 vcc, v16, v16
	v_and_b32_e32 v21, 0xffff0000, v24
	v_cndmask_b32_e32 v23, v14, v23, vcc
	v_cmp_o_f32_e32 vcc, v20, v20
	s_waitcnt vmcnt(0)
	v_lshlrev_b32_e32 v22, 16, v2
	v_or_b32_e32 v5, v5, v6
	v_cndmask_b32_e32 v6, v13, v21, vcc
	v_or3_b32 v20, v5, 0, 0
	v_mul_f32_e32 v5, v6, v22
	v_bfe_u32 v6, v5, 16, 1
	v_add3_u32 v6, v5, v6, s16
	v_and_b32_e32 v6, 0xffff0000, v6
	v_cmp_o_f32_e32 vcc, v5, v5
	v_cndmask_b32_e32 v5, v13, v6, vcc
	s_waitcnt lgkmcnt(0)
	v_div_scale_f32 v6, s[2:3], v9, v9, v5
	v_or3_b32 v21, 0, v23, v17
	v_rcp_f32_e32 v17, v6
	global_store_dwordx2 v[18:19], v[20:21], off
	v_div_scale_f32 v18, vcc, v5, v9, v5
	v_fma_f32 v19, -v6, v17, 1.0
	v_fmac_f32_e32 v17, v19, v17
	v_mul_f32_e32 v19, v18, v17
	v_fma_f32 v20, -v6, v19, v18
	v_fmac_f32_e32 v19, v20, v17
	v_fma_f32 v6, -v6, v19, v18
	v_div_fmas_f32 v6, v6, v17, v19
	v_div_fixup_f32 v5, v6, v9, v5
	v_min_f32_e32 v5, 0x43e00000, v5
	v_max_f32_e32 v6, 0xc3e00000, v5
	v_and_b32_e32 v17, 0x7fffffff, v6
	v_cmp_gt_u32_e32 vcc, s17, v17
	v_mov_b32_e32 v5, 0x7f
	s_and_saveexec_b64 s[2:3], vcc
	s_cbranch_execz .LBB12_85
; %bb.80:                               ;   in Loop: Header=BB12_79 Depth=1
	v_cmp_lt_u32_e32 vcc, s18, v17
                                        ; implicit-def: $vgpr5
	s_and_saveexec_b64 s[4:5], vcc
	s_xor_b64 s[4:5], exec, s[4:5]
; %bb.81:                               ;   in Loop: Header=BB12_79 Depth=1
	v_bfe_u32 v5, v6, 20, 1
	v_add3_u32 v5, v6, v5, s19
	v_lshrrev_b32_e32 v5, 20, v5
; %bb.82:                               ;   in Loop: Header=BB12_79 Depth=1
	s_andn2_saveexec_b64 s[4:5], s[4:5]
; %bb.83:                               ;   in Loop: Header=BB12_79 Depth=1
	v_add_f32_e64 v5, |v6|, s20
; %bb.84:                               ;   in Loop: Header=BB12_79 Depth=1
	s_or_b64 exec, exec, s[4:5]
.LBB12_85:                              ;   in Loop: Header=BB12_79 Depth=1
	s_or_b64 exec, exec, s[2:3]
	v_mul_f32_e32 v15, v8, v15
	v_bfe_u32 v18, v15, 16, 1
	v_add3_u32 v18, v15, v18, s16
	v_and_b32_e32 v18, 0xffff0000, v18
	v_cmp_o_f32_e32 vcc, v15, v15
	v_and_b32_e32 v17, 0xffff0000, v2
	v_cndmask_b32_e32 v15, v13, v18, vcc
	v_mul_f32_e32 v15, v15, v17
	v_bfe_u32 v17, v15, 16, 1
	v_add3_u32 v17, v15, v17, s16
	v_and_b32_e32 v17, 0xffff0000, v17
	v_cmp_o_f32_e32 vcc, v15, v15
	v_cndmask_b32_e32 v15, v13, v17, vcc
	v_div_scale_f32 v17, s[2:3], v9, v9, v15
	v_rcp_f32_e32 v18, v17
	v_fma_f32 v19, -v17, v18, 1.0
	v_fmac_f32_e32 v18, v19, v18
	v_div_scale_f32 v19, vcc, v15, v9, v15
	v_mul_f32_e32 v20, v19, v18
	v_fma_f32 v21, -v17, v20, v19
	v_fmac_f32_e32 v20, v21, v18
	v_fma_f32 v17, -v17, v20, v19
	v_div_fmas_f32 v17, v17, v18, v20
	v_div_fixup_f32 v15, v17, v9, v15
	v_min_f32_e32 v15, 0x43e00000, v15
	v_max_f32_e32 v15, 0xc3e00000, v15
	v_and_b32_e32 v17, 0x7fffffff, v15
	v_cmp_gt_u32_e32 vcc, s17, v17
	s_and_saveexec_b64 s[2:3], vcc
	s_cbranch_execz .LBB12_91
; %bb.86:                               ;   in Loop: Header=BB12_79 Depth=1
	v_cmp_lt_u32_e32 vcc, s18, v17
                                        ; implicit-def: $vgpr4
	s_and_saveexec_b64 s[4:5], vcc
	s_xor_b64 s[4:5], exec, s[4:5]
; %bb.87:                               ;   in Loop: Header=BB12_79 Depth=1
	v_bfe_u32 v4, v15, 20, 1
	v_add3_u32 v4, v15, v4, s19
	v_lshrrev_b32_e32 v4, 20, v4
; %bb.88:                               ;   in Loop: Header=BB12_79 Depth=1
	s_andn2_saveexec_b64 s[4:5], s[4:5]
; %bb.89:                               ;   in Loop: Header=BB12_79 Depth=1
	v_add_f32_e64 v4, |v15|, s20
; %bb.90:                               ;   in Loop: Header=BB12_79 Depth=1
	s_or_b64 exec, exec, s[4:5]
.LBB12_91:                              ;   in Loop: Header=BB12_79 Depth=1
	s_or_b64 exec, exec, s[2:3]
	v_mul_f32_e32 v16, v8, v16
	v_bfe_u32 v17, v16, 16, 1
	v_add3_u32 v17, v16, v17, s16
	v_and_b32_e32 v17, 0xffff0000, v17
	v_cmp_o_f32_e32 vcc, v16, v16
	v_alignbit_b32 v2, v3, v2, 16
	v_cndmask_b32_e32 v16, v13, v17, vcc
	v_and_b32_e32 v2, 0xffff0000, v2
	v_mul_f32_e32 v2, v16, v2
	v_bfe_u32 v16, v2, 16, 1
	v_add3_u32 v16, v2, v16, s16
	v_and_b32_e32 v16, 0xffff0000, v16
	v_cmp_o_f32_e32 vcc, v2, v2
	v_cndmask_b32_e32 v2, v13, v16, vcc
	v_div_scale_f32 v16, s[2:3], v9, v9, v2
	v_rcp_f32_e32 v17, v16
	v_fma_f32 v18, -v16, v17, 1.0
	v_fmac_f32_e32 v17, v18, v17
	v_div_scale_f32 v18, vcc, v2, v9, v2
	v_mul_f32_e32 v19, v18, v17
	v_fma_f32 v20, -v16, v19, v18
	v_fmac_f32_e32 v19, v20, v17
	v_fma_f32 v16, -v16, v19, v18
	v_div_fmas_f32 v16, v16, v17, v19
	v_div_fixup_f32 v2, v16, v9, v2
	v_min_f32_e32 v2, 0x43e00000, v2
	v_max_f32_e32 v17, 0xc3e00000, v2
	v_and_b32_e32 v18, 0x7fffffff, v17
	v_cmp_gt_u32_e32 vcc, s17, v18
	v_mov_b32_e32 v16, 0x7f
	v_mov_b32_e32 v2, 0x7f
	s_and_saveexec_b64 s[2:3], vcc
	s_cbranch_execz .LBB12_97
; %bb.92:                               ;   in Loop: Header=BB12_79 Depth=1
	v_cmp_lt_u32_e32 vcc, s18, v18
                                        ; implicit-def: $vgpr2
	s_and_saveexec_b64 s[4:5], vcc
	s_xor_b64 s[4:5], exec, s[4:5]
; %bb.93:                               ;   in Loop: Header=BB12_79 Depth=1
	v_bfe_u32 v2, v17, 20, 1
	v_add3_u32 v2, v17, v2, s19
	v_lshrrev_b32_e32 v2, 20, v2
; %bb.94:                               ;   in Loop: Header=BB12_79 Depth=1
	s_andn2_saveexec_b64 s[4:5], s[4:5]
; %bb.95:                               ;   in Loop: Header=BB12_79 Depth=1
	v_add_f32_e64 v2, |v17|, s20
; %bb.96:                               ;   in Loop: Header=BB12_79 Depth=1
	s_or_b64 exec, exec, s[4:5]
.LBB12_97:                              ;   in Loop: Header=BB12_79 Depth=1
	s_or_b64 exec, exec, s[2:3]
	v_mul_f32_e32 v7, v8, v7
	v_bfe_u32 v18, v7, 16, 1
	v_add3_u32 v18, v7, v18, s16
	v_and_b32_e32 v18, 0xffff0000, v18
	v_cmp_o_f32_e32 vcc, v7, v7
	v_cndmask_b32_e32 v7, v13, v18, vcc
	v_and_b32_e32 v3, 0xffff0000, v3
	v_mul_f32_e32 v3, v7, v3
	v_bfe_u32 v7, v3, 16, 1
	v_add3_u32 v7, v3, v7, s16
	v_and_b32_e32 v7, 0xffff0000, v7
	v_cmp_o_f32_e32 vcc, v3, v3
	v_cndmask_b32_e32 v3, v13, v7, vcc
	v_div_scale_f32 v7, s[2:3], v9, v9, v3
	v_rcp_f32_e32 v18, v7
	v_fma_f32 v19, -v7, v18, 1.0
	v_fmac_f32_e32 v18, v19, v18
	v_div_scale_f32 v19, vcc, v3, v9, v3
	v_mul_f32_e32 v20, v19, v18
	v_fma_f32 v21, -v7, v20, v19
	v_fmac_f32_e32 v20, v21, v18
	v_fma_f32 v7, -v7, v20, v19
	v_div_fmas_f32 v7, v7, v18, v20
	v_div_fixup_f32 v3, v7, v9, v3
	v_min_f32_e32 v3, 0x43e00000, v3
	v_max_f32_e32 v3, 0xc3e00000, v3
	v_and_b32_e32 v7, 0x7fffffff, v3
	v_cmp_gt_u32_e32 vcc, s17, v7
	s_and_saveexec_b64 s[2:3], vcc
	s_cbranch_execz .LBB12_103
; %bb.98:                               ;   in Loop: Header=BB12_79 Depth=1
	v_cmp_lt_u32_e32 vcc, s18, v7
                                        ; implicit-def: $vgpr16
	s_and_saveexec_b64 s[4:5], vcc
	s_xor_b64 s[4:5], exec, s[4:5]
; %bb.99:                               ;   in Loop: Header=BB12_79 Depth=1
	v_bfe_u32 v7, v3, 20, 1
	v_add3_u32 v7, v3, v7, s19
	v_lshrrev_b32_e32 v16, 20, v7
; %bb.100:                              ;   in Loop: Header=BB12_79 Depth=1
	s_andn2_saveexec_b64 s[4:5], s[4:5]
; %bb.101:                              ;   in Loop: Header=BB12_79 Depth=1
	v_add_f32_e64 v16, |v3|, s20
; %bb.102:                              ;   in Loop: Header=BB12_79 Depth=1
	s_or_b64 exec, exec, s[4:5]
.LBB12_103:                             ;   in Loop: Header=BB12_79 Depth=1
	s_or_b64 exec, exec, s[2:3]
	v_and_b32_sdwa v17, v17, s21 dst_sel:DWORD dst_unused:UNUSED_PAD src0_sel:BYTE_3 src1_sel:DWORD
	v_and_or_b32 v2, v2, s22, v17
	v_and_b32_sdwa v15, v15, s21 dst_sel:DWORD dst_unused:UNUSED_PAD src0_sel:BYTE_3 src1_sel:DWORD
	v_lshlrev_b32_e32 v16, 24, v16
	v_and_b32_e32 v3, 0x80000000, v3
	v_lshlrev_b32_e32 v2, 16, v2
	v_lshrrev_b32_e32 v18, 24, v6
	v_lshlrev_b64 v[6:7], 2, v[0:1]
	v_or3_b32 v2, v3, v16, v2
	v_and_or_b32 v3, v4, s22, v15
	v_and_b32_e32 v4, 0xff, v5
	v_mov_b32_e32 v19, s13
	v_add_co_u32_e32 v6, vcc, s12, v6
	v_lshlrev_b32_e32 v3, 8, v3
	v_and_or_b32 v4, v18, s21, v4
	v_addc_co_u32_e32 v7, vcc, v19, v7, vcc
	v_or3_b32 v2, v2, v3, v4
	global_store_dword v[6:7], v2, off
	v_add_u32_e32 v2, s52, v0
	v_cmp_gt_u32_e32 vcc, s51, v2
	s_mov_b64 s[4:5], -1
	s_and_saveexec_b64 s[2:3], vcc
	s_cbranch_execz .LBB12_78
; %bb.104:                              ;   in Loop: Header=BB12_79 Depth=1
	v_mov_b32_e32 v3, v1
	v_lshlrev_b64 v[4:5], 3, v[2:3]
	v_mov_b32_e32 v7, s48
	v_add_co_u32_e32 v6, vcc, s33, v4
	v_addc_co_u32_e32 v7, vcc, v7, v5, vcc
	global_load_dwordx2 v[16:17], v[6:7], off
	v_mov_b32_e32 v7, s50
	v_add_co_u32_e32 v20, vcc, s49, v4
	v_addc_co_u32_e32 v21, vcc, v7, v5, vcc
	global_load_dwordx2 v[18:19], v[20:21], off
	v_mov_b32_e32 v6, s31
	v_add_co_u32_e32 v4, vcc, s30, v4
	v_addc_co_u32_e32 v5, vcc, v6, v5, vcc
	global_load_dwordx2 v[4:5], v[4:5], off
	v_mov_b32_e32 v6, 0x7f
	s_waitcnt vmcnt(2)
	v_and_b32_e32 v7, 0xffff0000, v16
	v_lshlrev_b32_e32 v15, 16, v16
	v_alignbit_b32 v16, v17, v16, 16
	v_and_b32_e32 v22, 0xffff0000, v17
	v_and_b32_e32 v25, 0xffff0000, v16
	s_waitcnt vmcnt(1)
	v_and_b32_e32 v17, 0xffff0000, v18
	v_lshlrev_b32_e32 v23, 16, v18
	v_alignbit_b32 v18, v19, v18, 16
	v_and_b32_e32 v19, 0xffff0000, v19
	v_add_f32_e32 v16, v22, v19
	v_add_f32_e32 v17, v7, v17
	v_bfe_u32 v22, v16, 16, 1
	v_add_f32_e32 v15, v15, v23
	v_and_b32_e32 v7, 0xffff0000, v18
	v_bfe_u32 v19, v17, 16, 1
	v_add3_u32 v22, v16, v22, s16
	v_add_f32_e32 v18, v25, v7
	v_bfe_u32 v7, v15, 16, 1
	v_add3_u32 v19, v17, v19, s16
	v_and_b32_e32 v22, 0xffff0000, v22
	v_cmp_o_f32_e32 vcc, v16, v16
	v_mul_f32_e32 v23, v8, v15
	v_add3_u32 v7, v15, v7, s16
	v_bfe_u32 v25, v18, 16, 1
	v_and_b32_e32 v19, 0xffff0000, v19
	v_cndmask_b32_e32 v22, v13, v22, vcc
	v_cmp_o_f32_e32 vcc, v17, v17
	v_bfe_u32 v26, v23, 16, 1
	v_lshrrev_b32_e32 v7, 16, v7
	v_add3_u32 v25, v18, v25, s16
	v_cndmask_b32_e32 v19, v13, v19, vcc
	v_cmp_o_f32_e32 vcc, v15, v15
	v_add3_u32 v26, v23, v26, s16
	v_lshrrev_b32_e32 v25, 16, v25
	v_cndmask_b32_e32 v7, v14, v7, vcc
	v_cmp_o_f32_e32 vcc, v18, v18
	v_and_b32_e32 v15, 0xffff0000, v26
	v_cndmask_b32_e32 v25, v14, v25, vcc
	v_cmp_o_f32_e32 vcc, v23, v23
	s_waitcnt vmcnt(0)
	v_lshlrev_b32_e32 v24, 16, v4
	v_or_b32_e32 v7, v7, v19
	v_cndmask_b32_e32 v15, v13, v15, vcc
	v_or3_b32 v23, 0, v25, v22
	v_or3_b32 v22, v7, 0, 0
	v_mul_f32_e32 v7, v15, v24
	v_bfe_u32 v15, v7, 16, 1
	v_add3_u32 v15, v7, v15, s16
	v_and_b32_e32 v15, 0xffff0000, v15
	v_cmp_o_f32_e32 vcc, v7, v7
	v_cndmask_b32_e32 v7, v13, v15, vcc
	v_div_scale_f32 v15, s[4:5], v9, v9, v7
	v_rcp_f32_e32 v19, v15
	global_store_dwordx2 v[20:21], v[22:23], off
	v_div_scale_f32 v20, vcc, v7, v9, v7
	v_fma_f32 v21, -v15, v19, 1.0
	v_fmac_f32_e32 v19, v21, v19
	v_mul_f32_e32 v21, v20, v19
	v_fma_f32 v22, -v15, v21, v20
	v_fmac_f32_e32 v21, v22, v19
	v_fma_f32 v15, -v15, v21, v20
	v_div_fmas_f32 v15, v15, v19, v21
	v_div_fixup_f32 v7, v15, v9, v7
	v_min_f32_e32 v7, 0x43e00000, v7
	v_max_f32_e32 v15, 0xc3e00000, v7
	v_and_b32_e32 v19, 0x7fffffff, v15
	v_cmp_gt_u32_e32 vcc, s17, v19
	v_mov_b32_e32 v7, 0x7f
	s_and_saveexec_b64 s[4:5], vcc
	s_cbranch_execz .LBB12_110
; %bb.105:                              ;   in Loop: Header=BB12_79 Depth=1
	v_cmp_lt_u32_e32 vcc, s18, v19
                                        ; implicit-def: $vgpr7
	s_and_saveexec_b64 s[6:7], vcc
	s_xor_b64 s[6:7], exec, s[6:7]
; %bb.106:                              ;   in Loop: Header=BB12_79 Depth=1
	v_bfe_u32 v7, v15, 20, 1
	v_add3_u32 v7, v15, v7, s19
	v_lshrrev_b32_e32 v7, 20, v7
; %bb.107:                              ;   in Loop: Header=BB12_79 Depth=1
	s_andn2_saveexec_b64 s[6:7], s[6:7]
; %bb.108:                              ;   in Loop: Header=BB12_79 Depth=1
	v_add_f32_e64 v7, |v15|, s20
; %bb.109:                              ;   in Loop: Header=BB12_79 Depth=1
	s_or_b64 exec, exec, s[6:7]
.LBB12_110:                             ;   in Loop: Header=BB12_79 Depth=1
	s_or_b64 exec, exec, s[4:5]
	v_mul_f32_e32 v17, v8, v17
	v_bfe_u32 v20, v17, 16, 1
	v_add3_u32 v20, v17, v20, s16
	v_and_b32_e32 v20, 0xffff0000, v20
	v_cmp_o_f32_e32 vcc, v17, v17
	v_and_b32_e32 v19, 0xffff0000, v4
	v_cndmask_b32_e32 v17, v13, v20, vcc
	v_mul_f32_e32 v17, v17, v19
	v_bfe_u32 v19, v17, 16, 1
	v_add3_u32 v19, v17, v19, s16
	v_and_b32_e32 v19, 0xffff0000, v19
	v_cmp_o_f32_e32 vcc, v17, v17
	v_cndmask_b32_e32 v17, v13, v19, vcc
	v_div_scale_f32 v19, s[4:5], v9, v9, v17
	v_rcp_f32_e32 v20, v19
	v_fma_f32 v21, -v19, v20, 1.0
	v_fmac_f32_e32 v20, v21, v20
	v_div_scale_f32 v21, vcc, v17, v9, v17
	v_mul_f32_e32 v22, v21, v20
	v_fma_f32 v23, -v19, v22, v21
	v_fmac_f32_e32 v22, v23, v20
	v_fma_f32 v19, -v19, v22, v21
	v_div_fmas_f32 v19, v19, v20, v22
	v_div_fixup_f32 v17, v19, v9, v17
	v_min_f32_e32 v17, 0x43e00000, v17
	v_max_f32_e32 v17, 0xc3e00000, v17
	v_and_b32_e32 v19, 0x7fffffff, v17
	v_cmp_gt_u32_e32 vcc, s17, v19
	s_and_saveexec_b64 s[4:5], vcc
	s_cbranch_execz .LBB12_116
; %bb.111:                              ;   in Loop: Header=BB12_79 Depth=1
	v_cmp_lt_u32_e32 vcc, s18, v19
                                        ; implicit-def: $vgpr6
	s_and_saveexec_b64 s[6:7], vcc
	s_xor_b64 s[6:7], exec, s[6:7]
; %bb.112:                              ;   in Loop: Header=BB12_79 Depth=1
	v_bfe_u32 v6, v17, 20, 1
	v_add3_u32 v6, v17, v6, s19
	v_lshrrev_b32_e32 v6, 20, v6
; %bb.113:                              ;   in Loop: Header=BB12_79 Depth=1
	s_andn2_saveexec_b64 s[6:7], s[6:7]
; %bb.114:                              ;   in Loop: Header=BB12_79 Depth=1
	v_add_f32_e64 v6, |v17|, s20
; %bb.115:                              ;   in Loop: Header=BB12_79 Depth=1
	s_or_b64 exec, exec, s[6:7]
.LBB12_116:                             ;   in Loop: Header=BB12_79 Depth=1
	s_or_b64 exec, exec, s[4:5]
	v_mul_f32_e32 v18, v8, v18
	v_bfe_u32 v19, v18, 16, 1
	v_add3_u32 v19, v18, v19, s16
	v_and_b32_e32 v19, 0xffff0000, v19
	v_cmp_o_f32_e32 vcc, v18, v18
	v_alignbit_b32 v4, v5, v4, 16
	v_cndmask_b32_e32 v18, v13, v19, vcc
	v_and_b32_e32 v4, 0xffff0000, v4
	v_mul_f32_e32 v4, v18, v4
	v_bfe_u32 v18, v4, 16, 1
	v_add3_u32 v18, v4, v18, s16
	v_and_b32_e32 v18, 0xffff0000, v18
	v_cmp_o_f32_e32 vcc, v4, v4
	v_cndmask_b32_e32 v4, v13, v18, vcc
	v_div_scale_f32 v18, s[4:5], v9, v9, v4
	v_rcp_f32_e32 v19, v18
	v_fma_f32 v20, -v18, v19, 1.0
	v_fmac_f32_e32 v19, v20, v19
	v_div_scale_f32 v20, vcc, v4, v9, v4
	v_mul_f32_e32 v21, v20, v19
	v_fma_f32 v22, -v18, v21, v20
	v_fmac_f32_e32 v21, v22, v19
	v_fma_f32 v18, -v18, v21, v20
	v_div_fmas_f32 v18, v18, v19, v21
	v_div_fixup_f32 v4, v18, v9, v4
	v_min_f32_e32 v4, 0x43e00000, v4
	v_max_f32_e32 v19, 0xc3e00000, v4
	v_and_b32_e32 v20, 0x7fffffff, v19
	v_cmp_gt_u32_e32 vcc, s17, v20
	v_mov_b32_e32 v18, 0x7f
	v_mov_b32_e32 v4, 0x7f
	s_and_saveexec_b64 s[4:5], vcc
	s_cbranch_execz .LBB12_122
; %bb.117:                              ;   in Loop: Header=BB12_79 Depth=1
	v_cmp_lt_u32_e32 vcc, s18, v20
                                        ; implicit-def: $vgpr4
	s_and_saveexec_b64 s[6:7], vcc
	s_xor_b64 s[6:7], exec, s[6:7]
; %bb.118:                              ;   in Loop: Header=BB12_79 Depth=1
	v_bfe_u32 v4, v19, 20, 1
	v_add3_u32 v4, v19, v4, s19
	v_lshrrev_b32_e32 v4, 20, v4
; %bb.119:                              ;   in Loop: Header=BB12_79 Depth=1
	s_andn2_saveexec_b64 s[6:7], s[6:7]
; %bb.120:                              ;   in Loop: Header=BB12_79 Depth=1
	v_add_f32_e64 v4, |v19|, s20
; %bb.121:                              ;   in Loop: Header=BB12_79 Depth=1
	s_or_b64 exec, exec, s[6:7]
.LBB12_122:                             ;   in Loop: Header=BB12_79 Depth=1
	s_or_b64 exec, exec, s[4:5]
	v_mul_f32_e32 v16, v8, v16
	v_bfe_u32 v20, v16, 16, 1
	v_add3_u32 v20, v16, v20, s16
	v_and_b32_e32 v20, 0xffff0000, v20
	v_cmp_o_f32_e32 vcc, v16, v16
	v_cndmask_b32_e32 v16, v13, v20, vcc
	v_and_b32_e32 v5, 0xffff0000, v5
	v_mul_f32_e32 v5, v16, v5
	v_bfe_u32 v16, v5, 16, 1
	v_add3_u32 v16, v5, v16, s16
	v_and_b32_e32 v16, 0xffff0000, v16
	v_cmp_o_f32_e32 vcc, v5, v5
	v_cndmask_b32_e32 v5, v13, v16, vcc
	v_div_scale_f32 v16, s[4:5], v9, v9, v5
	v_rcp_f32_e32 v20, v16
	v_fma_f32 v21, -v16, v20, 1.0
	v_fmac_f32_e32 v20, v21, v20
	v_div_scale_f32 v21, vcc, v5, v9, v5
	v_mul_f32_e32 v22, v21, v20
	v_fma_f32 v23, -v16, v22, v21
	v_fmac_f32_e32 v22, v23, v20
	v_fma_f32 v16, -v16, v22, v21
	v_div_fmas_f32 v16, v16, v20, v22
	v_div_fixup_f32 v5, v16, v9, v5
	v_min_f32_e32 v5, 0x43e00000, v5
	v_max_f32_e32 v5, 0xc3e00000, v5
	v_and_b32_e32 v16, 0x7fffffff, v5
	v_cmp_gt_u32_e32 vcc, s17, v16
	s_and_saveexec_b64 s[4:5], vcc
	s_cbranch_execz .LBB12_128
; %bb.123:                              ;   in Loop: Header=BB12_79 Depth=1
	v_cmp_lt_u32_e32 vcc, s18, v16
                                        ; implicit-def: $vgpr18
	s_and_saveexec_b64 s[6:7], vcc
	s_xor_b64 s[6:7], exec, s[6:7]
; %bb.124:                              ;   in Loop: Header=BB12_79 Depth=1
	v_bfe_u32 v16, v5, 20, 1
	v_add3_u32 v16, v5, v16, s19
	v_lshrrev_b32_e32 v18, 20, v16
; %bb.125:                              ;   in Loop: Header=BB12_79 Depth=1
	s_andn2_saveexec_b64 s[6:7], s[6:7]
; %bb.126:                              ;   in Loop: Header=BB12_79 Depth=1
	v_add_f32_e64 v18, |v5|, s20
; %bb.127:                              ;   in Loop: Header=BB12_79 Depth=1
	s_or_b64 exec, exec, s[6:7]
.LBB12_128:                             ;   in Loop: Header=BB12_79 Depth=1
	s_or_b64 exec, exec, s[4:5]
	v_and_b32_sdwa v19, v19, s21 dst_sel:DWORD dst_unused:UNUSED_PAD src0_sel:BYTE_3 src1_sel:DWORD
	v_and_b32_sdwa v20, v17, s21 dst_sel:DWORD dst_unused:UNUSED_PAD src0_sel:BYTE_3 src1_sel:DWORD
	v_lshlrev_b64 v[16:17], 2, v[2:3]
	v_mov_b32_e32 v3, s13
	v_add_co_u32_e32 v16, vcc, s12, v16
	v_and_or_b32 v4, v4, s22, v19
	v_addc_co_u32_e32 v17, vcc, v3, v17, vcc
	v_lshlrev_b32_e32 v3, 24, v18
	v_and_b32_e32 v5, 0x80000000, v5
	v_lshlrev_b32_e32 v4, 16, v4
	v_lshrrev_b32_e32 v15, 24, v15
	v_or3_b32 v3, v5, v3, v4
	v_and_or_b32 v4, v6, s22, v20
	v_and_b32_e32 v5, 0xff, v7
	v_lshlrev_b32_e32 v4, 8, v4
	v_and_or_b32 v5, v15, s21, v5
	v_or3_b32 v3, v3, v4, v5
	v_add_u32_e32 v4, s15, v0
	v_cmp_gt_u32_e32 vcc, s51, v4
	s_mov_b64 s[6:7], -1
	global_store_dword v[16:17], v3, off
	s_and_saveexec_b64 s[4:5], vcc
	s_cbranch_execz .LBB12_77
; %bb.129:                              ;   in Loop: Header=BB12_79 Depth=1
	v_mov_b32_e32 v5, v1
	v_lshlrev_b64 v[6:7], 3, v[4:5]
	v_mov_b32_e32 v3, s48
	v_add_co_u32_e32 v16, vcc, s33, v6
	v_addc_co_u32_e32 v17, vcc, v3, v7, vcc
	v_mov_b32_e32 v15, s50
	v_add_co_u32_e32 v20, vcc, s49, v6
	v_addc_co_u32_e32 v21, vcc, v15, v7, vcc
	global_load_dwordx2 v[16:17], v[16:17], off
	v_mov_b32_e32 v3, s31
	global_load_dwordx2 v[18:19], v[20:21], off
	v_add_co_u32_e32 v6, vcc, s30, v6
	v_addc_co_u32_e32 v7, vcc, v3, v7, vcc
	global_load_dwordx2 v[6:7], v[6:7], off
	v_mov_b32_e32 v3, 0x7f
	s_waitcnt vmcnt(2)
	v_and_b32_e32 v15, 0xffff0000, v16
	v_lshlrev_b32_e32 v22, 16, v16
	v_alignbit_b32 v16, v17, v16, 16
	v_and_b32_e32 v17, 0xffff0000, v17
	s_waitcnt vmcnt(1)
	v_alignbit_b32 v25, v19, v18, 16
	v_and_b32_e32 v19, 0xffff0000, v19
	v_and_b32_e32 v23, 0xffff0000, v18
	v_add_f32_e32 v17, v17, v19
	v_lshlrev_b32_e32 v24, 16, v18
	v_and_b32_e32 v16, 0xffff0000, v16
	v_add_f32_e32 v18, v15, v23
	v_and_b32_e32 v15, 0xffff0000, v25
	v_bfe_u32 v23, v17, 16, 1
	v_add_f32_e32 v22, v22, v24
	v_add_f32_e32 v19, v16, v15
	v_bfe_u32 v16, v18, 16, 1
	v_add3_u32 v23, v17, v23, s16
	v_bfe_u32 v15, v22, 16, 1
	v_add3_u32 v16, v18, v16, s16
	v_and_b32_e32 v23, 0xffff0000, v23
	v_cmp_o_f32_e32 vcc, v17, v17
	v_mul_f32_e32 v24, v8, v22
	v_add3_u32 v15, v22, v15, s16
	v_bfe_u32 v25, v19, 16, 1
	v_and_b32_e32 v16, 0xffff0000, v16
	v_cndmask_b32_e32 v23, v13, v23, vcc
	v_cmp_o_f32_e32 vcc, v18, v18
	v_bfe_u32 v27, v24, 16, 1
	v_lshrrev_b32_e32 v15, 16, v15
	v_add3_u32 v25, v19, v25, s16
	v_cndmask_b32_e32 v16, v13, v16, vcc
	v_cmp_o_f32_e32 vcc, v22, v22
	v_add3_u32 v27, v24, v27, s16
	v_lshrrev_b32_e32 v25, 16, v25
	v_cndmask_b32_e32 v15, v14, v15, vcc
	v_cmp_o_f32_e32 vcc, v19, v19
	v_and_b32_e32 v22, 0xffff0000, v27
	v_cndmask_b32_e32 v25, v14, v25, vcc
	v_cmp_o_f32_e32 vcc, v24, v24
	s_waitcnt vmcnt(0)
	v_lshlrev_b32_e32 v26, 16, v6
	v_or_b32_e32 v15, v15, v16
	v_cndmask_b32_e32 v16, v13, v22, vcc
	v_or3_b32 v22, v15, 0, 0
	v_mul_f32_e32 v15, v16, v26
	v_bfe_u32 v16, v15, 16, 1
	v_add3_u32 v16, v15, v16, s16
	v_and_b32_e32 v16, 0xffff0000, v16
	v_cmp_o_f32_e32 vcc, v15, v15
	v_cndmask_b32_e32 v15, v13, v16, vcc
	v_div_scale_f32 v16, s[6:7], v9, v9, v15
	v_rcp_f32_e32 v24, v16
	v_or3_b32 v23, 0, v25, v23
	global_store_dwordx2 v[20:21], v[22:23], off
	v_div_scale_f32 v20, vcc, v15, v9, v15
	v_fma_f32 v21, -v16, v24, 1.0
	v_fmac_f32_e32 v24, v21, v24
	v_mul_f32_e32 v21, v20, v24
	v_fma_f32 v22, -v16, v21, v20
	v_fmac_f32_e32 v21, v22, v24
	v_fma_f32 v16, -v16, v21, v20
	v_div_fmas_f32 v16, v16, v24, v21
	v_div_fixup_f32 v15, v16, v9, v15
	v_min_f32_e32 v15, 0x43e00000, v15
	v_max_f32_e32 v16, 0xc3e00000, v15
	v_and_b32_e32 v20, 0x7fffffff, v16
	v_cmp_gt_u32_e32 vcc, s17, v20
	v_mov_b32_e32 v15, 0x7f
	s_and_saveexec_b64 s[6:7], vcc
	s_cbranch_execz .LBB12_135
; %bb.130:                              ;   in Loop: Header=BB12_79 Depth=1
	v_cmp_lt_u32_e32 vcc, s18, v20
                                        ; implicit-def: $vgpr15
	s_and_saveexec_b64 s[8:9], vcc
	s_xor_b64 s[8:9], exec, s[8:9]
; %bb.131:                              ;   in Loop: Header=BB12_79 Depth=1
	v_bfe_u32 v15, v16, 20, 1
	v_add3_u32 v15, v16, v15, s19
	v_lshrrev_b32_e32 v15, 20, v15
; %bb.132:                              ;   in Loop: Header=BB12_79 Depth=1
	s_andn2_saveexec_b64 s[8:9], s[8:9]
; %bb.133:                              ;   in Loop: Header=BB12_79 Depth=1
	v_add_f32_e64 v15, |v16|, s20
; %bb.134:                              ;   in Loop: Header=BB12_79 Depth=1
	s_or_b64 exec, exec, s[8:9]
.LBB12_135:                             ;   in Loop: Header=BB12_79 Depth=1
	s_or_b64 exec, exec, s[6:7]
	v_mul_f32_e32 v18, v8, v18
	v_bfe_u32 v21, v18, 16, 1
	v_add3_u32 v21, v18, v21, s16
	v_and_b32_e32 v21, 0xffff0000, v21
	v_cmp_o_f32_e32 vcc, v18, v18
	v_and_b32_e32 v20, 0xffff0000, v6
	v_cndmask_b32_e32 v18, v13, v21, vcc
	v_mul_f32_e32 v18, v18, v20
	v_bfe_u32 v20, v18, 16, 1
	v_add3_u32 v20, v18, v20, s16
	v_and_b32_e32 v20, 0xffff0000, v20
	v_cmp_o_f32_e32 vcc, v18, v18
	v_cndmask_b32_e32 v18, v13, v20, vcc
	v_div_scale_f32 v20, s[6:7], v9, v9, v18
	v_rcp_f32_e32 v21, v20
	v_fma_f32 v22, -v20, v21, 1.0
	v_fmac_f32_e32 v21, v22, v21
	v_div_scale_f32 v22, vcc, v18, v9, v18
	v_mul_f32_e32 v23, v22, v21
	v_fma_f32 v24, -v20, v23, v22
	v_fmac_f32_e32 v23, v24, v21
	v_fma_f32 v20, -v20, v23, v22
	v_div_fmas_f32 v20, v20, v21, v23
	v_div_fixup_f32 v18, v20, v9, v18
	v_min_f32_e32 v18, 0x43e00000, v18
	v_max_f32_e32 v18, 0xc3e00000, v18
	v_and_b32_e32 v20, 0x7fffffff, v18
	v_cmp_gt_u32_e32 vcc, s17, v20
	s_and_saveexec_b64 s[6:7], vcc
	s_cbranch_execz .LBB12_141
; %bb.136:                              ;   in Loop: Header=BB12_79 Depth=1
	v_cmp_lt_u32_e32 vcc, s18, v20
                                        ; implicit-def: $vgpr3
	s_and_saveexec_b64 s[8:9], vcc
	s_xor_b64 s[8:9], exec, s[8:9]
; %bb.137:                              ;   in Loop: Header=BB12_79 Depth=1
	v_bfe_u32 v3, v18, 20, 1
	v_add3_u32 v3, v18, v3, s19
	v_lshrrev_b32_e32 v3, 20, v3
; %bb.138:                              ;   in Loop: Header=BB12_79 Depth=1
	s_andn2_saveexec_b64 s[8:9], s[8:9]
; %bb.139:                              ;   in Loop: Header=BB12_79 Depth=1
	v_add_f32_e64 v3, |v18|, s20
; %bb.140:                              ;   in Loop: Header=BB12_79 Depth=1
	s_or_b64 exec, exec, s[8:9]
.LBB12_141:                             ;   in Loop: Header=BB12_79 Depth=1
	s_or_b64 exec, exec, s[6:7]
	v_mul_f32_e32 v19, v8, v19
	v_bfe_u32 v20, v19, 16, 1
	v_add3_u32 v20, v19, v20, s16
	v_and_b32_e32 v20, 0xffff0000, v20
	v_cmp_o_f32_e32 vcc, v19, v19
	v_alignbit_b32 v6, v7, v6, 16
	v_cndmask_b32_e32 v19, v13, v20, vcc
	v_and_b32_e32 v6, 0xffff0000, v6
	v_mul_f32_e32 v6, v19, v6
	v_bfe_u32 v19, v6, 16, 1
	v_add3_u32 v19, v6, v19, s16
	v_and_b32_e32 v19, 0xffff0000, v19
	v_cmp_o_f32_e32 vcc, v6, v6
	v_cndmask_b32_e32 v6, v13, v19, vcc
	v_div_scale_f32 v19, s[6:7], v9, v9, v6
	v_rcp_f32_e32 v20, v19
	v_fma_f32 v21, -v19, v20, 1.0
	v_fmac_f32_e32 v20, v21, v20
	v_div_scale_f32 v21, vcc, v6, v9, v6
	v_mul_f32_e32 v22, v21, v20
	v_fma_f32 v23, -v19, v22, v21
	v_fmac_f32_e32 v22, v23, v20
	v_fma_f32 v19, -v19, v22, v21
	v_div_fmas_f32 v19, v19, v20, v22
	v_div_fixup_f32 v6, v19, v9, v6
	v_min_f32_e32 v6, 0x43e00000, v6
	v_max_f32_e32 v20, 0xc3e00000, v6
	v_and_b32_e32 v21, 0x7fffffff, v20
	v_cmp_gt_u32_e32 vcc, s17, v21
	v_mov_b32_e32 v19, 0x7f
	v_mov_b32_e32 v6, 0x7f
	s_and_saveexec_b64 s[6:7], vcc
	s_cbranch_execz .LBB12_147
; %bb.142:                              ;   in Loop: Header=BB12_79 Depth=1
	v_cmp_lt_u32_e32 vcc, s18, v21
                                        ; implicit-def: $vgpr6
	s_and_saveexec_b64 s[8:9], vcc
	s_xor_b64 s[8:9], exec, s[8:9]
; %bb.143:                              ;   in Loop: Header=BB12_79 Depth=1
	v_bfe_u32 v6, v20, 20, 1
	v_add3_u32 v6, v20, v6, s19
	v_lshrrev_b32_e32 v6, 20, v6
; %bb.144:                              ;   in Loop: Header=BB12_79 Depth=1
	s_andn2_saveexec_b64 s[8:9], s[8:9]
; %bb.145:                              ;   in Loop: Header=BB12_79 Depth=1
	v_add_f32_e64 v6, |v20|, s20
; %bb.146:                              ;   in Loop: Header=BB12_79 Depth=1
	s_or_b64 exec, exec, s[8:9]
.LBB12_147:                             ;   in Loop: Header=BB12_79 Depth=1
	s_or_b64 exec, exec, s[6:7]
	v_mul_f32_e32 v17, v8, v17
	v_bfe_u32 v21, v17, 16, 1
	v_add3_u32 v21, v17, v21, s16
	v_and_b32_e32 v21, 0xffff0000, v21
	v_cmp_o_f32_e32 vcc, v17, v17
	v_cndmask_b32_e32 v17, v13, v21, vcc
	v_and_b32_e32 v7, 0xffff0000, v7
	v_mul_f32_e32 v7, v17, v7
	v_bfe_u32 v17, v7, 16, 1
	v_add3_u32 v17, v7, v17, s16
	v_and_b32_e32 v17, 0xffff0000, v17
	v_cmp_o_f32_e32 vcc, v7, v7
	v_cndmask_b32_e32 v7, v13, v17, vcc
	v_div_scale_f32 v17, s[6:7], v9, v9, v7
	v_rcp_f32_e32 v21, v17
	v_fma_f32 v22, -v17, v21, 1.0
	v_fmac_f32_e32 v21, v22, v21
	v_div_scale_f32 v22, vcc, v7, v9, v7
	v_mul_f32_e32 v23, v22, v21
	v_fma_f32 v24, -v17, v23, v22
	v_fmac_f32_e32 v23, v24, v21
	v_fma_f32 v17, -v17, v23, v22
	v_div_fmas_f32 v17, v17, v21, v23
	v_div_fixup_f32 v7, v17, v9, v7
	v_min_f32_e32 v7, 0x43e00000, v7
	v_max_f32_e32 v7, 0xc3e00000, v7
	v_and_b32_e32 v17, 0x7fffffff, v7
	v_cmp_gt_u32_e32 vcc, s17, v17
	s_and_saveexec_b64 s[6:7], vcc
	s_cbranch_execz .LBB12_153
; %bb.148:                              ;   in Loop: Header=BB12_79 Depth=1
	v_cmp_lt_u32_e32 vcc, s18, v17
                                        ; implicit-def: $vgpr19
	s_and_saveexec_b64 s[8:9], vcc
	s_xor_b64 s[8:9], exec, s[8:9]
; %bb.149:                              ;   in Loop: Header=BB12_79 Depth=1
	v_bfe_u32 v17, v7, 20, 1
	v_add3_u32 v17, v7, v17, s19
	v_lshrrev_b32_e32 v19, 20, v17
; %bb.150:                              ;   in Loop: Header=BB12_79 Depth=1
	s_andn2_saveexec_b64 s[8:9], s[8:9]
; %bb.151:                              ;   in Loop: Header=BB12_79 Depth=1
	v_add_f32_e64 v19, |v7|, s20
; %bb.152:                              ;   in Loop: Header=BB12_79 Depth=1
	s_or_b64 exec, exec, s[8:9]
.LBB12_153:                             ;   in Loop: Header=BB12_79 Depth=1
	s_or_b64 exec, exec, s[6:7]
	v_and_b32_sdwa v17, v20, s21 dst_sel:DWORD dst_unused:UNUSED_PAD src0_sel:BYTE_3 src1_sel:DWORD
	v_and_or_b32 v6, v6, s22, v17
	v_and_b32_sdwa v18, v18, s21 dst_sel:DWORD dst_unused:UNUSED_PAD src0_sel:BYTE_3 src1_sel:DWORD
	v_lshlrev_b64 v[4:5], 2, v[4:5]
	v_lshlrev_b32_e32 v19, 24, v19
	v_and_b32_e32 v7, 0x80000000, v7
	v_lshlrev_b32_e32 v6, 16, v6
	v_lshrrev_b32_e32 v16, 24, v16
	v_mov_b32_e32 v20, s13
	v_add_co_u32_e32 v4, vcc, s12, v4
	v_or3_b32 v6, v7, v19, v6
	v_and_or_b32 v3, v3, s22, v18
	v_and_b32_e32 v7, 0xff, v15
	v_addc_co_u32_e32 v5, vcc, v20, v5, vcc
	v_lshlrev_b32_e32 v3, 8, v3
	v_and_or_b32 v7, v16, s21, v7
	v_add_u32_e32 v0, s14, v0
	v_or3_b32 v3, v6, v3, v7
	v_cmp_gt_u32_e32 vcc, s51, v0
	s_mov_b64 s[8:9], -1
	global_store_dword v[4:5], v3, off
	s_and_saveexec_b64 s[6:7], vcc
	s_cbranch_execz .LBB12_76
; %bb.154:                              ;   in Loop: Header=BB12_79 Depth=1
	v_lshlrev_b64 v[4:5], 3, v[0:1]
	v_mov_b32_e32 v3, s48
	v_add_co_u32_e32 v6, vcc, s33, v4
	v_addc_co_u32_e32 v7, vcc, v3, v5, vcc
	v_mov_b32_e32 v15, s50
	v_add_co_u32_e32 v18, vcc, s49, v4
	v_addc_co_u32_e32 v19, vcc, v15, v5, vcc
	global_load_dwordx2 v[6:7], v[6:7], off
	v_mov_b32_e32 v3, s31
	global_load_dwordx2 v[16:17], v[18:19], off
	v_add_co_u32_e32 v4, vcc, s30, v4
	v_addc_co_u32_e32 v5, vcc, v3, v5, vcc
	global_load_dwordx2 v[4:5], v[4:5], off
	v_mov_b32_e32 v3, 0x7f
	s_waitcnt vmcnt(2)
	v_and_b32_e32 v15, 0xffff0000, v6
	v_lshlrev_b32_e32 v20, 16, v6
	v_alignbit_b32 v6, v7, v6, 16
	v_and_b32_e32 v7, 0xffff0000, v7
	s_waitcnt vmcnt(1)
	v_and_b32_e32 v21, 0xffff0000, v16
	v_alignbit_b32 v23, v17, v16, 16
	v_and_b32_e32 v17, 0xffff0000, v17
	v_lshlrev_b32_e32 v22, 16, v16
	v_and_b32_e32 v6, 0xffff0000, v6
	v_add_f32_e32 v16, v15, v21
	v_and_b32_e32 v21, 0xffff0000, v23
	v_add_f32_e32 v15, v7, v17
	v_add_f32_e32 v17, v6, v21
	v_bfe_u32 v21, v15, 16, 1
	v_add_f32_e32 v20, v20, v22
	v_bfe_u32 v7, v16, 16, 1
	v_add3_u32 v21, v15, v21, s16
	v_bfe_u32 v6, v20, 16, 1
	v_add3_u32 v7, v16, v7, s16
	v_and_b32_e32 v21, 0xffff0000, v21
	v_cmp_o_f32_e32 vcc, v15, v15
	v_mul_f32_e32 v22, v8, v20
	v_add3_u32 v6, v20, v6, s16
	v_bfe_u32 v23, v17, 16, 1
	v_and_b32_e32 v7, 0xffff0000, v7
	v_cndmask_b32_e32 v21, v13, v21, vcc
	v_cmp_o_f32_e32 vcc, v16, v16
	v_bfe_u32 v25, v22, 16, 1
	v_lshrrev_b32_e32 v6, 16, v6
	v_add3_u32 v23, v17, v23, s16
	v_cndmask_b32_e32 v7, v13, v7, vcc
	v_cmp_o_f32_e32 vcc, v20, v20
	v_add3_u32 v25, v22, v25, s16
	v_lshrrev_b32_e32 v23, 16, v23
	v_cndmask_b32_e32 v6, v14, v6, vcc
	v_cmp_o_f32_e32 vcc, v17, v17
	v_and_b32_e32 v20, 0xffff0000, v25
	v_cndmask_b32_e32 v23, v14, v23, vcc
	v_cmp_o_f32_e32 vcc, v22, v22
	s_waitcnt vmcnt(0)
	v_lshlrev_b32_e32 v24, 16, v4
	v_cndmask_b32_e32 v20, v13, v20, vcc
	v_mul_f32_e32 v20, v20, v24
	v_or_b32_e32 v6, v6, v7
	v_or3_b32 v7, 0, v23, v21
	v_bfe_u32 v21, v20, 16, 1
	v_add3_u32 v21, v20, v21, s16
	v_and_b32_e32 v21, 0xffff0000, v21
	v_cmp_o_f32_e32 vcc, v20, v20
	v_cndmask_b32_e32 v20, v13, v21, vcc
	v_div_scale_f32 v21, s[8:9], v9, v9, v20
	v_rcp_f32_e32 v22, v21
	v_or3_b32 v6, v6, 0, 0
	global_store_dwordx2 v[18:19], v[6:7], off
	v_div_scale_f32 v6, vcc, v20, v9, v20
	v_fma_f32 v7, -v21, v22, 1.0
	v_fmac_f32_e32 v22, v7, v22
	v_mul_f32_e32 v7, v6, v22
	v_fma_f32 v18, -v21, v7, v6
	v_fmac_f32_e32 v7, v18, v22
	v_fma_f32 v6, -v21, v7, v6
	v_div_fmas_f32 v6, v6, v22, v7
	v_div_fixup_f32 v6, v6, v9, v20
	v_min_f32_e32 v6, 0x43e00000, v6
	v_max_f32_e32 v7, 0xc3e00000, v6
	v_and_b32_e32 v18, 0x7fffffff, v7
	v_cmp_gt_u32_e32 vcc, s17, v18
	v_mov_b32_e32 v6, 0x7f
	s_and_saveexec_b64 s[8:9], vcc
	s_cbranch_execz .LBB12_160
; %bb.155:                              ;   in Loop: Header=BB12_79 Depth=1
	v_cmp_lt_u32_e32 vcc, s18, v18
                                        ; implicit-def: $vgpr6
	s_and_saveexec_b64 s[10:11], vcc
	s_xor_b64 s[10:11], exec, s[10:11]
; %bb.156:                              ;   in Loop: Header=BB12_79 Depth=1
	v_bfe_u32 v6, v7, 20, 1
	v_add3_u32 v6, v7, v6, s19
	v_lshrrev_b32_e32 v6, 20, v6
; %bb.157:                              ;   in Loop: Header=BB12_79 Depth=1
	s_andn2_saveexec_b64 s[10:11], s[10:11]
; %bb.158:                              ;   in Loop: Header=BB12_79 Depth=1
	v_add_f32_e64 v6, |v7|, s20
; %bb.159:                              ;   in Loop: Header=BB12_79 Depth=1
	s_or_b64 exec, exec, s[10:11]
.LBB12_160:                             ;   in Loop: Header=BB12_79 Depth=1
	s_or_b64 exec, exec, s[8:9]
	v_mul_f32_e32 v16, v8, v16
	v_bfe_u32 v19, v16, 16, 1
	v_add3_u32 v19, v16, v19, s16
	v_and_b32_e32 v19, 0xffff0000, v19
	v_cmp_o_f32_e32 vcc, v16, v16
	v_and_b32_e32 v18, 0xffff0000, v4
	v_cndmask_b32_e32 v16, v13, v19, vcc
	v_mul_f32_e32 v16, v16, v18
	v_bfe_u32 v18, v16, 16, 1
	v_add3_u32 v18, v16, v18, s16
	v_and_b32_e32 v18, 0xffff0000, v18
	v_cmp_o_f32_e32 vcc, v16, v16
	v_cndmask_b32_e32 v16, v13, v18, vcc
	v_div_scale_f32 v18, s[8:9], v9, v9, v16
	v_rcp_f32_e32 v19, v18
	v_fma_f32 v20, -v18, v19, 1.0
	v_fmac_f32_e32 v19, v20, v19
	v_div_scale_f32 v20, vcc, v16, v9, v16
	v_mul_f32_e32 v21, v20, v19
	v_fma_f32 v22, -v18, v21, v20
	v_fmac_f32_e32 v21, v22, v19
	v_fma_f32 v18, -v18, v21, v20
	v_div_fmas_f32 v18, v18, v19, v21
	v_div_fixup_f32 v16, v18, v9, v16
	v_min_f32_e32 v16, 0x43e00000, v16
	v_max_f32_e32 v16, 0xc3e00000, v16
	v_and_b32_e32 v18, 0x7fffffff, v16
	v_cmp_gt_u32_e32 vcc, s17, v18
	s_and_saveexec_b64 s[8:9], vcc
	s_cbranch_execz .LBB12_166
; %bb.161:                              ;   in Loop: Header=BB12_79 Depth=1
	v_cmp_lt_u32_e32 vcc, s18, v18
                                        ; implicit-def: $vgpr3
	s_and_saveexec_b64 s[10:11], vcc
	s_xor_b64 s[10:11], exec, s[10:11]
; %bb.162:                              ;   in Loop: Header=BB12_79 Depth=1
	v_bfe_u32 v3, v16, 20, 1
	v_add3_u32 v3, v16, v3, s19
	v_lshrrev_b32_e32 v3, 20, v3
; %bb.163:                              ;   in Loop: Header=BB12_79 Depth=1
	s_andn2_saveexec_b64 s[10:11], s[10:11]
; %bb.164:                              ;   in Loop: Header=BB12_79 Depth=1
	v_add_f32_e64 v3, |v16|, s20
; %bb.165:                              ;   in Loop: Header=BB12_79 Depth=1
	s_or_b64 exec, exec, s[10:11]
.LBB12_166:                             ;   in Loop: Header=BB12_79 Depth=1
	s_or_b64 exec, exec, s[8:9]
	v_mul_f32_e32 v17, v8, v17
	v_bfe_u32 v18, v17, 16, 1
	v_add3_u32 v18, v17, v18, s16
	v_and_b32_e32 v18, 0xffff0000, v18
	v_cmp_o_f32_e32 vcc, v17, v17
	v_alignbit_b32 v4, v5, v4, 16
	v_cndmask_b32_e32 v17, v13, v18, vcc
	v_and_b32_e32 v4, 0xffff0000, v4
	v_mul_f32_e32 v4, v17, v4
	v_bfe_u32 v17, v4, 16, 1
	v_add3_u32 v17, v4, v17, s16
	v_and_b32_e32 v17, 0xffff0000, v17
	v_cmp_o_f32_e32 vcc, v4, v4
	v_cndmask_b32_e32 v4, v13, v17, vcc
	v_div_scale_f32 v17, s[8:9], v9, v9, v4
	v_rcp_f32_e32 v18, v17
	v_fma_f32 v19, -v17, v18, 1.0
	v_fmac_f32_e32 v18, v19, v18
	v_div_scale_f32 v19, vcc, v4, v9, v4
	v_mul_f32_e32 v20, v19, v18
	v_fma_f32 v21, -v17, v20, v19
	v_fmac_f32_e32 v20, v21, v18
	v_fma_f32 v17, -v17, v20, v19
	v_div_fmas_f32 v17, v17, v18, v20
	v_div_fixup_f32 v4, v17, v9, v4
	v_min_f32_e32 v4, 0x43e00000, v4
	v_max_f32_e32 v18, 0xc3e00000, v4
	v_and_b32_e32 v19, 0x7fffffff, v18
	v_cmp_gt_u32_e32 vcc, s17, v19
	v_mov_b32_e32 v17, 0x7f
	v_mov_b32_e32 v4, 0x7f
	s_and_saveexec_b64 s[8:9], vcc
	s_cbranch_execz .LBB12_172
; %bb.167:                              ;   in Loop: Header=BB12_79 Depth=1
	v_cmp_lt_u32_e32 vcc, s18, v19
                                        ; implicit-def: $vgpr4
	s_and_saveexec_b64 s[10:11], vcc
	s_xor_b64 s[10:11], exec, s[10:11]
; %bb.168:                              ;   in Loop: Header=BB12_79 Depth=1
	v_bfe_u32 v4, v18, 20, 1
	v_add3_u32 v4, v18, v4, s19
	v_lshrrev_b32_e32 v4, 20, v4
; %bb.169:                              ;   in Loop: Header=BB12_79 Depth=1
	s_andn2_saveexec_b64 s[10:11], s[10:11]
; %bb.170:                              ;   in Loop: Header=BB12_79 Depth=1
	v_add_f32_e64 v4, |v18|, s20
; %bb.171:                              ;   in Loop: Header=BB12_79 Depth=1
	s_or_b64 exec, exec, s[10:11]
.LBB12_172:                             ;   in Loop: Header=BB12_79 Depth=1
	s_or_b64 exec, exec, s[8:9]
	v_mul_f32_e32 v15, v8, v15
	v_bfe_u32 v19, v15, 16, 1
	v_add3_u32 v19, v15, v19, s16
	v_and_b32_e32 v19, 0xffff0000, v19
	v_cmp_o_f32_e32 vcc, v15, v15
	v_cndmask_b32_e32 v15, v13, v19, vcc
	v_and_b32_e32 v5, 0xffff0000, v5
	v_mul_f32_e32 v5, v15, v5
	v_bfe_u32 v15, v5, 16, 1
	v_add3_u32 v15, v5, v15, s16
	v_and_b32_e32 v15, 0xffff0000, v15
	v_cmp_o_f32_e32 vcc, v5, v5
	v_cndmask_b32_e32 v5, v13, v15, vcc
	v_div_scale_f32 v15, s[8:9], v9, v9, v5
	v_rcp_f32_e32 v19, v15
	v_fma_f32 v20, -v15, v19, 1.0
	v_fmac_f32_e32 v19, v20, v19
	v_div_scale_f32 v20, vcc, v5, v9, v5
	v_mul_f32_e32 v21, v20, v19
	v_fma_f32 v22, -v15, v21, v20
	v_fmac_f32_e32 v21, v22, v19
	v_fma_f32 v15, -v15, v21, v20
	v_div_fmas_f32 v15, v15, v19, v21
	v_div_fixup_f32 v5, v15, v9, v5
	v_min_f32_e32 v5, 0x43e00000, v5
	v_max_f32_e32 v5, 0xc3e00000, v5
	v_and_b32_e32 v15, 0x7fffffff, v5
	v_cmp_gt_u32_e32 vcc, s17, v15
	s_and_saveexec_b64 s[8:9], vcc
	s_cbranch_execz .LBB12_75
; %bb.173:                              ;   in Loop: Header=BB12_79 Depth=1
	v_cmp_lt_u32_e32 vcc, s18, v15
                                        ; implicit-def: $vgpr17
	s_and_saveexec_b64 s[10:11], vcc
	s_xor_b64 s[10:11], exec, s[10:11]
; %bb.174:                              ;   in Loop: Header=BB12_79 Depth=1
	v_bfe_u32 v15, v5, 20, 1
	v_add3_u32 v15, v5, v15, s19
	v_lshrrev_b32_e32 v17, 20, v15
; %bb.175:                              ;   in Loop: Header=BB12_79 Depth=1
	s_andn2_saveexec_b64 s[10:11], s[10:11]
	s_cbranch_execz .LBB12_74
; %bb.176:                              ;   in Loop: Header=BB12_79 Depth=1
	v_add_f32_e64 v17, |v5|, s20
	s_branch .LBB12_74
.LBB12_177:
	s_endpgm
	.section	.rodata,"a",@progbits
	.p2align	6, 0x0
	.amdhsa_kernel _ZN4vllm39rms_norm_dynamic_per_token_quant_kernelIN3c108BFloat16ENS1_13Float8_e4m3fnELb1EEEvPT0_PfPKT_S9_PKffiiPS7_
		.amdhsa_group_segment_fixed_size 272
		.amdhsa_private_segment_fixed_size 0
		.amdhsa_kernarg_size 320
		.amdhsa_user_sgpr_count 6
		.amdhsa_user_sgpr_private_segment_buffer 1
		.amdhsa_user_sgpr_dispatch_ptr 0
		.amdhsa_user_sgpr_queue_ptr 0
		.amdhsa_user_sgpr_kernarg_segment_ptr 1
		.amdhsa_user_sgpr_dispatch_id 0
		.amdhsa_user_sgpr_flat_scratch_init 0
		.amdhsa_user_sgpr_kernarg_preload_length 0
		.amdhsa_user_sgpr_kernarg_preload_offset 0
		.amdhsa_user_sgpr_private_segment_size 0
		.amdhsa_uses_dynamic_stack 0
		.amdhsa_system_sgpr_private_segment_wavefront_offset 0
		.amdhsa_system_sgpr_workgroup_id_x 1
		.amdhsa_system_sgpr_workgroup_id_y 0
		.amdhsa_system_sgpr_workgroup_id_z 0
		.amdhsa_system_sgpr_workgroup_info 0
		.amdhsa_system_vgpr_workitem_id 0
		.amdhsa_next_free_vgpr 34
		.amdhsa_next_free_sgpr 57
		.amdhsa_accum_offset 36
		.amdhsa_reserve_vcc 1
		.amdhsa_reserve_flat_scratch 0
		.amdhsa_float_round_mode_32 0
		.amdhsa_float_round_mode_16_64 0
		.amdhsa_float_denorm_mode_32 3
		.amdhsa_float_denorm_mode_16_64 3
		.amdhsa_dx10_clamp 1
		.amdhsa_ieee_mode 1
		.amdhsa_fp16_overflow 0
		.amdhsa_tg_split 0
		.amdhsa_exception_fp_ieee_invalid_op 0
		.amdhsa_exception_fp_denorm_src 0
		.amdhsa_exception_fp_ieee_div_zero 0
		.amdhsa_exception_fp_ieee_overflow 0
		.amdhsa_exception_fp_ieee_underflow 0
		.amdhsa_exception_fp_ieee_inexact 0
		.amdhsa_exception_int_div_zero 0
	.end_amdhsa_kernel
	.section	.text._ZN4vllm39rms_norm_dynamic_per_token_quant_kernelIN3c108BFloat16ENS1_13Float8_e4m3fnELb1EEEvPT0_PfPKT_S9_PKffiiPS7_,"axG",@progbits,_ZN4vllm39rms_norm_dynamic_per_token_quant_kernelIN3c108BFloat16ENS1_13Float8_e4m3fnELb1EEEvPT0_PfPKT_S9_PKffiiPS7_,comdat
.Lfunc_end12:
	.size	_ZN4vllm39rms_norm_dynamic_per_token_quant_kernelIN3c108BFloat16ENS1_13Float8_e4m3fnELb1EEEvPT0_PfPKT_S9_PKffiiPS7_, .Lfunc_end12-_ZN4vllm39rms_norm_dynamic_per_token_quant_kernelIN3c108BFloat16ENS1_13Float8_e4m3fnELb1EEEvPT0_PfPKT_S9_PKffiiPS7_
                                        ; -- End function
	.section	.AMDGPU.csdata,"",@progbits
; Kernel info:
; codeLenInByte = 14052
; NumSgprs: 61
; NumVgprs: 34
; NumAgprs: 0
; TotalNumVgprs: 34
; ScratchSize: 0
; MemoryBound: 0
; FloatMode: 240
; IeeeMode: 1
; LDSByteSize: 272 bytes/workgroup (compile time only)
; SGPRBlocks: 7
; VGPRBlocks: 4
; NumSGPRsForWavesPerEU: 61
; NumVGPRsForWavesPerEU: 34
; AccumOffset: 36
; Occupancy: 8
; WaveLimiterHint : 0
; COMPUTE_PGM_RSRC2:SCRATCH_EN: 0
; COMPUTE_PGM_RSRC2:USER_SGPR: 6
; COMPUTE_PGM_RSRC2:TRAP_HANDLER: 0
; COMPUTE_PGM_RSRC2:TGID_X_EN: 1
; COMPUTE_PGM_RSRC2:TGID_Y_EN: 0
; COMPUTE_PGM_RSRC2:TGID_Z_EN: 0
; COMPUTE_PGM_RSRC2:TIDIG_COMP_CNT: 0
; COMPUTE_PGM_RSRC3_GFX90A:ACCUM_OFFSET: 8
; COMPUTE_PGM_RSRC3_GFX90A:TG_SPLIT: 0
	.section	.text._ZN4vllm39rms_norm_dynamic_per_token_quant_kernelIN3c108BFloat16ENS1_15Float8_e4m3fnuzELb1EEEvPT0_PfPKT_S9_PKffiiPS7_,"axG",@progbits,_ZN4vllm39rms_norm_dynamic_per_token_quant_kernelIN3c108BFloat16ENS1_15Float8_e4m3fnuzELb1EEEvPT0_PfPKT_S9_PKffiiPS7_,comdat
	.protected	_ZN4vllm39rms_norm_dynamic_per_token_quant_kernelIN3c108BFloat16ENS1_15Float8_e4m3fnuzELb1EEEvPT0_PfPKT_S9_PKffiiPS7_ ; -- Begin function _ZN4vllm39rms_norm_dynamic_per_token_quant_kernelIN3c108BFloat16ENS1_15Float8_e4m3fnuzELb1EEEvPT0_PfPKT_S9_PKffiiPS7_
	.globl	_ZN4vllm39rms_norm_dynamic_per_token_quant_kernelIN3c108BFloat16ENS1_15Float8_e4m3fnuzELb1EEEvPT0_PfPKT_S9_PKffiiPS7_
	.p2align	8
	.type	_ZN4vllm39rms_norm_dynamic_per_token_quant_kernelIN3c108BFloat16ENS1_15Float8_e4m3fnuzELb1EEEvPT0_PfPKT_S9_PKffiiPS7_,@function
_ZN4vllm39rms_norm_dynamic_per_token_quant_kernelIN3c108BFloat16ENS1_15Float8_e4m3fnuzELb1EEEvPT0_PfPKT_S9_PKffiiPS7_: ; @_ZN4vllm39rms_norm_dynamic_per_token_quant_kernelIN3c108BFloat16ENS1_15Float8_e4m3fnuzELb1EEEvPT0_PfPKT_S9_PKffiiPS7_
; %bb.0:
	s_load_dwordx4 s[36:39], s[4:5], 0x28
	s_load_dwordx2 s[34:35], s[4:5], 0x20
	s_load_dwordx8 s[24:31], s[4:5], 0x0
	s_load_dwordx2 s[22:23], s[4:5], 0x38
	s_waitcnt lgkmcnt(0)
	s_or_b32 s0, s38, s37
	s_and_b32 s0, s0, 3
	s_cmp_lg_u32 s0, 0
	s_cbranch_scc0 .LBB13_39
; %bb.1:
	v_cmp_gt_u32_e64 s[0:1], s37, v0
	v_cmp_le_u32_e64 s[2:3], s37, v0
                                        ; implicit-def: $sgpr7
                                        ; implicit-def: $sgpr10_sgpr11
	s_and_saveexec_b64 s[8:9], s[2:3]
	s_xor_b64 s[8:9], exec, s[8:9]
; %bb.2:
	s_add_u32 s10, s4, 64
	s_addc_u32 s11, s5, 0
	s_mov_b32 s7, 0
; %bb.3:
	s_or_saveexec_b64 s[8:9], s[8:9]
	v_mov_b32_e32 v6, s7
	v_pk_mov_b32 v[2:3], s[10:11], s[10:11] op_sel:[0,1]
	v_mov_b32_e32 v1, s6
	s_xor_b64 exec, exec, s[8:9]
	s_cbranch_execz .LBB13_7
; %bb.4:
	s_ashr_i32 s7, s37, 31
	s_mul_hi_u32 s10, s37, s6
	s_mul_i32 s7, s7, s6
	s_add_i32 s11, s10, s7
	s_ashr_i32 s7, s38, 31
	s_mul_hi_u32 s12, s38, s6
	s_mul_i32 s7, s7, s6
	s_add_i32 s13, s12, s7
	s_mul_i32 s12, s38, s6
	s_lshl_b64 s[12:13], s[12:13], 1
	s_mul_i32 s10, s37, s6
	s_add_u32 s7, s28, s12
	s_load_dword s12, s[4:5], 0x4c
	s_addc_u32 s16, s29, s13
	s_lshl_b64 s[10:11], s[10:11], 1
	s_add_u32 s14, s22, s10
	s_addc_u32 s17, s23, s11
	s_add_u32 s10, s4, 64
	s_addc_u32 s11, s5, 0
	s_waitcnt lgkmcnt(0)
	s_and_b32 s15, s12, 0xffff
	s_mov_b64 s[12:13], 0
	v_mov_b32_e32 v3, 0
	v_mov_b32_e32 v1, s16
	;; [unrolled: 1-line block ×5, first 2 shown]
.LBB13_5:                               ; =>This Inner Loop Header: Depth=1
	v_lshlrev_b64 v[8:9], 1, v[2:3]
	v_add_co_u32_e32 v10, vcc, s7, v8
	v_addc_co_u32_e32 v11, vcc, v1, v9, vcc
	v_add_co_u32_e32 v8, vcc, s14, v8
	v_addc_co_u32_e32 v9, vcc, v4, v9, vcc
	global_load_ushort v5, v[10:11], off
	global_load_ushort v7, v[8:9], off
	v_add_u32_e32 v2, s15, v2
	v_cmp_le_u32_e32 vcc, s37, v2
	s_or_b64 s[12:13], vcc, s[12:13]
	s_waitcnt vmcnt(1)
	v_lshlrev_b32_e32 v5, 16, v5
	s_waitcnt vmcnt(0)
	v_lshlrev_b32_e32 v7, 16, v7
	v_add_f32_e32 v5, v7, v5
	v_fmac_f32_e32 v6, v5, v5
	s_andn2_b64 exec, exec, s[12:13]
	s_cbranch_execnz .LBB13_5
; %bb.6:
	s_or_b64 exec, exec, s[12:13]
	v_pk_mov_b32 v[2:3], s[10:11], s[10:11] op_sel:[0,1]
	v_mov_b32_e32 v1, s6
.LBB13_7:
	s_or_b64 exec, exec, s[8:9]
	global_load_dword v4, v[2:3], off
	v_and_b32_e32 v5, 0x3c0, v0
	s_waitcnt vmcnt(0)
	v_cmp_lt_u32_e32 vcc, v1, v4
	v_cndmask_b32_e64 v1, 18, 12, vcc
	v_add_co_u32_e32 v2, vcc, v2, v1
	v_addc_co_u32_e32 v3, vcc, 0, v3, vcc
	global_load_ushort v1, v[2:3], off
	v_mbcnt_lo_u32_b32 v2, -1, 0
	v_mbcnt_hi_u32_b32 v4, -1, v2
	v_and_b32_e32 v2, 63, v4
	v_cmp_ne_u32_e32 vcc, 63, v2
	v_addc_co_u32_e32 v3, vcc, 0, v4, vcc
	v_lshlrev_b32_e32 v14, 2, v3
	ds_bpermute_b32 v3, v14, v6
	v_cmp_gt_u32_e32 vcc, 62, v2
	v_cndmask_b32_e64 v12, 0, 1, vcc
	v_lshlrev_b32_e32 v12, 1, v12
	v_add_u32_e32 v7, 1, v4
	v_add_lshl_u32 v13, v12, v4, 2
	s_waitcnt lgkmcnt(0)
	v_add_f32_e32 v3, v6, v3
	v_add_u32_e32 v8, 2, v4
	v_add_u32_e32 v10, 4, v4
	;; [unrolled: 1-line block ×5, first 2 shown]
	v_cmp_eq_u32_e64 s[8:9], 0, v4
	s_waitcnt vmcnt(0)
	v_sub_u32_e64 v12, v1, v5 clamp
	v_cmp_lt_u32_e32 vcc, v7, v12
	v_cndmask_b32_e32 v3, v6, v3, vcc
	ds_bpermute_b32 v6, v13, v3
	v_cmp_gt_u32_e32 vcc, 60, v2
	v_cndmask_b32_e64 v15, 0, 1, vcc
	v_lshlrev_b32_e32 v15, 2, v15
	v_cmp_lt_u32_e32 vcc, v8, v12
	s_waitcnt lgkmcnt(0)
	v_add_f32_e32 v6, v3, v6
	v_add_lshl_u32 v15, v15, v4, 2
	v_cndmask_b32_e32 v3, v3, v6, vcc
	ds_bpermute_b32 v6, v15, v3
	v_cmp_gt_u32_e32 vcc, 56, v2
	v_cndmask_b32_e64 v16, 0, 1, vcc
	v_lshlrev_b32_e32 v16, 3, v16
	v_cmp_lt_u32_e32 vcc, v10, v12
	s_waitcnt lgkmcnt(0)
	v_add_f32_e32 v6, v3, v6
	v_add_lshl_u32 v16, v16, v4, 2
	;; [unrolled: 9-line block ×3, first 2 shown]
	v_cndmask_b32_e32 v3, v3, v6, vcc
	ds_bpermute_b32 v6, v18, v3
	v_cmp_gt_u32_e32 vcc, 32, v2
	v_cndmask_b32_e64 v2, 0, 1, vcc
	v_lshlrev_b32_e32 v2, 5, v2
	v_add_lshl_u32 v17, v2, v4, 2
	s_waitcnt lgkmcnt(0)
	v_add_f32_e32 v2, v3, v6
	v_cmp_lt_u32_e32 vcc, v9, v12
	v_cndmask_b32_e32 v2, v3, v2, vcc
	ds_bpermute_b32 v3, v17, v2
	v_cmp_lt_u32_e32 vcc, v19, v12
	s_waitcnt lgkmcnt(0)
	v_add_f32_e32 v3, v2, v3
	v_cndmask_b32_e32 v2, v2, v3, vcc
	s_and_saveexec_b64 s[10:11], s[8:9]
	s_cbranch_execz .LBB13_9
; %bb.8:
	v_lshrrev_b32_e32 v3, 4, v0
	v_and_b32_e32 v3, 60, v3
	ds_write_b32 v3, v2 offset:128
.LBB13_9:
	s_or_b64 exec, exec, s[10:11]
	v_cmp_gt_u32_e64 s[10:11], 16, v0
	v_lshlrev_b32_e32 v12, 2, v4
	v_and_b32_e32 v6, 15, v4
	s_waitcnt lgkmcnt(0)
	s_barrier
	s_and_saveexec_b64 s[14:15], s[10:11]
	s_cbranch_execz .LBB13_11
; %bb.10:
	ds_read_b32 v2, v12 offset:128
	v_cmp_ne_u32_e32 vcc, 15, v6
	v_addc_co_u32_e32 v3, vcc, 0, v4, vcc
	v_lshlrev_b32_e32 v3, 2, v3
	s_waitcnt lgkmcnt(0)
	ds_bpermute_b32 v3, v3, v2
	v_add_u32_e32 v1, 63, v1
	v_add_u32_e32 v20, 1, v6
	v_lshrrev_b32_e32 v1, 6, v1
	v_cmp_gt_u32_e64 s[12:13], 14, v6
	v_cmp_lt_u32_e32 vcc, v20, v1
	v_cndmask_b32_e64 v20, 0, 1, s[12:13]
	s_waitcnt lgkmcnt(0)
	v_add_f32_e32 v3, v2, v3
	v_lshlrev_b32_e32 v20, 1, v20
	v_cndmask_b32_e32 v3, v2, v3, vcc
	v_add_lshl_u32 v20, v20, v4, 2
	ds_bpermute_b32 v20, v20, v3
	v_add_u32_e32 v21, 2, v6
	v_cmp_lt_u32_e64 s[12:13], v21, v1
	v_add_u32_e32 v21, 4, v6
	s_waitcnt lgkmcnt(0)
	v_add_f32_e32 v20, v3, v20
	v_cndmask_b32_e64 v3, v3, v20, s[12:13]
	v_cmp_gt_u32_e64 s[12:13], 12, v6
	v_cndmask_b32_e64 v20, 0, 1, s[12:13]
	v_lshlrev_b32_e32 v20, 2, v20
	v_add_lshl_u32 v20, v20, v4, 2
	ds_bpermute_b32 v20, v20, v3
	v_cmp_lt_u32_e64 s[12:13], v21, v1
	v_add_u32_e32 v21, 8, v6
	s_waitcnt lgkmcnt(0)
	v_add_f32_e32 v20, v3, v20
	v_cndmask_b32_e64 v3, v3, v20, s[12:13]
	v_cmp_gt_u32_e64 s[12:13], 8, v6
	v_cndmask_b32_e64 v20, 0, 1, s[12:13]
	v_lshlrev_b32_e32 v20, 3, v20
	v_add_lshl_u32 v20, v20, v4, 2
	ds_bpermute_b32 v20, v20, v3
	v_cmp_lt_u32_e64 s[12:13], v21, v1
	s_waitcnt lgkmcnt(0)
	v_add_f32_e32 v20, v3, v20
	v_cndmask_b32_e64 v1, v3, v20, s[12:13]
	v_cndmask_b32_e32 v2, v2, v1, vcc
.LBB13_11:
	s_or_b64 exec, exec, s[14:15]
	s_mov_b32 s7, 0
	v_cmp_eq_u32_e64 s[12:13], 0, v0
	s_and_saveexec_b64 s[14:15], s[12:13]
	s_cbranch_execz .LBB13_13
; %bb.12:
	v_cvt_f32_i32_e32 v1, s37
	v_div_scale_f32 v3, s[16:17], v1, v1, v2
	v_rcp_f32_e32 v20, v3
	v_div_scale_f32 v21, vcc, v2, v1, v2
	s_mov_b32 s16, 0x800000
	v_fma_f32 v22, -v3, v20, 1.0
	v_fmac_f32_e32 v20, v22, v20
	v_mul_f32_e32 v22, v21, v20
	v_fma_f32 v23, -v3, v22, v21
	v_fmac_f32_e32 v22, v23, v20
	v_fma_f32 v3, -v3, v22, v21
	v_div_fmas_f32 v3, v3, v20, v22
	v_div_fixup_f32 v1, v3, v1, v2
	v_add_f32_e32 v1, s36, v1
	v_mul_f32_e32 v2, 0x4b800000, v1
	v_cmp_gt_f32_e32 vcc, s16, v1
	v_cndmask_b32_e32 v1, v1, v2, vcc
	v_rsq_f32_e32 v1, v1
	v_mul_f32_e32 v2, 0x45800000, v1
	v_cndmask_b32_e32 v1, v1, v2, vcc
	v_mov_b32_e32 v2, 0
	ds_write_b32 v2, v1 offset:264
.LBB13_13:
	s_or_b64 exec, exec, s[14:15]
	v_mov_b32_e32 v1, 0
	s_waitcnt lgkmcnt(0)
	s_barrier
	ds_read_b32 v1, v1 offset:264
	s_waitcnt lgkmcnt(0)
	s_barrier
	s_waitcnt lgkmcnt(0)
                                        ; implicit-def: $sgpr16
                                        ; implicit-def: $sgpr14_sgpr15
	s_and_saveexec_b64 s[18:19], s[2:3]
	s_xor_b64 s[2:3], exec, s[18:19]
; %bb.14:
	s_add_u32 s14, s4, 64
	s_addc_u32 s15, s5, 0
	s_mov_b32 s16, 0
; %bb.15:
	s_or_saveexec_b64 s[2:3], s[2:3]
	v_mov_b32_e32 v20, s16
	v_pk_mov_b32 v[2:3], s[14:15], s[14:15] op_sel:[0,1]
	s_mul_hi_u32 s39, s37, s6
	s_mul_i32 s40, s37, s6
	s_mul_hi_u32 s33, s38, s6
	s_mul_i32 s42, s38, s6
	s_xor_b64 exec, exec, s[2:3]
	s_cbranch_execz .LBB13_19
; %bb.16:
	s_ashr_i32 s14, s37, 31
	s_mul_i32 s14, s14, s6
	s_add_i32 s41, s39, s14
	s_ashr_i32 s14, s38, 31
	s_mul_i32 s14, s14, s6
	s_add_i32 s43, s33, s14
	s_lshl_b64 s[14:15], s[42:43], 1
	s_add_u32 s18, s28, s14
	s_load_dword s16, s[4:5], 0x4c
	s_addc_u32 s21, s29, s15
	s_lshl_b64 s[14:15], s[40:41], 1
	s_add_u32 s19, s22, s14
	s_addc_u32 s41, s23, s15
	s_add_u32 s14, s4, 64
	s_addc_u32 s15, s5, 0
	s_waitcnt lgkmcnt(0)
	s_and_b32 s20, s16, 0xffff
	s_mov_b64 s[16:17], 0
	v_mov_b32_e32 v3, 0
	v_mov_b32_e32 v21, s21
	;; [unrolled: 1-line block ×3, first 2 shown]
	s_movk_i32 s21, 0x7fff
	v_mov_b32_e32 v23, s31
	v_mov_b32_e32 v24, 0x7fc00000
	;; [unrolled: 1-line block ×4, first 2 shown]
.LBB13_17:                              ; =>This Inner Loop Header: Depth=1
	v_lshlrev_b64 v[26:27], 1, v[2:3]
	v_add_co_u32_e32 v28, vcc, s18, v26
	v_addc_co_u32_e32 v29, vcc, v21, v27, vcc
	v_add_co_u32_e32 v30, vcc, s19, v26
	v_addc_co_u32_e32 v31, vcc, v22, v27, vcc
	;; [unrolled: 2-line block ×3, first 2 shown]
	global_load_ushort v25, v[28:29], off
	global_load_ushort v32, v[30:31], off
	;; [unrolled: 1-line block ×3, first 2 shown]
	v_add_u32_e32 v2, s20, v2
	v_cmp_le_u32_e32 vcc, s37, v2
	s_or_b64 s[16:17], vcc, s[16:17]
	v_max_f32_e32 v20, v20, v20
	s_waitcnt vmcnt(2)
	v_lshlrev_b32_e32 v25, 16, v25
	s_waitcnt vmcnt(1)
	v_lshlrev_b32_e32 v26, 16, v32
	v_add_f32_e32 v25, v26, v25
	v_mul_f32_e32 v25, v1, v25
	v_bfe_u32 v26, v25, 16, 1
	v_add3_u32 v26, v25, v26, s21
	v_and_b32_e32 v26, 0xffff0000, v26
	v_cmp_o_f32_e32 vcc, v25, v25
	s_waitcnt vmcnt(0)
	v_lshlrev_b32_e32 v27, 16, v33
	v_cndmask_b32_e32 v25, v24, v26, vcc
	v_mul_f32_e32 v25, v25, v27
	v_bfe_u32 v26, v25, 16, 1
	v_add3_u32 v26, v25, v26, s21
	v_and_b32_e32 v26, 0xffff0000, v26
	v_cmp_o_f32_e32 vcc, v25, v25
	v_cndmask_b32_e64 v25, v24, |v26|, vcc
	v_max_f32_e32 v25, v25, v25
	v_max_f32_e32 v20, v20, v25
	s_andn2_b64 exec, exec, s[16:17]
	s_cbranch_execnz .LBB13_17
; %bb.18:
	s_or_b64 exec, exec, s[16:17]
	v_pk_mov_b32 v[2:3], s[14:15], s[14:15] op_sel:[0,1]
.LBB13_19:
	s_or_b64 exec, exec, s[2:3]
	global_load_dword v21, v[2:3], off
	s_waitcnt vmcnt(0)
	v_cmp_lt_u32_e32 vcc, s6, v21
	v_cndmask_b32_e64 v21, 18, 12, vcc
	v_add_co_u32_e32 v2, vcc, v2, v21
	v_addc_co_u32_e32 v3, vcc, 0, v3, vcc
	global_load_ushort v2, v[2:3], off
	ds_bpermute_b32 v3, v14, v20
	s_waitcnt lgkmcnt(0)
	v_cmp_lt_f32_e32 vcc, v20, v3
	v_cndmask_b32_e32 v3, v20, v3, vcc
	s_waitcnt vmcnt(0)
	v_sub_u32_e64 v5, v2, v5 clamp
	v_cmp_lt_u32_e32 vcc, v7, v5
	v_cndmask_b32_e32 v3, v20, v3, vcc
	ds_bpermute_b32 v7, v13, v3
	v_cmp_lt_u32_e64 s[18:19], v19, v5
	s_waitcnt lgkmcnt(0)
	v_cmp_lt_f32_e64 s[2:3], v3, v7
	v_cndmask_b32_e64 v7, v3, v7, s[2:3]
	v_cmp_lt_u32_e64 s[2:3], v8, v5
	v_cndmask_b32_e64 v3, v3, v7, s[2:3]
	ds_bpermute_b32 v7, v15, v3
	s_or_b64 s[2:3], vcc, s[2:3]
	s_waitcnt lgkmcnt(0)
	v_cmp_lt_f32_e64 s[14:15], v3, v7
	v_cndmask_b32_e64 v7, v3, v7, s[14:15]
	v_cmp_lt_u32_e64 s[14:15], v10, v5
	v_cndmask_b32_e64 v3, v3, v7, s[14:15]
	ds_bpermute_b32 v7, v16, v3
	s_or_b64 s[2:3], s[14:15], s[2:3]
	s_waitcnt lgkmcnt(0)
	v_cmp_lt_f32_e64 s[16:17], v3, v7
	v_cndmask_b32_e64 v7, v3, v7, s[16:17]
	v_cmp_lt_u32_e64 s[16:17], v11, v5
	v_cndmask_b32_e64 v3, v3, v7, s[16:17]
	ds_bpermute_b32 v7, v18, v3
	s_or_b64 s[2:3], s[16:17], s[2:3]
	;; [unrolled: 7-line block ×3, first 2 shown]
	s_waitcnt lgkmcnt(0)
	v_cmp_lt_f32_e32 vcc, v3, v5
	s_and_b64 vcc, s[18:19], vcc
	v_cndmask_b32_e32 v3, v3, v5, vcc
	s_or_b64 vcc, s[18:19], s[2:3]
	v_cndmask_b32_e32 v3, v20, v3, vcc
	s_and_saveexec_b64 s[2:3], s[8:9]
	s_cbranch_execz .LBB13_21
; %bb.20:
	v_lshrrev_b32_e32 v5, 4, v0
	v_and_b32_e32 v5, 60, v5
	ds_write_b32 v5, v3 offset:192
.LBB13_21:
	s_or_b64 exec, exec, s[2:3]
	s_waitcnt lgkmcnt(0)
	s_barrier
	s_and_saveexec_b64 s[14:15], s[10:11]
	s_cbranch_execz .LBB13_23
; %bb.22:
	ds_read_b32 v3, v12 offset:192
	v_cmp_ne_u32_e32 vcc, 15, v6
	v_addc_co_u32_e32 v5, vcc, 0, v4, vcc
	v_lshlrev_b32_e32 v5, 2, v5
	s_waitcnt lgkmcnt(0)
	ds_bpermute_b32 v5, v5, v3
	v_add_u32_e32 v2, 63, v2
	v_add_u32_e32 v7, 1, v6
	v_lshrrev_b32_e32 v2, 6, v2
	v_cmp_gt_u32_e64 s[2:3], 14, v6
	s_waitcnt lgkmcnt(0)
	v_cmp_lt_f32_e32 vcc, v3, v5
	v_cndmask_b32_e32 v5, v3, v5, vcc
	v_cmp_lt_u32_e32 vcc, v7, v2
	v_cndmask_b32_e64 v7, 0, 1, s[2:3]
	v_lshlrev_b32_e32 v7, 1, v7
	v_cndmask_b32_e32 v5, v3, v5, vcc
	v_add_lshl_u32 v7, v7, v4, 2
	ds_bpermute_b32 v7, v7, v5
	v_add_u32_e32 v8, 2, v6
	s_waitcnt lgkmcnt(0)
	v_cmp_lt_f32_e64 s[2:3], v5, v7
	v_cndmask_b32_e64 v7, v5, v7, s[2:3]
	v_cmp_lt_u32_e64 s[2:3], v8, v2
	v_cndmask_b32_e64 v5, v5, v7, s[2:3]
	v_cmp_gt_u32_e64 s[2:3], 12, v6
	v_cndmask_b32_e64 v7, 0, 1, s[2:3]
	v_lshlrev_b32_e32 v7, 2, v7
	v_add_lshl_u32 v7, v7, v4, 2
	ds_bpermute_b32 v7, v7, v5
	v_add_u32_e32 v8, 4, v6
	s_waitcnt lgkmcnt(0)
	v_cmp_lt_f32_e64 s[2:3], v5, v7
	v_cndmask_b32_e64 v7, v5, v7, s[2:3]
	v_cmp_lt_u32_e64 s[2:3], v8, v2
	v_cndmask_b32_e64 v5, v5, v7, s[2:3]
	v_cmp_gt_u32_e64 s[2:3], 8, v6
	v_cndmask_b32_e64 v7, 0, 1, s[2:3]
	v_lshlrev_b32_e32 v7, 3, v7
	v_add_lshl_u32 v4, v7, v4, 2
	ds_bpermute_b32 v4, v4, v5
	v_add_u32_e32 v6, 8, v6
	v_cmp_lt_u32_e64 s[2:3], v6, v2
	s_waitcnt lgkmcnt(0)
	v_cmp_lt_f32_e64 s[8:9], v5, v4
	s_and_b64 s[2:3], s[2:3], s[8:9]
	v_cndmask_b32_e64 v2, v5, v4, s[2:3]
	v_cndmask_b32_e32 v3, v3, v2, vcc
.LBB13_23:
	s_or_b64 exec, exec, s[14:15]
	s_and_saveexec_b64 s[2:3], s[12:13]
	s_cbranch_execz .LBB13_27
; %bb.24:
	s_cmp_eq_u64 s[34:35], 0
	s_cbranch_scc1 .LBB13_26
; %bb.25:
	s_load_dword s8, s[34:35], 0x0
	v_max_f32_e32 v2, v3, v3
	s_waitcnt lgkmcnt(0)
	v_max_f32_e64 v3, s8, s8
	v_min_f32_e32 v3, v2, v3
.LBB13_26:
	s_mov_b32 s10, 0x43600000
	v_div_scale_f32 v2, s[8:9], s10, s10, v3
	v_rcp_f32_e32 v4, v2
	v_div_scale_f32 v5, vcc, v3, s10, v3
	s_lshl_b64 s[8:9], s[6:7], 2
	v_fma_f32 v6, -v2, v4, 1.0
	v_fmac_f32_e32 v4, v6, v4
	v_mul_f32_e32 v6, v5, v4
	v_fma_f32 v7, -v2, v6, v5
	v_fmac_f32_e32 v6, v7, v4
	v_fma_f32 v2, -v2, v6, v5
	v_div_fmas_f32 v2, v2, v4, v6
	v_div_fixup_f32 v2, v2, s10, v3
	s_add_u32 s8, s26, s8
	v_max_f32_e32 v2, 0x37124925, v2
	v_mov_b32_e32 v3, 0
	s_addc_u32 s9, s27, s9
	ds_write_b32 v3, v2 offset:268
	global_store_dword v3, v2, s[8:9]
.LBB13_27:
	s_or_b64 exec, exec, s[2:3]
	s_waitcnt lgkmcnt(0)
	s_barrier
	s_and_saveexec_b64 s[2:3], s[0:1]
	s_cbranch_execz .LBB13_38
; %bb.28:
	s_ashr_i32 s0, s37, 31
	s_mul_i32 s0, s0, s6
	s_add_i32 s8, s39, s0
	s_ashr_i32 s0, s38, 31
	v_mov_b32_e32 v3, 0
	s_mul_i32 s0, s0, s6
	s_load_dword s9, s[4:5], 0x4c
	ds_read_b32 v6, v3 offset:268
	s_add_i32 s43, s33, s0
	s_lshl_b64 s[0:1], s[42:43], 1
	s_add_u32 s7, s28, s0
	s_addc_u32 s10, s29, s1
	s_waitcnt lgkmcnt(0)
	s_and_b32 s14, s9, 0xffff
	s_mov_b64 s[0:1], 0
	v_mov_b32_e32 v7, s10
	v_mov_b32_e32 v8, s8
	;; [unrolled: 1-line block ×3, first 2 shown]
	s_movk_i32 s15, 0x7fff
	v_mov_b32_e32 v10, 0x7fc0
	v_mov_b32_e32 v11, s31
	;; [unrolled: 1-line block ×3, first 2 shown]
	s_mov_b32 s16, 0x43800000
	s_mov_b32 s17, 0x3bffffff
	;; [unrolled: 1-line block ×4, first 2 shown]
	s_movk_i32 s20, 0x80
	v_mov_b32_e32 v13, s25
	v_mov_b32_e32 v2, v0
	s_branch .LBB13_31
.LBB13_29:                              ;   in Loop: Header=BB13_31 Depth=1
	s_or_b64 exec, exec, s[12:13]
.LBB13_30:                              ;   in Loop: Header=BB13_31 Depth=1
	s_or_b64 exec, exec, s[8:9]
	v_add_co_u32_e32 v4, vcc, s24, v4
	v_addc_co_u32_e32 v5, vcc, v13, v5, vcc
	v_add_u32_e32 v2, s14, v2
	v_cmp_le_u32_e32 vcc, s37, v2
	s_or_b64 s[0:1], vcc, s[0:1]
	global_store_byte v[4:5], v16, off
	s_andn2_b64 exec, exec, s[0:1]
	s_cbranch_execz .LBB13_38
.LBB13_31:                              ; =>This Inner Loop Header: Depth=1
	v_lshlrev_b64 v[14:15], 1, v[2:3]
	v_add_co_u32_e32 v16, vcc, s7, v14
	v_addc_co_u32_e32 v17, vcc, v7, v15, vcc
	v_add_co_u32_e32 v4, vcc, s40, v2
	v_addc_co_u32_e32 v5, vcc, 0, v8, vcc
	v_lshlrev_b64 v[18:19], 1, v[4:5]
	v_add_co_u32_e32 v18, vcc, s22, v18
	v_addc_co_u32_e32 v19, vcc, v9, v19, vcc
	v_add_co_u32_e32 v14, vcc, s30, v14
	v_addc_co_u32_e32 v15, vcc, v11, v15, vcc
	global_load_ushort v16, v[16:17], off
	s_nop 0
	global_load_ushort v17, v[14:15], off
	global_load_ushort v20, v[18:19], off
	s_waitcnt vmcnt(2)
	v_lshlrev_b32_e32 v14, 16, v16
	s_waitcnt vmcnt(0)
	v_lshlrev_b32_e32 v16, 16, v20
	v_add_f32_e32 v14, v16, v14
	v_lshlrev_b32_e32 v15, 16, v17
	v_bfe_u32 v16, v14, 16, 1
	v_mul_f32_e32 v17, v1, v14
	v_add3_u32 v16, v14, v16, s15
	v_bfe_u32 v20, v17, 16, 1
	v_lshrrev_b32_e32 v16, 16, v16
	v_add3_u32 v20, v17, v20, s15
	v_cmp_o_f32_e32 vcc, v14, v14
	v_cndmask_b32_e32 v14, v10, v16, vcc
	v_and_b32_e32 v16, 0xffff0000, v20
	v_cmp_o_f32_e32 vcc, v17, v17
	v_cndmask_b32_e32 v16, v12, v16, vcc
	v_mul_f32_e32 v15, v16, v15
	v_bfe_u32 v16, v15, 16, 1
	v_add3_u32 v16, v15, v16, s15
	v_and_b32_e32 v16, 0xffff0000, v16
	v_cmp_o_f32_e32 vcc, v15, v15
	v_cndmask_b32_e32 v15, v12, v16, vcc
	v_div_scale_f32 v16, s[8:9], v6, v6, v15
	v_rcp_f32_e32 v17, v16
	global_store_short v[18:19], v14, off
	v_div_scale_f32 v14, vcc, v15, v6, v15
	v_fma_f32 v18, -v16, v17, 1.0
	v_fmac_f32_e32 v17, v18, v17
	v_mul_f32_e32 v18, v14, v17
	v_fma_f32 v19, -v16, v18, v14
	v_fmac_f32_e32 v18, v19, v17
	v_fma_f32 v14, -v16, v18, v14
	v_div_fmas_f32 v14, v14, v17, v18
	v_div_fixup_f32 v14, v14, v6, v15
	v_min_f32_e32 v14, 0x43600000, v14
	v_max_f32_e32 v14, 0xc3600000, v14
	v_and_b32_e32 v15, 0x7fffffff, v14
	v_cmp_gt_u32_e32 vcc, s16, v15
	v_mov_b32_e32 v16, 0x80
	s_and_saveexec_b64 s[8:9], vcc
	s_cbranch_execz .LBB13_30
; %bb.32:                               ;   in Loop: Header=BB13_31 Depth=1
	v_cmp_lt_u32_e32 vcc, s17, v15
	s_mov_b64 s[10:11], 0
                                        ; implicit-def: $vgpr15
	s_and_saveexec_b64 s[12:13], vcc
	s_xor_b64 s[12:13], exec, s[12:13]
	s_cbranch_execnz .LBB13_35
; %bb.33:                               ;   in Loop: Header=BB13_31 Depth=1
	s_or_saveexec_b64 s[12:13], s[12:13]
                                        ; implicit-def: $sgpr21
	s_xor_b64 exec, exec, s[12:13]
	s_cbranch_execnz .LBB13_36
.LBB13_34:                              ;   in Loop: Header=BB13_31 Depth=1
	s_or_b64 exec, exec, s[12:13]
	v_mov_b32_e32 v16, s21
	s_and_saveexec_b64 s[12:13], s[10:11]
	s_cbranch_execz .LBB13_29
	s_branch .LBB13_37
.LBB13_35:                              ;   in Loop: Header=BB13_31 Depth=1
	v_bfe_u32 v15, v14, 20, 1
	v_add3_u32 v15, v14, v15, s18
	s_mov_b64 s[10:11], exec
	v_lshrrev_b32_e32 v15, 20, v15
	s_or_saveexec_b64 s[12:13], s[12:13]
                                        ; implicit-def: $sgpr21
	s_xor_b64 exec, exec, s[12:13]
	s_cbranch_execz .LBB13_34
.LBB13_36:                              ;   in Loop: Header=BB13_31 Depth=1
	v_add_f32_e64 v15, |v14|, s19
	v_and_b32_e32 v15, 0xff, v15
	v_cmp_ne_u32_e32 vcc, 0, v15
	s_andn2_b64 s[10:11], s[10:11], exec
	s_and_b64 s[42:43], vcc, exec
	s_mov_b32 s21, 0
	s_or_b64 s[10:11], s[10:11], s[42:43]
	s_or_b64 exec, exec, s[12:13]
	v_mov_b32_e32 v16, s21
	s_and_saveexec_b64 s[12:13], s[10:11]
	s_cbranch_execz .LBB13_29
.LBB13_37:                              ;   in Loop: Header=BB13_31 Depth=1
	v_lshrrev_b32_e32 v14, 24, v14
	v_and_or_b32 v16, v14, s20, v15
	s_branch .LBB13_29
.LBB13_38:
	s_or_b64 exec, exec, s[2:3]
	s_branch .LBB13_211
.LBB13_39:
	s_cbranch_execz .LBB13_211
; %bb.40:
	s_ashr_i32 s0, s38, 31
	s_mul_hi_u32 s1, s38, s6
	s_mul_i32 s0, s0, s6
	s_ashr_i32 s2, s37, 31
	s_add_i32 s1, s1, s0
	s_mul_i32 s0, s38, s6
	s_mul_hi_u32 s3, s37, s6
	s_mul_i32 s2, s2, s6
	s_add_i32 s39, s3, s2
	s_lshl_b64 s[0:1], s[0:1], 1
	s_mul_i32 s38, s37, s6
	s_add_u32 s33, s28, s0
	s_addc_u32 s48, s29, s1
	s_lshl_b64 s[0:1], s[38:39], 1
	s_load_dword s18, s[4:5], 0x40
	s_add_u32 s49, s22, s0
	s_addc_u32 s50, s23, s1
	s_ashr_i32 s51, s37, 2
	s_add_u32 s19, s4, 64
	s_mov_b32 s7, 0
	v_cmp_gt_u32_e64 s[0:1], s51, v0
	s_addc_u32 s20, s5, 0
	v_mov_b32_e32 v8, 0
	s_and_saveexec_b64 s[2:3], s[0:1]
	s_cbranch_execz .LBB13_50
; %bb.41:
	s_waitcnt lgkmcnt(0)
	s_cmp_lt_u32 s6, s18
	s_cselect_b32 s4, 12, 18
	s_add_u32 s4, s19, s4
	s_addc_u32 s5, s20, 0
	v_mov_b32_e32 v3, 0
	global_load_ushort v1, v3, s[4:5]
	s_mov_b64 s[4:5], 0
	v_mov_b32_e32 v9, s48
	v_mov_b32_e32 v10, s50
	;; [unrolled: 1-line block ×4, first 2 shown]
                                        ; implicit-def: $sgpr8_sgpr9
	s_waitcnt vmcnt(0)
	v_add_u32_e32 v4, v1, v1
	v_mul_lo_u32 v11, v1, 3
	v_lshlrev_b32_e32 v12, 1, v1
	v_add_u32_e32 v13, v4, v1
	s_branch .LBB13_45
.LBB13_42:                              ;   in Loop: Header=BB13_45 Depth=1
	s_or_b64 exec, exec, s[14:15]
	s_orn2_b64 s[14:15], s[16:17], exec
.LBB13_43:                              ;   in Loop: Header=BB13_45 Depth=1
	s_or_b64 exec, exec, s[12:13]
	s_andn2_b64 s[8:9], s[8:9], exec
	s_and_b64 s[12:13], s[14:15], exec
	s_or_b64 s[8:9], s[8:9], s[12:13]
.LBB13_44:                              ;   in Loop: Header=BB13_45 Depth=1
	s_or_b64 exec, exec, s[10:11]
	s_and_b64 s[10:11], exec, s[8:9]
	s_or_b64 s[4:5], s[10:11], s[4:5]
	s_andn2_b64 exec, exec, s[4:5]
	s_cbranch_execz .LBB13_49
.LBB13_45:                              ; =>This Inner Loop Header: Depth=1
	v_lshlrev_b64 v[4:5], 3, v[2:3]
	v_add_co_u32_e32 v6, vcc, s33, v4
	v_addc_co_u32_e32 v7, vcc, v9, v5, vcc
	v_add_co_u32_e32 v4, vcc, s49, v4
	v_addc_co_u32_e32 v5, vcc, v10, v5, vcc
	global_load_dwordx2 v[6:7], v[6:7], off
	s_or_b64 s[8:9], s[8:9], exec
	global_load_dwordx2 v[14:15], v[4:5], off
	v_add_u32_e32 v4, v2, v1
	v_cmp_gt_u32_e32 vcc, s51, v4
	s_waitcnt vmcnt(1)
	v_lshlrev_b32_e32 v16, 16, v6
	v_and_b32_e32 v5, 0xffff0000, v6
	s_waitcnt vmcnt(0)
	v_lshlrev_b32_e32 v18, 16, v14
	v_alignbit_b32 v6, v7, v6, 16
	v_and_b32_e32 v17, 0xffff0000, v14
	v_alignbit_b32 v14, v15, v14, 16
	v_add_f32_e32 v16, v16, v18
	v_and_b32_e32 v6, 0xffff0000, v6
	v_add_f32_e32 v5, v5, v17
	v_and_b32_e32 v14, 0xffff0000, v14
	v_fmac_f32_e32 v8, v16, v16
	v_and_b32_e32 v7, 0xffff0000, v7
	v_and_b32_e32 v15, 0xffff0000, v15
	v_add_f32_e32 v6, v6, v14
	v_fmac_f32_e32 v8, v5, v5
	v_add_f32_e32 v7, v7, v15
	v_fmac_f32_e32 v8, v6, v6
	v_fmac_f32_e32 v8, v7, v7
	s_and_saveexec_b64 s[10:11], vcc
	s_cbranch_execz .LBB13_44
; %bb.46:                               ;   in Loop: Header=BB13_45 Depth=1
	v_mov_b32_e32 v5, v3
	v_lshlrev_b64 v[6:7], 3, v[4:5]
	v_add_co_u32_e32 v14, vcc, s33, v6
	v_addc_co_u32_e32 v15, vcc, v9, v7, vcc
	v_add_co_u32_e32 v6, vcc, s49, v6
	v_addc_co_u32_e32 v7, vcc, v10, v7, vcc
	global_load_dwordx2 v[14:15], v[14:15], off
	s_mov_b64 s[14:15], -1
	global_load_dwordx2 v[16:17], v[6:7], off
	v_add_u32_e32 v6, v12, v2
	v_cmp_gt_u32_e32 vcc, s51, v6
	s_waitcnt vmcnt(1)
	v_lshlrev_b32_e32 v7, 16, v14
	v_and_b32_e32 v5, 0xffff0000, v14
	s_waitcnt vmcnt(0)
	v_lshlrev_b32_e32 v19, 16, v16
	v_alignbit_b32 v14, v15, v14, 16
	v_and_b32_e32 v18, 0xffff0000, v16
	v_alignbit_b32 v16, v17, v16, 16
	v_add_f32_e32 v7, v7, v19
	v_and_b32_e32 v14, 0xffff0000, v14
	v_add_f32_e32 v5, v5, v18
	v_and_b32_e32 v16, 0xffff0000, v16
	v_fmac_f32_e32 v8, v7, v7
	v_and_b32_e32 v15, 0xffff0000, v15
	v_and_b32_e32 v17, 0xffff0000, v17
	v_add_f32_e32 v14, v14, v16
	v_fmac_f32_e32 v8, v5, v5
	v_add_f32_e32 v15, v15, v17
	v_fmac_f32_e32 v8, v14, v14
	v_fmac_f32_e32 v8, v15, v15
	s_and_saveexec_b64 s[12:13], vcc
	s_cbranch_execz .LBB13_43
; %bb.47:                               ;   in Loop: Header=BB13_45 Depth=1
	v_mov_b32_e32 v7, v3
	v_lshlrev_b64 v[6:7], 3, v[6:7]
	v_add_co_u32_e32 v14, vcc, s33, v6
	v_addc_co_u32_e32 v15, vcc, v9, v7, vcc
	v_add_co_u32_e32 v6, vcc, s49, v6
	v_addc_co_u32_e32 v7, vcc, v10, v7, vcc
	global_load_dwordx2 v[14:15], v[14:15], off
	v_add_u32_e32 v2, v11, v2
	global_load_dwordx2 v[6:7], v[6:7], off
	v_cmp_gt_u32_e32 vcc, s51, v2
	s_mov_b64 s[16:17], -1
	s_waitcnt vmcnt(1)
	v_lshlrev_b32_e32 v16, 16, v14
	v_and_b32_e32 v5, 0xffff0000, v14
	s_waitcnt vmcnt(0)
	v_lshlrev_b32_e32 v18, 16, v6
	v_alignbit_b32 v14, v15, v14, 16
	v_and_b32_e32 v17, 0xffff0000, v6
	v_alignbit_b32 v6, v7, v6, 16
	v_add_f32_e32 v16, v16, v18
	v_and_b32_e32 v14, 0xffff0000, v14
	v_add_f32_e32 v5, v5, v17
	v_and_b32_e32 v6, 0xffff0000, v6
	v_fmac_f32_e32 v8, v16, v16
	v_and_b32_e32 v15, 0xffff0000, v15
	v_and_b32_e32 v7, 0xffff0000, v7
	v_add_f32_e32 v6, v14, v6
	v_fmac_f32_e32 v8, v5, v5
	v_add_f32_e32 v7, v15, v7
	v_fmac_f32_e32 v8, v6, v6
	v_fmac_f32_e32 v8, v7, v7
	s_and_saveexec_b64 s[14:15], vcc
	s_xor_b64 s[14:15], exec, s[14:15]
	s_cbranch_execz .LBB13_42
; %bb.48:                               ;   in Loop: Header=BB13_45 Depth=1
	v_lshlrev_b64 v[6:7], 3, v[2:3]
	v_mov_b32_e32 v2, s48
	v_add_co_u32_e32 v14, vcc, s33, v6
	v_addc_co_u32_e32 v15, vcc, v2, v7, vcc
	v_mov_b32_e32 v2, s50
	v_add_co_u32_e32 v6, vcc, s49, v6
	v_addc_co_u32_e32 v7, vcc, v2, v7, vcc
	global_load_dwordx2 v[14:15], v[14:15], off
	v_add_u32_e32 v2, v13, v4
	global_load_dwordx2 v[6:7], v[6:7], off
	v_cmp_le_u32_e32 vcc, s51, v2
	s_orn2_b64 s[16:17], vcc, exec
	s_waitcnt vmcnt(1)
	v_lshlrev_b32_e32 v5, 16, v14
	v_and_b32_e32 v4, 0xffff0000, v14
	s_waitcnt vmcnt(0)
	v_lshlrev_b32_e32 v17, 16, v6
	v_alignbit_b32 v14, v15, v14, 16
	v_and_b32_e32 v16, 0xffff0000, v6
	v_alignbit_b32 v6, v7, v6, 16
	v_add_f32_e32 v5, v5, v17
	v_and_b32_e32 v14, 0xffff0000, v14
	v_add_f32_e32 v4, v4, v16
	v_and_b32_e32 v6, 0xffff0000, v6
	v_fmac_f32_e32 v8, v5, v5
	v_and_b32_e32 v15, 0xffff0000, v15
	v_and_b32_e32 v7, 0xffff0000, v7
	v_add_f32_e32 v6, v14, v6
	v_fmac_f32_e32 v8, v4, v4
	v_add_f32_e32 v7, v15, v7
	v_fmac_f32_e32 v8, v6, v6
	v_fmac_f32_e32 v8, v7, v7
	s_branch .LBB13_42
.LBB13_49:
	s_or_b64 exec, exec, s[4:5]
.LBB13_50:
	s_or_b64 exec, exec, s[2:3]
	s_waitcnt lgkmcnt(0)
	s_cmp_lt_u32 s6, s18
	s_cselect_b32 s2, 12, 18
	s_add_u32 s2, s19, s2
	s_addc_u32 s3, s20, 0
	v_mov_b32_e32 v1, 0
	global_load_ushort v2, v1, s[2:3]
	v_mbcnt_lo_u32_b32 v1, -1, 0
	v_mbcnt_hi_u32_b32 v1, -1, v1
	v_and_b32_e32 v4, 63, v1
	v_cmp_ne_u32_e32 vcc, 63, v4
	v_addc_co_u32_e32 v9, vcc, 0, v1, vcc
	v_lshlrev_b32_e32 v9, 2, v9
	ds_bpermute_b32 v11, v9, v8
	v_and_b32_e32 v3, 0x3c0, v0
	v_cmp_gt_u32_e32 vcc, 62, v4
	v_add_u32_e32 v5, 1, v1
	v_cndmask_b32_e64 v10, 0, 1, vcc
	v_lshlrev_b32_e32 v10, 1, v10
	s_waitcnt lgkmcnt(0)
	v_add_f32_e32 v11, v8, v11
	v_add_lshl_u32 v10, v10, v1, 2
	v_cmp_gt_u32_e32 vcc, 60, v4
	v_add_u32_e32 v6, 2, v1
	v_add_u32_e32 v7, 4, v1
	;; [unrolled: 1-line block ×4, first 2 shown]
	v_cmp_eq_u32_e64 s[14:15], 0, v1
	s_waitcnt vmcnt(0)
	v_sub_u32_e64 v3, v2, v3 clamp
	v_cmp_lt_u32_e64 s[2:3], v5, v3
	v_cndmask_b32_e64 v5, v8, v11, s[2:3]
	ds_bpermute_b32 v8, v10, v5
	v_cndmask_b32_e64 v11, 0, 1, vcc
	v_lshlrev_b32_e32 v11, 2, v11
	v_cmp_lt_u32_e64 s[4:5], v6, v3
	v_add_lshl_u32 v11, v11, v1, 2
	s_waitcnt lgkmcnt(0)
	v_add_f32_e32 v8, v5, v8
	v_cndmask_b32_e64 v5, v5, v8, s[4:5]
	ds_bpermute_b32 v6, v11, v5
	v_cmp_gt_u32_e32 vcc, 56, v4
	v_cndmask_b32_e64 v8, 0, 1, vcc
	v_lshlrev_b32_e32 v8, 3, v8
	v_cmp_lt_u32_e64 s[8:9], v7, v3
	s_waitcnt lgkmcnt(0)
	v_add_f32_e32 v6, v5, v6
	v_add_lshl_u32 v12, v8, v1, 2
	v_cndmask_b32_e64 v5, v5, v6, s[8:9]
	ds_bpermute_b32 v6, v12, v5
	v_cmp_gt_u32_e32 vcc, 48, v4
	v_cndmask_b32_e64 v7, 0, 1, vcc
	v_lshlrev_b32_e32 v7, 4, v7
	v_cmp_lt_u32_e64 s[10:11], v14, v3
	s_waitcnt lgkmcnt(0)
	v_add_f32_e32 v6, v5, v6
	v_add_lshl_u32 v13, v7, v1, 2
	v_cndmask_b32_e64 v5, v5, v6, s[10:11]
	ds_bpermute_b32 v6, v13, v5
	v_cmp_gt_u32_e32 vcc, 32, v4
	v_cndmask_b32_e64 v4, 0, 1, vcc
	v_lshlrev_b32_e32 v4, 5, v4
	v_add_lshl_u32 v14, v4, v1, 2
	s_waitcnt lgkmcnt(0)
	v_add_f32_e32 v4, v5, v6
	v_cmp_lt_u32_e64 s[12:13], v15, v3
	v_cndmask_b32_e64 v4, v5, v4, s[12:13]
	ds_bpermute_b32 v5, v14, v4
	v_add_u32_e32 v6, 32, v1
	v_readfirstlane_b32 s52, v2
	v_cmp_lt_u32_e64 s[20:21], v6, v3
	s_waitcnt lgkmcnt(0)
	v_add_f32_e32 v2, v4, v5
	v_cndmask_b32_e64 v2, v4, v2, s[20:21]
	s_and_saveexec_b64 s[16:17], s[14:15]
	s_cbranch_execz .LBB13_52
; %bb.51:
	v_lshrrev_b32_e32 v3, 4, v0
	v_and_b32_e32 v3, 60, v3
	ds_write_b32 v3, v2
.LBB13_52:
	s_or_b64 exec, exec, s[16:17]
	v_cmp_gt_u32_e64 s[16:17], 16, v0
	s_waitcnt lgkmcnt(0)
	s_barrier
	s_and_saveexec_b64 s[22:23], s[16:17]
	s_cbranch_execz .LBB13_54
; %bb.53:
	v_lshlrev_b32_e32 v2, 2, v1
	ds_read_b32 v2, v2
	v_and_b32_e32 v3, 15, v1
	v_cmp_ne_u32_e32 vcc, 15, v3
	v_addc_co_u32_e32 v4, vcc, 0, v1, vcc
	v_lshlrev_b32_e32 v4, 2, v4
	s_waitcnt lgkmcnt(0)
	ds_bpermute_b32 v4, v4, v2
	s_add_i32 s18, s52, 63
	s_lshr_b32 s28, s18, 6
	v_add_u32_e32 v5, 1, v3
	v_cmp_gt_u32_e64 s[18:19], 14, v3
	v_cmp_gt_u32_e32 vcc, s28, v5
	v_cndmask_b32_e64 v5, 0, 1, s[18:19]
	s_waitcnt lgkmcnt(0)
	v_add_f32_e32 v4, v2, v4
	v_lshlrev_b32_e32 v5, 1, v5
	v_cndmask_b32_e32 v4, v2, v4, vcc
	v_add_lshl_u32 v5, v5, v1, 2
	ds_bpermute_b32 v5, v5, v4
	v_add_u32_e32 v6, 2, v3
	v_cmp_gt_u32_e64 s[18:19], s28, v6
	v_add_u32_e32 v6, 4, v3
	s_waitcnt lgkmcnt(0)
	v_add_f32_e32 v5, v4, v5
	v_cndmask_b32_e64 v4, v4, v5, s[18:19]
	v_cmp_gt_u32_e64 s[18:19], 12, v3
	v_cndmask_b32_e64 v5, 0, 1, s[18:19]
	v_lshlrev_b32_e32 v5, 2, v5
	v_add_lshl_u32 v5, v5, v1, 2
	ds_bpermute_b32 v5, v5, v4
	v_cmp_gt_u32_e64 s[18:19], s28, v6
	s_waitcnt lgkmcnt(0)
	v_add_f32_e32 v5, v4, v5
	v_cndmask_b32_e64 v4, v4, v5, s[18:19]
	v_cmp_gt_u32_e64 s[18:19], 8, v3
	v_cndmask_b32_e64 v5, 0, 1, s[18:19]
	v_lshlrev_b32_e32 v5, 3, v5
	v_add_lshl_u32 v5, v5, v1, 2
	ds_bpermute_b32 v5, v5, v4
	v_add_u32_e32 v3, 8, v3
	v_cmp_gt_u32_e64 s[18:19], s28, v3
	s_waitcnt lgkmcnt(0)
	v_add_f32_e32 v5, v4, v5
	v_cndmask_b32_e64 v3, v4, v5, s[18:19]
	v_cndmask_b32_e32 v2, v2, v3, vcc
.LBB13_54:
	s_or_b64 exec, exec, s[22:23]
	v_cmp_eq_u32_e64 s[18:19], 0, v0
	s_and_saveexec_b64 s[22:23], s[18:19]
	s_cbranch_execz .LBB13_56
; %bb.55:
	v_cvt_f32_i32_e32 v3, s37
	v_div_scale_f32 v4, s[28:29], v3, v3, v2
	v_rcp_f32_e32 v5, v4
	v_div_scale_f32 v6, vcc, v2, v3, v2
	s_mov_b32 s28, 0x800000
	v_fma_f32 v7, -v4, v5, 1.0
	v_fmac_f32_e32 v5, v7, v5
	v_mul_f32_e32 v7, v6, v5
	v_fma_f32 v8, -v4, v7, v6
	v_fmac_f32_e32 v7, v8, v5
	v_fma_f32 v4, -v4, v7, v6
	v_div_fmas_f32 v4, v4, v5, v7
	v_div_fixup_f32 v2, v4, v3, v2
	v_add_f32_e32 v2, s36, v2
	v_mul_f32_e32 v3, 0x4b800000, v2
	v_cmp_gt_f32_e32 vcc, s28, v2
	v_cndmask_b32_e32 v2, v2, v3, vcc
	v_rsq_f32_e32 v2, v2
	v_mul_f32_e32 v3, 0x45800000, v2
	v_cndmask_b32_e32 v2, v2, v3, vcc
	v_mov_b32_e32 v3, 0
	ds_write_b32 v3, v2 offset:256
.LBB13_56:
	s_or_b64 exec, exec, s[22:23]
	v_mov_b32_e32 v15, 0
	s_waitcnt lgkmcnt(0)
	s_barrier
	ds_read_b32 v8, v15 offset:256
	s_and_saveexec_b64 s[28:29], s[0:1]
	s_cbranch_execz .LBB13_66
; %bb.57:
	s_add_i32 s56, s52, s52
	s_mul_i32 s53, s52, 3
	s_lshl_b32 s54, s52, 1
	s_mov_b64 s[36:37], 0
	v_mov_b32_e32 v3, 0
	v_mov_b32_e32 v16, s48
	;; [unrolled: 1-line block ×4, first 2 shown]
	s_movk_i32 s55, 0x7fff
	v_mov_b32_e32 v19, 0x7fc00000
	s_add_i32 s56, s56, s52
	v_mov_b32_e32 v15, 0
	v_mov_b32_e32 v2, v0
                                        ; implicit-def: $sgpr40_sgpr41
	s_branch .LBB13_61
.LBB13_58:                              ;   in Loop: Header=BB13_61 Depth=1
	s_or_b64 exec, exec, s[46:47]
	s_orn2_b64 s[22:23], s[22:23], exec
.LBB13_59:                              ;   in Loop: Header=BB13_61 Depth=1
	s_or_b64 exec, exec, s[44:45]
	s_andn2_b64 s[40:41], s[40:41], exec
	s_and_b64 s[22:23], s[22:23], exec
	s_or_b64 s[40:41], s[40:41], s[22:23]
.LBB13_60:                              ;   in Loop: Header=BB13_61 Depth=1
	s_or_b64 exec, exec, s[42:43]
	s_and_b64 s[22:23], exec, s[40:41]
	s_or_b64 s[36:37], s[22:23], s[36:37]
	s_andn2_b64 exec, exec, s[36:37]
	s_cbranch_execz .LBB13_65
.LBB13_61:                              ; =>This Inner Loop Header: Depth=1
	v_lshlrev_b64 v[4:5], 3, v[2:3]
	v_add_co_u32_e32 v6, vcc, s33, v4
	v_addc_co_u32_e32 v7, vcc, v16, v5, vcc
	v_add_co_u32_e32 v20, vcc, s30, v4
	v_addc_co_u32_e32 v21, vcc, v17, v5, vcc
	;; [unrolled: 2-line block ×3, first 2 shown]
	global_load_dwordx2 v[6:7], v[6:7], off
	s_or_b64 s[40:41], s[40:41], exec
	global_load_dwordx2 v[22:23], v[4:5], off
	v_add_u32_e32 v4, s52, v2
	global_load_dwordx2 v[20:21], v[20:21], off
	v_cmp_gt_u32_e32 vcc, s51, v4
	s_waitcnt vmcnt(2)
	v_and_b32_e32 v5, 0xffff0000, v6
	v_lshlrev_b32_e32 v25, 16, v6
	v_alignbit_b32 v6, v7, v6, 16
	s_waitcnt vmcnt(1)
	v_and_b32_e32 v26, 0xffff0000, v22
	v_lshlrev_b32_e32 v27, 16, v22
	v_alignbit_b32 v22, v23, v22, 16
	v_and_b32_e32 v6, 0xffff0000, v6
	v_add_f32_e32 v25, v25, v27
	v_and_b32_e32 v22, 0xffff0000, v22
	v_and_b32_e32 v7, 0xffff0000, v7
	;; [unrolled: 1-line block ×3, first 2 shown]
	v_add_f32_e32 v5, v5, v26
	v_add_f32_e32 v6, v6, v22
	s_waitcnt lgkmcnt(0)
	v_mul_f32_e32 v22, v8, v25
	v_add_f32_e32 v7, v7, v23
	v_mul_f32_e32 v5, v8, v5
	v_bfe_u32 v23, v22, 16, 1
	v_mul_f32_e32 v7, v8, v7
	v_bfe_u32 v25, v5, 16, 1
	v_add3_u32 v23, v22, v23, s55
	v_bfe_u32 v26, v7, 16, 1
	v_add3_u32 v25, v5, v25, s55
	v_and_b32_e32 v23, 0xffff0000, v23
	v_cmp_o_f32_e64 s[22:23], v22, v22
	v_mul_f32_e32 v6, v8, v6
	v_add3_u32 v26, v7, v26, s55
	v_and_b32_e32 v25, 0xffff0000, v25
	v_cndmask_b32_e64 v22, v19, v23, s[22:23]
	v_cmp_o_f32_e64 s[22:23], v5, v5
	s_waitcnt vmcnt(0)
	v_lshlrev_b32_e32 v28, 16, v20
	v_bfe_u32 v27, v6, 16, 1
	v_and_b32_e32 v26, 0xffff0000, v26
	v_cndmask_b32_e64 v5, v19, v25, s[22:23]
	v_cmp_o_f32_e64 s[22:23], v7, v7
	v_and_b32_e32 v24, 0xffff0000, v20
	v_alignbit_b32 v20, v21, v20, 16
	v_and_b32_e32 v21, 0xffff0000, v21
	v_add3_u32 v27, v6, v27, s55
	v_cndmask_b32_e64 v7, v19, v26, s[22:23]
	v_mul_f32_e32 v22, v22, v28
	v_and_b32_e32 v23, 0xffff0000, v27
	v_mul_f32_e32 v5, v5, v24
	v_cmp_o_f32_e64 s[22:23], v6, v6
	v_mul_f32_e32 v7, v7, v21
	v_bfe_u32 v21, v22, 16, 1
	v_and_b32_e32 v20, 0xffff0000, v20
	v_cndmask_b32_e64 v6, v19, v23, s[22:23]
	v_bfe_u32 v23, v5, 16, 1
	v_add3_u32 v21, v22, v21, s55
	v_mul_f32_e32 v6, v6, v20
	v_bfe_u32 v20, v7, 16, 1
	v_add3_u32 v23, v5, v23, s55
	v_and_b32_e32 v21, 0xffff0000, v21
	v_cmp_o_f32_e64 s[22:23], v22, v22
	v_bfe_u32 v24, v6, 16, 1
	v_add3_u32 v20, v7, v20, s55
	v_and_b32_e32 v23, 0xffff0000, v23
	v_cndmask_b32_e64 v21, v19, |v21|, s[22:23]
	v_cmp_o_f32_e64 s[22:23], v5, v5
	v_add3_u32 v24, v6, v24, s55
	v_and_b32_e32 v20, 0xffff0000, v20
	v_cndmask_b32_e64 v5, v19, |v23|, s[22:23]
	v_cmp_o_f32_e64 s[22:23], v7, v7
	v_and_b32_e32 v22, 0xffff0000, v24
	v_cndmask_b32_e64 v7, v19, |v20|, s[22:23]
	v_cmp_o_f32_e64 s[22:23], v6, v6
	v_max3_f32 v5, v15, v21, v5
	v_cndmask_b32_e64 v6, v19, |v22|, s[22:23]
	v_max3_f32 v15, v5, v6, v7
	s_and_saveexec_b64 s[42:43], vcc
	s_cbranch_execz .LBB13_60
; %bb.62:                               ;   in Loop: Header=BB13_61 Depth=1
	v_mov_b32_e32 v5, v3
	v_lshlrev_b64 v[6:7], 3, v[4:5]
	v_add_co_u32_e32 v20, vcc, s33, v6
	v_addc_co_u32_e32 v21, vcc, v16, v7, vcc
	v_add_co_u32_e32 v22, vcc, s30, v6
	v_addc_co_u32_e32 v23, vcc, v17, v7, vcc
	;; [unrolled: 2-line block ×3, first 2 shown]
	global_load_dwordx2 v[20:21], v[20:21], off
	s_waitcnt vmcnt(0)
	v_and_b32_e32 v5, 0xffff0000, v20
	global_load_dwordx2 v[24:25], v[6:7], off
	v_lshlrev_b32_e32 v26, 16, v20
	global_load_dwordx2 v[22:23], v[22:23], off
	v_alignbit_b32 v20, v21, v20, 16
	v_and_b32_e32 v20, 0xffff0000, v20
	v_and_b32_e32 v21, 0xffff0000, v21
	v_add_u32_e32 v6, s54, v2
	v_cmp_gt_u32_e32 vcc, s51, v6
	s_waitcnt vmcnt(1)
	v_and_b32_e32 v27, 0xffff0000, v24
	v_lshlrev_b32_e32 v28, 16, v24
	v_alignbit_b32 v24, v25, v24, 16
	v_add_f32_e32 v26, v26, v28
	v_and_b32_e32 v24, 0xffff0000, v24
	v_and_b32_e32 v25, 0xffff0000, v25
	v_add_f32_e32 v5, v5, v27
	v_add_f32_e32 v20, v20, v24
	v_mul_f32_e32 v24, v8, v26
	v_add_f32_e32 v21, v21, v25
	v_mul_f32_e32 v5, v8, v5
	v_bfe_u32 v25, v24, 16, 1
	v_mul_f32_e32 v21, v8, v21
	v_bfe_u32 v26, v5, 16, 1
	v_add3_u32 v25, v24, v25, s55
	v_bfe_u32 v27, v21, 16, 1
	v_add3_u32 v26, v5, v26, s55
	v_and_b32_e32 v25, 0xffff0000, v25
	v_cmp_o_f32_e64 s[22:23], v24, v24
	v_mul_f32_e32 v20, v8, v20
	v_add3_u32 v27, v21, v27, s55
	v_and_b32_e32 v26, 0xffff0000, v26
	v_cndmask_b32_e64 v24, v19, v25, s[22:23]
	v_cmp_o_f32_e64 s[22:23], v5, v5
	s_waitcnt vmcnt(0)
	v_lshlrev_b32_e32 v29, 16, v22
	v_bfe_u32 v28, v20, 16, 1
	v_and_b32_e32 v27, 0xffff0000, v27
	v_cndmask_b32_e64 v5, v19, v26, s[22:23]
	v_cmp_o_f32_e64 s[22:23], v21, v21
	v_and_b32_e32 v7, 0xffff0000, v22
	v_alignbit_b32 v22, v23, v22, 16
	v_and_b32_e32 v23, 0xffff0000, v23
	v_add3_u32 v28, v20, v28, s55
	v_cndmask_b32_e64 v21, v19, v27, s[22:23]
	v_mul_f32_e32 v24, v24, v29
	v_and_b32_e32 v25, 0xffff0000, v28
	v_mul_f32_e32 v5, v5, v7
	v_cmp_o_f32_e64 s[22:23], v20, v20
	v_mul_f32_e32 v20, v21, v23
	v_bfe_u32 v21, v24, 16, 1
	v_and_b32_e32 v22, 0xffff0000, v22
	v_cndmask_b32_e64 v7, v19, v25, s[22:23]
	v_bfe_u32 v23, v5, 16, 1
	v_add3_u32 v21, v24, v21, s55
	v_mul_f32_e32 v7, v7, v22
	v_bfe_u32 v22, v20, 16, 1
	v_add3_u32 v23, v5, v23, s55
	v_and_b32_e32 v21, 0xffff0000, v21
	v_cmp_o_f32_e64 s[22:23], v24, v24
	v_bfe_u32 v25, v7, 16, 1
	v_add3_u32 v22, v20, v22, s55
	v_and_b32_e32 v23, 0xffff0000, v23
	v_cndmask_b32_e64 v21, v19, |v21|, s[22:23]
	v_cmp_o_f32_e64 s[22:23], v5, v5
	v_add3_u32 v25, v7, v25, s55
	v_and_b32_e32 v22, 0xffff0000, v22
	v_cndmask_b32_e64 v5, v19, |v23|, s[22:23]
	v_cmp_o_f32_e64 s[22:23], v20, v20
	v_and_b32_e32 v23, 0xffff0000, v25
	v_cndmask_b32_e64 v20, v19, |v22|, s[22:23]
	v_cmp_o_f32_e64 s[22:23], v7, v7
	v_max3_f32 v5, v15, v21, v5
	v_cndmask_b32_e64 v7, v19, |v23|, s[22:23]
	v_max3_f32 v15, v5, v7, v20
	s_mov_b64 s[22:23], -1
	s_and_saveexec_b64 s[44:45], vcc
	s_cbranch_execz .LBB13_59
; %bb.63:                               ;   in Loop: Header=BB13_61 Depth=1
	v_mov_b32_e32 v7, v3
	v_lshlrev_b64 v[6:7], 3, v[6:7]
	v_add_co_u32_e32 v20, vcc, s33, v6
	v_addc_co_u32_e32 v21, vcc, v16, v7, vcc
	v_add_co_u32_e32 v22, vcc, s30, v6
	v_addc_co_u32_e32 v23, vcc, v17, v7, vcc
	;; [unrolled: 2-line block ×3, first 2 shown]
	global_load_dwordx2 v[20:21], v[20:21], off
	v_add_u32_e32 v2, s53, v2
	global_load_dwordx2 v[6:7], v[6:7], off
	v_cmp_gt_u32_e32 vcc, s51, v2
	global_load_dwordx2 v[22:23], v[22:23], off
	s_waitcnt vmcnt(2)
	v_and_b32_e32 v5, 0xffff0000, v20
	v_lshlrev_b32_e32 v25, 16, v20
	v_alignbit_b32 v20, v21, v20, 16
	s_waitcnt vmcnt(1)
	v_and_b32_e32 v26, 0xffff0000, v6
	v_lshlrev_b32_e32 v27, 16, v6
	v_alignbit_b32 v6, v7, v6, 16
	v_and_b32_e32 v20, 0xffff0000, v20
	v_add_f32_e32 v25, v25, v27
	v_and_b32_e32 v6, 0xffff0000, v6
	s_waitcnt vmcnt(0)
	v_and_b32_e32 v24, 0xffff0000, v22
	v_and_b32_e32 v21, 0xffff0000, v21
	;; [unrolled: 1-line block ×3, first 2 shown]
	v_lshlrev_b32_e32 v28, 16, v22
	v_alignbit_b32 v22, v23, v22, 16
	v_add_f32_e32 v5, v5, v26
	v_add_f32_e32 v6, v20, v6
	v_mul_f32_e32 v20, v8, v25
	v_add_f32_e32 v7, v21, v7
	v_and_b32_e32 v21, 0xffff0000, v22
	v_mul_f32_e32 v5, v8, v5
	v_bfe_u32 v22, v20, 16, 1
	v_mul_f32_e32 v7, v8, v7
	v_bfe_u32 v25, v5, 16, 1
	v_add3_u32 v22, v20, v22, s55
	v_mul_f32_e32 v6, v8, v6
	v_bfe_u32 v26, v7, 16, 1
	v_add3_u32 v25, v5, v25, s55
	v_and_b32_e32 v22, 0xffff0000, v22
	v_cmp_o_f32_e64 s[22:23], v20, v20
	v_bfe_u32 v27, v6, 16, 1
	v_add3_u32 v26, v7, v26, s55
	v_and_b32_e32 v25, 0xffff0000, v25
	v_cndmask_b32_e64 v20, v19, v22, s[22:23]
	v_cmp_o_f32_e64 s[22:23], v5, v5
	v_add3_u32 v27, v6, v27, s55
	v_and_b32_e32 v26, 0xffff0000, v26
	v_cndmask_b32_e64 v5, v19, v25, s[22:23]
	v_cmp_o_f32_e64 s[22:23], v7, v7
	v_and_b32_e32 v22, 0xffff0000, v27
	v_cndmask_b32_e64 v7, v19, v26, s[22:23]
	v_mul_f32_e32 v20, v20, v28
	v_cmp_o_f32_e64 s[22:23], v6, v6
	v_and_b32_e32 v23, 0xffff0000, v23
	v_mul_f32_e32 v5, v5, v24
	v_cndmask_b32_e64 v6, v19, v22, s[22:23]
	v_bfe_u32 v22, v20, 16, 1
	v_mul_f32_e32 v7, v7, v23
	v_bfe_u32 v23, v5, 16, 1
	v_add3_u32 v22, v20, v22, s55
	v_mul_f32_e32 v6, v6, v21
	v_bfe_u32 v21, v7, 16, 1
	v_add3_u32 v23, v5, v23, s55
	v_and_b32_e32 v22, 0xffff0000, v22
	v_cmp_o_f32_e64 s[22:23], v20, v20
	v_bfe_u32 v24, v6, 16, 1
	v_add3_u32 v21, v7, v21, s55
	v_and_b32_e32 v23, 0xffff0000, v23
	v_cndmask_b32_e64 v20, v19, |v22|, s[22:23]
	v_cmp_o_f32_e64 s[22:23], v5, v5
	v_add3_u32 v24, v6, v24, s55
	v_and_b32_e32 v21, 0xffff0000, v21
	v_cndmask_b32_e64 v5, v19, |v23|, s[22:23]
	v_cmp_o_f32_e64 s[22:23], v7, v7
	v_and_b32_e32 v22, 0xffff0000, v24
	v_cndmask_b32_e64 v7, v19, |v21|, s[22:23]
	v_cmp_o_f32_e64 s[22:23], v6, v6
	v_max3_f32 v5, v15, v20, v5
	v_cndmask_b32_e64 v6, v19, |v22|, s[22:23]
	v_max3_f32 v15, v5, v6, v7
	s_mov_b64 s[22:23], -1
	s_and_saveexec_b64 s[46:47], vcc
	s_xor_b64 s[46:47], exec, s[46:47]
	s_cbranch_execz .LBB13_58
; %bb.64:                               ;   in Loop: Header=BB13_61 Depth=1
	v_lshlrev_b64 v[6:7], 3, v[2:3]
	v_mov_b32_e32 v2, s48
	v_add_co_u32_e32 v20, vcc, s33, v6
	v_addc_co_u32_e32 v21, vcc, v2, v7, vcc
	v_mov_b32_e32 v2, s31
	v_add_co_u32_e32 v22, vcc, s30, v6
	v_addc_co_u32_e32 v23, vcc, v2, v7, vcc
	;; [unrolled: 3-line block ×3, first 2 shown]
	global_load_dwordx2 v[20:21], v[20:21], off
	v_add_u32_e32 v2, s56, v4
	global_load_dwordx2 v[6:7], v[6:7], off
	v_cmp_le_u32_e32 vcc, s51, v2
	global_load_dwordx2 v[22:23], v[22:23], off
	s_waitcnt vmcnt(2)
	v_and_b32_e32 v4, 0xffff0000, v20
	v_lshlrev_b32_e32 v24, 16, v20
	v_alignbit_b32 v20, v21, v20, 16
	s_waitcnt vmcnt(1)
	v_and_b32_e32 v25, 0xffff0000, v6
	v_lshlrev_b32_e32 v26, 16, v6
	v_alignbit_b32 v6, v7, v6, 16
	v_and_b32_e32 v20, 0xffff0000, v20
	v_add_f32_e32 v24, v24, v26
	v_and_b32_e32 v6, 0xffff0000, v6
	s_waitcnt vmcnt(0)
	v_and_b32_e32 v5, 0xffff0000, v22
	v_and_b32_e32 v21, 0xffff0000, v21
	;; [unrolled: 1-line block ×3, first 2 shown]
	v_lshlrev_b32_e32 v27, 16, v22
	v_alignbit_b32 v22, v23, v22, 16
	v_add_f32_e32 v4, v4, v25
	v_add_f32_e32 v6, v20, v6
	v_mul_f32_e32 v20, v8, v24
	v_add_f32_e32 v7, v21, v7
	v_and_b32_e32 v21, 0xffff0000, v22
	v_mul_f32_e32 v4, v8, v4
	v_bfe_u32 v22, v20, 16, 1
	v_mul_f32_e32 v7, v8, v7
	v_bfe_u32 v24, v4, 16, 1
	v_add3_u32 v22, v20, v22, s55
	v_bfe_u32 v25, v7, 16, 1
	v_add3_u32 v24, v4, v24, s55
	v_and_b32_e32 v22, 0xffff0000, v22
	v_cmp_o_f32_e64 s[22:23], v20, v20
	v_mul_f32_e32 v6, v8, v6
	v_add3_u32 v25, v7, v25, s55
	v_and_b32_e32 v24, 0xffff0000, v24
	v_cndmask_b32_e64 v20, v19, v22, s[22:23]
	v_cmp_o_f32_e64 s[22:23], v4, v4
	v_bfe_u32 v26, v6, 16, 1
	v_and_b32_e32 v25, 0xffff0000, v25
	v_cndmask_b32_e64 v4, v19, v24, s[22:23]
	v_cmp_o_f32_e64 s[22:23], v7, v7
	v_and_b32_e32 v23, 0xffff0000, v23
	v_add3_u32 v26, v6, v26, s55
	v_cndmask_b32_e64 v7, v19, v25, s[22:23]
	v_mul_f32_e32 v20, v20, v27
	v_and_b32_e32 v22, 0xffff0000, v26
	v_mul_f32_e32 v4, v4, v5
	v_cmp_o_f32_e64 s[22:23], v6, v6
	v_mul_f32_e32 v6, v7, v23
	v_bfe_u32 v7, v20, 16, 1
	v_cndmask_b32_e64 v5, v19, v22, s[22:23]
	v_bfe_u32 v22, v4, 16, 1
	v_add3_u32 v7, v20, v7, s55
	v_mul_f32_e32 v5, v5, v21
	v_bfe_u32 v21, v6, 16, 1
	v_add3_u32 v22, v4, v22, s55
	v_and_b32_e32 v7, 0xffff0000, v7
	v_cmp_o_f32_e64 s[22:23], v20, v20
	v_bfe_u32 v23, v5, 16, 1
	v_add3_u32 v21, v6, v21, s55
	v_and_b32_e32 v22, 0xffff0000, v22
	v_cndmask_b32_e64 v7, v19, |v7|, s[22:23]
	v_cmp_o_f32_e64 s[22:23], v4, v4
	v_add3_u32 v23, v5, v23, s55
	v_and_b32_e32 v21, 0xffff0000, v21
	v_cndmask_b32_e64 v4, v19, |v22|, s[22:23]
	v_cmp_o_f32_e64 s[22:23], v6, v6
	v_and_b32_e32 v20, 0xffff0000, v23
	v_cndmask_b32_e64 v6, v19, |v21|, s[22:23]
	v_cmp_o_f32_e64 s[22:23], v5, v5
	v_max3_f32 v4, v15, v7, v4
	v_cndmask_b32_e64 v5, v19, |v20|, s[22:23]
	v_max3_f32 v15, v4, v5, v6
	s_orn2_b64 s[22:23], vcc, exec
	s_branch .LBB13_58
.LBB13_65:
	s_or_b64 exec, exec, s[36:37]
.LBB13_66:
	s_or_b64 exec, exec, s[28:29]
	ds_bpermute_b32 v2, v9, v15
	s_waitcnt lgkmcnt(0)
	v_cmp_lt_f32_e32 vcc, v15, v2
	v_cndmask_b32_e32 v2, v15, v2, vcc
	v_cndmask_b32_e64 v2, v15, v2, s[2:3]
	ds_bpermute_b32 v3, v10, v2
	s_or_b64 s[2:3], s[2:3], s[4:5]
	s_or_b64 s[2:3], s[8:9], s[2:3]
	;; [unrolled: 1-line block ×4, first 2 shown]
	s_waitcnt lgkmcnt(0)
	v_cmp_lt_f32_e32 vcc, v2, v3
	v_cndmask_b32_e32 v3, v2, v3, vcc
	v_cndmask_b32_e64 v2, v2, v3, s[4:5]
	ds_bpermute_b32 v3, v11, v2
	s_waitcnt lgkmcnt(0)
	v_cmp_lt_f32_e32 vcc, v2, v3
	v_cndmask_b32_e32 v3, v2, v3, vcc
	v_cndmask_b32_e64 v2, v2, v3, s[8:9]
	ds_bpermute_b32 v3, v12, v2
	;; [unrolled: 5-line block ×4, first 2 shown]
	s_waitcnt lgkmcnt(0)
	v_cmp_lt_f32_e32 vcc, v2, v3
	s_and_b64 vcc, s[20:21], vcc
	v_cndmask_b32_e32 v2, v2, v3, vcc
	s_or_b64 vcc, s[20:21], s[2:3]
	v_cndmask_b32_e32 v2, v15, v2, vcc
	s_and_saveexec_b64 s[2:3], s[14:15]
	s_cbranch_execz .LBB13_68
; %bb.67:
	v_lshrrev_b32_e32 v3, 4, v0
	v_and_b32_e32 v3, 60, v3
	ds_write_b32 v3, v2 offset:64
.LBB13_68:
	s_or_b64 exec, exec, s[2:3]
	s_waitcnt lgkmcnt(0)
	s_barrier
	s_and_saveexec_b64 s[8:9], s[16:17]
	s_cbranch_execz .LBB13_70
; %bb.69:
	v_lshlrev_b32_e32 v2, 2, v1
	ds_read_b32 v2, v2 offset:64
	v_and_b32_e32 v3, 15, v1
	v_cmp_ne_u32_e32 vcc, 15, v3
	v_addc_co_u32_e32 v4, vcc, 0, v1, vcc
	v_lshlrev_b32_e32 v4, 2, v4
	s_waitcnt lgkmcnt(0)
	ds_bpermute_b32 v4, v4, v2
	s_add_i32 s2, s52, 63
	s_lshr_b32 s4, s2, 6
	v_add_u32_e32 v5, 1, v3
	v_cmp_gt_u32_e64 s[2:3], 14, v3
	s_waitcnt lgkmcnt(0)
	v_cmp_lt_f32_e32 vcc, v2, v4
	v_cndmask_b32_e32 v4, v2, v4, vcc
	v_cmp_gt_u32_e32 vcc, s4, v5
	v_cndmask_b32_e64 v5, 0, 1, s[2:3]
	v_lshlrev_b32_e32 v5, 1, v5
	v_cndmask_b32_e32 v4, v2, v4, vcc
	v_add_lshl_u32 v5, v5, v1, 2
	ds_bpermute_b32 v5, v5, v4
	v_add_u32_e32 v6, 2, v3
	s_waitcnt lgkmcnt(0)
	v_cmp_lt_f32_e64 s[2:3], v4, v5
	v_cndmask_b32_e64 v5, v4, v5, s[2:3]
	v_cmp_gt_u32_e64 s[2:3], s4, v6
	v_cndmask_b32_e64 v4, v4, v5, s[2:3]
	v_cmp_gt_u32_e64 s[2:3], 12, v3
	v_cndmask_b32_e64 v5, 0, 1, s[2:3]
	v_lshlrev_b32_e32 v5, 2, v5
	v_add_lshl_u32 v5, v5, v1, 2
	ds_bpermute_b32 v5, v5, v4
	v_add_u32_e32 v6, 4, v3
	s_waitcnt lgkmcnt(0)
	v_cmp_lt_f32_e64 s[2:3], v4, v5
	v_cndmask_b32_e64 v5, v4, v5, s[2:3]
	v_cmp_gt_u32_e64 s[2:3], s4, v6
	v_cndmask_b32_e64 v4, v4, v5, s[2:3]
	v_cmp_gt_u32_e64 s[2:3], 8, v3
	v_cndmask_b32_e64 v5, 0, 1, s[2:3]
	v_lshlrev_b32_e32 v5, 3, v5
	v_add_lshl_u32 v1, v5, v1, 2
	ds_bpermute_b32 v1, v1, v4
	v_add_u32_e32 v3, 8, v3
	v_cmp_gt_u32_e64 s[2:3], s4, v3
	s_waitcnt lgkmcnt(0)
	v_cmp_lt_f32_e64 s[4:5], v4, v1
	s_and_b64 s[2:3], s[2:3], s[4:5]
	v_cndmask_b32_e64 v1, v4, v1, s[2:3]
	v_cndmask_b32_e32 v2, v2, v1, vcc
.LBB13_70:
	s_or_b64 exec, exec, s[8:9]
	s_and_saveexec_b64 s[2:3], s[18:19]
	s_cbranch_execz .LBB13_74
; %bb.71:
	s_cmp_eq_u64 s[34:35], 0
	s_cbranch_scc1 .LBB13_73
; %bb.72:
	s_load_dword s4, s[34:35], 0x0
	v_max_f32_e32 v1, v2, v2
	s_waitcnt lgkmcnt(0)
	v_max_f32_e64 v2, s4, s4
	v_min_f32_e32 v2, v1, v2
.LBB13_73:
	s_mov_b32 s8, 0x43600000
	v_div_scale_f32 v1, s[4:5], s8, s8, v2
	v_rcp_f32_e32 v3, v1
	v_div_scale_f32 v4, vcc, v2, s8, v2
	s_lshl_b64 s[4:5], s[6:7], 2
	v_fma_f32 v5, -v1, v3, 1.0
	v_fmac_f32_e32 v3, v5, v3
	v_mul_f32_e32 v5, v4, v3
	v_fma_f32 v6, -v1, v5, v4
	v_fmac_f32_e32 v5, v6, v3
	v_fma_f32 v1, -v1, v5, v4
	v_div_fmas_f32 v1, v1, v3, v5
	v_div_fixup_f32 v1, v1, s8, v2
	s_add_u32 s4, s26, s4
	v_max_f32_e32 v1, 0x37124925, v1
	v_mov_b32_e32 v2, 0
	s_addc_u32 s5, s27, s5
	ds_write_b32 v2, v1 offset:260
	global_store_dword v2, v1, s[4:5]
.LBB13_74:
	s_or_b64 exec, exec, s[2:3]
	s_waitcnt lgkmcnt(0)
	s_barrier
	s_and_saveexec_b64 s[2:3], s[0:1]
	s_cbranch_execz .LBB13_211
; %bb.75:
	v_mov_b32_e32 v1, 0
	ds_read_b32 v9, v1 offset:260
	s_add_u32 s14, s24, s38
	s_addc_u32 s15, s25, s39
	s_mul_i32 s16, s52, 3
	s_lshl_b32 s17, s52, 1
	s_mov_b64 s[0:1], 0
	v_mov_b32_e32 v10, s48
	v_mov_b32_e32 v11, s31
	;; [unrolled: 1-line block ×3, first 2 shown]
	s_movk_i32 s18, 0x7fff
	v_mov_b32_e32 v13, 0x7fc00000
	v_mov_b32_e32 v14, 0x7fc0
	s_mov_b32 s19, 0x43800000
	s_mov_b32 s20, 0x3bffffff
	;; [unrolled: 1-line block ×4, first 2 shown]
	s_movk_i32 s23, 0x80
	s_mov_b32 s24, 0x4020c0c
	s_branch .LBB13_81
.LBB13_76:                              ;   in Loop: Header=BB13_81 Depth=1
	s_or_b64 exec, exec, s[12:13]
.LBB13_77:                              ;   in Loop: Header=BB13_81 Depth=1
	s_or_b64 exec, exec, s[8:9]
	v_lshlrev_b64 v[16:17], 2, v[0:1]
	v_mov_b32_e32 v0, s15
	v_add_co_u32_e32 v16, vcc, s14, v16
	v_addc_co_u32_e32 v17, vcc, v0, v17, vcc
	v_lshlrev_b32_e32 v0, 16, v15
	v_lshlrev_b32_e32 v3, 8, v3
	v_perm_b32 v0, v4, v0, s24
	v_and_b32_e32 v3, 0xff00, v3
	v_and_b32_e32 v4, 0xff, v6
	s_add_i32 s8, s52, s52
	v_or3_b32 v0, v0, v3, v4
	s_add_i32 s8, s8, s52
	global_store_dword v[16:17], v0, off
	v_add_u32_e32 v0, s8, v2
	v_cmp_le_u32_e32 vcc, s51, v0
	s_orn2_b64 s[8:9], vcc, exec
.LBB13_78:                              ;   in Loop: Header=BB13_81 Depth=1
	s_or_b64 exec, exec, s[6:7]
	s_orn2_b64 s[6:7], s[8:9], exec
.LBB13_79:                              ;   in Loop: Header=BB13_81 Depth=1
	s_or_b64 exec, exec, s[4:5]
	s_orn2_b64 s[4:5], s[6:7], exec
.LBB13_80:                              ;   in Loop: Header=BB13_81 Depth=1
	s_or_b64 exec, exec, s[2:3]
	s_and_b64 s[2:3], exec, s[4:5]
	s_or_b64 s[0:1], s[2:3], s[0:1]
	s_andn2_b64 exec, exec, s[0:1]
	s_cbranch_execz .LBB13_211
.LBB13_81:                              ; =>This Inner Loop Header: Depth=1
	v_lshlrev_b64 v[2:3], 3, v[0:1]
	v_add_co_u32_e32 v4, vcc, s33, v2
	v_addc_co_u32_e32 v5, vcc, v10, v3, vcc
	v_add_co_u32_e32 v16, vcc, s49, v2
	v_addc_co_u32_e32 v17, vcc, v12, v3, vcc
	global_load_dwordx2 v[6:7], v[4:5], off
	global_load_dwordx2 v[18:19], v[16:17], off
	v_add_co_u32_e32 v2, vcc, s30, v2
	v_addc_co_u32_e32 v3, vcc, v11, v3, vcc
	global_load_dwordx2 v[2:3], v[2:3], off
	v_mov_b32_e32 v4, 0x80
	s_waitcnt vmcnt(2)
	v_and_b32_e32 v5, 0xffff0000, v6
	v_lshlrev_b32_e32 v15, 16, v6
	v_alignbit_b32 v6, v7, v6, 16
	v_and_b32_e32 v7, 0xffff0000, v7
	s_waitcnt vmcnt(1)
	v_and_b32_e32 v20, 0xffff0000, v18
	v_lshlrev_b32_e32 v21, 16, v18
	v_alignbit_b32 v18, v19, v18, 16
	v_and_b32_e32 v19, 0xffff0000, v19
	v_and_b32_e32 v23, 0xffff0000, v6
	v_add_f32_e32 v6, v7, v19
	v_add_f32_e32 v21, v15, v21
	;; [unrolled: 1-line block ×3, first 2 shown]
	v_bfe_u32 v19, v6, 16, 1
	v_and_b32_e32 v5, 0xffff0000, v18
	v_bfe_u32 v18, v15, 16, 1
	v_add3_u32 v19, v6, v19, s18
	v_add_f32_e32 v7, v23, v5
	v_bfe_u32 v5, v21, 16, 1
	v_add3_u32 v18, v15, v18, s18
	v_and_b32_e32 v19, 0xffff0000, v19
	v_cmp_o_f32_e32 vcc, v6, v6
	v_mul_f32_e32 v20, v8, v21
	v_add3_u32 v5, v21, v5, s18
	v_bfe_u32 v23, v7, 16, 1
	v_and_b32_e32 v18, 0xffff0000, v18
	v_cndmask_b32_e32 v19, v13, v19, vcc
	v_cmp_o_f32_e32 vcc, v15, v15
	v_bfe_u32 v24, v20, 16, 1
	v_lshrrev_b32_e32 v5, 16, v5
	v_add3_u32 v23, v7, v23, s18
	v_cndmask_b32_e32 v18, v13, v18, vcc
	v_cmp_o_f32_e32 vcc, v21, v21
	v_add3_u32 v24, v20, v24, s18
	v_lshrrev_b32_e32 v23, 16, v23
	v_cndmask_b32_e32 v5, v14, v5, vcc
	v_cmp_o_f32_e32 vcc, v7, v7
	v_and_b32_e32 v21, 0xffff0000, v24
	v_cndmask_b32_e32 v23, v14, v23, vcc
	v_cmp_o_f32_e32 vcc, v20, v20
	s_waitcnt vmcnt(0)
	v_lshlrev_b32_e32 v22, 16, v2
	v_or_b32_e32 v5, v5, v18
	v_cndmask_b32_e32 v20, v13, v21, vcc
	v_or3_b32 v18, v5, 0, 0
	v_mul_f32_e32 v5, v20, v22
	v_bfe_u32 v20, v5, 16, 1
	v_add3_u32 v20, v5, v20, s18
	v_and_b32_e32 v20, 0xffff0000, v20
	v_cmp_o_f32_e32 vcc, v5, v5
	v_cndmask_b32_e32 v5, v13, v20, vcc
	s_waitcnt lgkmcnt(0)
	v_div_scale_f32 v20, s[2:3], v9, v9, v5
	v_rcp_f32_e32 v21, v20
	v_or3_b32 v19, 0, v23, v19
	global_store_dwordx2 v[16:17], v[18:19], off
	v_div_scale_f32 v16, vcc, v5, v9, v5
	v_fma_f32 v17, -v20, v21, 1.0
	v_fmac_f32_e32 v21, v17, v21
	v_mul_f32_e32 v17, v16, v21
	v_fma_f32 v18, -v20, v17, v16
	v_fmac_f32_e32 v17, v18, v21
	v_fma_f32 v16, -v20, v17, v16
	v_div_fmas_f32 v16, v16, v21, v17
	v_div_fixup_f32 v5, v16, v9, v5
	v_min_f32_e32 v5, 0x43600000, v5
	v_max_f32_e32 v16, 0xc3600000, v5
	v_and_b32_e32 v17, 0x7fffffff, v16
	v_cmp_gt_u32_e32 vcc, s19, v17
	v_mov_b32_e32 v5, 0x80
	s_and_saveexec_b64 s[2:3], vcc
	s_cbranch_execz .LBB13_87
; %bb.82:                               ;   in Loop: Header=BB13_81 Depth=1
	v_cmp_lt_u32_e32 vcc, s20, v17
	s_mov_b64 s[4:5], 0
                                        ; implicit-def: $vgpr17
	s_and_saveexec_b64 s[6:7], vcc
	s_xor_b64 s[6:7], exec, s[6:7]
	s_cbranch_execnz .LBB13_178
; %bb.83:                               ;   in Loop: Header=BB13_81 Depth=1
	s_or_saveexec_b64 s[6:7], s[6:7]
                                        ; implicit-def: $sgpr8
	s_xor_b64 exec, exec, s[6:7]
	s_cbranch_execnz .LBB13_179
.LBB13_84:                              ;   in Loop: Header=BB13_81 Depth=1
	s_or_b64 exec, exec, s[6:7]
	v_mov_b32_e32 v5, s8
	s_and_saveexec_b64 s[6:7], s[4:5]
.LBB13_85:                              ;   in Loop: Header=BB13_81 Depth=1
	v_lshrrev_b32_e32 v5, 24, v16
	v_and_or_b32 v5, v5, s23, v17
.LBB13_86:                              ;   in Loop: Header=BB13_81 Depth=1
	s_or_b64 exec, exec, s[6:7]
.LBB13_87:                              ;   in Loop: Header=BB13_81 Depth=1
	s_or_b64 exec, exec, s[2:3]
	v_mul_f32_e32 v15, v8, v15
	v_bfe_u32 v17, v15, 16, 1
	v_add3_u32 v17, v15, v17, s18
	v_and_b32_e32 v17, 0xffff0000, v17
	v_cmp_o_f32_e32 vcc, v15, v15
	v_and_b32_e32 v16, 0xffff0000, v2
	v_cndmask_b32_e32 v15, v13, v17, vcc
	v_mul_f32_e32 v15, v15, v16
	v_bfe_u32 v16, v15, 16, 1
	v_add3_u32 v16, v15, v16, s18
	v_and_b32_e32 v16, 0xffff0000, v16
	v_cmp_o_f32_e32 vcc, v15, v15
	v_cndmask_b32_e32 v15, v13, v16, vcc
	v_div_scale_f32 v16, s[2:3], v9, v9, v15
	v_rcp_f32_e32 v17, v16
	v_fma_f32 v18, -v16, v17, 1.0
	v_fmac_f32_e32 v17, v18, v17
	v_div_scale_f32 v18, vcc, v15, v9, v15
	v_mul_f32_e32 v19, v18, v17
	v_fma_f32 v20, -v16, v19, v18
	v_fmac_f32_e32 v19, v20, v17
	v_fma_f32 v16, -v16, v19, v18
	v_div_fmas_f32 v16, v16, v17, v19
	v_div_fixup_f32 v15, v16, v9, v15
	v_min_f32_e32 v15, 0x43600000, v15
	v_max_f32_e32 v15, 0xc3600000, v15
	v_and_b32_e32 v16, 0x7fffffff, v15
	v_cmp_gt_u32_e32 vcc, s19, v16
	s_and_saveexec_b64 s[2:3], vcc
	s_cbranch_execz .LBB13_93
; %bb.88:                               ;   in Loop: Header=BB13_81 Depth=1
	v_cmp_lt_u32_e32 vcc, s20, v16
	s_mov_b64 s[4:5], 0
                                        ; implicit-def: $vgpr16
	s_and_saveexec_b64 s[6:7], vcc
	s_xor_b64 s[6:7], exec, s[6:7]
	s_cbranch_execnz .LBB13_180
; %bb.89:                               ;   in Loop: Header=BB13_81 Depth=1
	s_or_saveexec_b64 s[6:7], s[6:7]
                                        ; implicit-def: $sgpr8
	s_xor_b64 exec, exec, s[6:7]
	s_cbranch_execnz .LBB13_181
.LBB13_90:                              ;   in Loop: Header=BB13_81 Depth=1
	s_or_b64 exec, exec, s[6:7]
	v_mov_b32_e32 v4, s8
	s_and_saveexec_b64 s[6:7], s[4:5]
.LBB13_91:                              ;   in Loop: Header=BB13_81 Depth=1
	v_lshrrev_b32_e32 v4, 24, v15
	v_and_or_b32 v4, v4, s23, v16
.LBB13_92:                              ;   in Loop: Header=BB13_81 Depth=1
	s_or_b64 exec, exec, s[6:7]
.LBB13_93:                              ;   in Loop: Header=BB13_81 Depth=1
	s_or_b64 exec, exec, s[2:3]
	v_mul_f32_e32 v7, v8, v7
	v_bfe_u32 v15, v7, 16, 1
	v_add3_u32 v15, v7, v15, s18
	v_and_b32_e32 v15, 0xffff0000, v15
	v_cmp_o_f32_e32 vcc, v7, v7
	v_alignbit_b32 v2, v3, v2, 16
	v_cndmask_b32_e32 v7, v13, v15, vcc
	v_and_b32_e32 v2, 0xffff0000, v2
	v_mul_f32_e32 v2, v7, v2
	v_bfe_u32 v7, v2, 16, 1
	v_add3_u32 v7, v2, v7, s18
	v_and_b32_e32 v7, 0xffff0000, v7
	v_cmp_o_f32_e32 vcc, v2, v2
	v_cndmask_b32_e32 v2, v13, v7, vcc
	v_div_scale_f32 v7, s[2:3], v9, v9, v2
	v_rcp_f32_e32 v15, v7
	v_fma_f32 v16, -v7, v15, 1.0
	v_fmac_f32_e32 v15, v16, v15
	v_div_scale_f32 v16, vcc, v2, v9, v2
	v_mul_f32_e32 v17, v16, v15
	v_fma_f32 v18, -v7, v17, v16
	v_fmac_f32_e32 v17, v18, v15
	v_fma_f32 v7, -v7, v17, v16
	v_div_fmas_f32 v7, v7, v15, v17
	v_div_fixup_f32 v2, v7, v9, v2
	v_min_f32_e32 v2, 0x43600000, v2
	v_max_f32_e32 v15, 0xc3600000, v2
	v_and_b32_e32 v16, 0x7fffffff, v15
	v_cmp_gt_u32_e32 vcc, s19, v16
	v_mov_b32_e32 v2, 0x80
	v_mov_b32_e32 v7, 0x80
	s_and_saveexec_b64 s[2:3], vcc
	s_cbranch_execz .LBB13_99
; %bb.94:                               ;   in Loop: Header=BB13_81 Depth=1
	v_cmp_lt_u32_e32 vcc, s20, v16
	s_mov_b64 s[4:5], 0
                                        ; implicit-def: $vgpr16
	s_and_saveexec_b64 s[6:7], vcc
	s_xor_b64 s[6:7], exec, s[6:7]
	s_cbranch_execnz .LBB13_182
; %bb.95:                               ;   in Loop: Header=BB13_81 Depth=1
	s_or_saveexec_b64 s[6:7], s[6:7]
                                        ; implicit-def: $sgpr8
	s_xor_b64 exec, exec, s[6:7]
	s_cbranch_execnz .LBB13_183
.LBB13_96:                              ;   in Loop: Header=BB13_81 Depth=1
	s_or_b64 exec, exec, s[6:7]
	v_mov_b32_e32 v7, s8
	s_and_saveexec_b64 s[6:7], s[4:5]
.LBB13_97:                              ;   in Loop: Header=BB13_81 Depth=1
	v_lshrrev_b32_e32 v7, 24, v15
	v_and_or_b32 v7, v7, s23, v16
.LBB13_98:                              ;   in Loop: Header=BB13_81 Depth=1
	s_or_b64 exec, exec, s[6:7]
.LBB13_99:                              ;   in Loop: Header=BB13_81 Depth=1
	s_or_b64 exec, exec, s[2:3]
	v_mul_f32_e32 v6, v8, v6
	v_bfe_u32 v15, v6, 16, 1
	v_add3_u32 v15, v6, v15, s18
	v_and_b32_e32 v15, 0xffff0000, v15
	v_cmp_o_f32_e32 vcc, v6, v6
	v_cndmask_b32_e32 v6, v13, v15, vcc
	v_and_b32_e32 v3, 0xffff0000, v3
	v_mul_f32_e32 v3, v6, v3
	v_bfe_u32 v6, v3, 16, 1
	v_add3_u32 v6, v3, v6, s18
	v_and_b32_e32 v6, 0xffff0000, v6
	v_cmp_o_f32_e32 vcc, v3, v3
	v_cndmask_b32_e32 v3, v13, v6, vcc
	v_div_scale_f32 v6, s[2:3], v9, v9, v3
	v_rcp_f32_e32 v15, v6
	v_fma_f32 v16, -v6, v15, 1.0
	v_fmac_f32_e32 v15, v16, v15
	v_div_scale_f32 v16, vcc, v3, v9, v3
	v_mul_f32_e32 v17, v16, v15
	v_fma_f32 v18, -v6, v17, v16
	v_fmac_f32_e32 v17, v18, v15
	v_fma_f32 v6, -v6, v17, v16
	v_div_fmas_f32 v6, v6, v15, v17
	v_div_fixup_f32 v3, v6, v9, v3
	v_min_f32_e32 v3, 0x43600000, v3
	v_max_f32_e32 v3, 0xc3600000, v3
	v_and_b32_e32 v6, 0x7fffffff, v3
	v_cmp_gt_u32_e32 vcc, s19, v6
	s_and_saveexec_b64 s[2:3], vcc
	s_cbranch_execz .LBB13_105
; %bb.100:                              ;   in Loop: Header=BB13_81 Depth=1
	v_cmp_lt_u32_e32 vcc, s20, v6
	s_mov_b64 s[4:5], 0
                                        ; implicit-def: $vgpr6
	s_and_saveexec_b64 s[6:7], vcc
	s_xor_b64 s[6:7], exec, s[6:7]
	s_cbranch_execnz .LBB13_184
; %bb.101:                              ;   in Loop: Header=BB13_81 Depth=1
	s_or_saveexec_b64 s[6:7], s[6:7]
                                        ; implicit-def: $sgpr8
	s_xor_b64 exec, exec, s[6:7]
	s_cbranch_execnz .LBB13_185
.LBB13_102:                             ;   in Loop: Header=BB13_81 Depth=1
	s_or_b64 exec, exec, s[6:7]
	v_mov_b32_e32 v2, s8
	s_and_saveexec_b64 s[6:7], s[4:5]
.LBB13_103:                             ;   in Loop: Header=BB13_81 Depth=1
	v_lshrrev_b32_e32 v2, 24, v3
	v_and_or_b32 v2, v2, s23, v6
.LBB13_104:                             ;   in Loop: Header=BB13_81 Depth=1
	s_or_b64 exec, exec, s[6:7]
.LBB13_105:                             ;   in Loop: Header=BB13_81 Depth=1
	s_or_b64 exec, exec, s[2:3]
	v_lshlrev_b64 v[16:17], 2, v[0:1]
	v_mov_b32_e32 v3, s15
	v_add_co_u32_e32 v16, vcc, s14, v16
	v_addc_co_u32_e32 v17, vcc, v3, v17, vcc
	v_lshlrev_b32_e32 v3, 16, v7
	v_perm_b32 v2, v2, v3, s24
	v_lshlrev_b32_e32 v3, 8, v4
	v_and_b32_e32 v3, 0xff00, v3
	v_and_b32_e32 v4, 0xff, v5
	v_or3_b32 v2, v2, v3, v4
	global_store_dword v[16:17], v2, off
	v_add_u32_e32 v2, s52, v0
	v_cmp_gt_u32_e32 vcc, s51, v2
	s_mov_b64 s[4:5], -1
	s_and_saveexec_b64 s[2:3], vcc
	s_cbranch_execz .LBB13_80
; %bb.106:                              ;   in Loop: Header=BB13_81 Depth=1
	v_mov_b32_e32 v3, v1
	v_lshlrev_b64 v[4:5], 3, v[2:3]
	v_mov_b32_e32 v7, s48
	v_add_co_u32_e32 v6, vcc, s33, v4
	v_addc_co_u32_e32 v7, vcc, v7, v5, vcc
	global_load_dwordx2 v[16:17], v[6:7], off
	v_mov_b32_e32 v7, s50
	v_add_co_u32_e32 v18, vcc, s49, v4
	v_addc_co_u32_e32 v19, vcc, v7, v5, vcc
	global_load_dwordx2 v[20:21], v[18:19], off
	;; [unrolled: 4-line block ×3, first 2 shown]
	v_mov_b32_e32 v6, 0x80
	s_waitcnt vmcnt(2)
	v_and_b32_e32 v7, 0xffff0000, v16
	v_lshlrev_b32_e32 v15, 16, v16
	v_alignbit_b32 v16, v17, v16, 16
	v_and_b32_e32 v22, 0xffff0000, v17
	v_and_b32_e32 v16, 0xffff0000, v16
	s_waitcnt vmcnt(1)
	v_and_b32_e32 v17, 0xffff0000, v20
	v_lshlrev_b32_e32 v23, 16, v20
	v_alignbit_b32 v20, v21, v20, 16
	v_and_b32_e32 v21, 0xffff0000, v21
	v_add_f32_e32 v23, v15, v23
	v_add_f32_e32 v15, v22, v21
	;; [unrolled: 1-line block ×3, first 2 shown]
	v_bfe_u32 v21, v15, 16, 1
	v_and_b32_e32 v7, 0xffff0000, v20
	v_bfe_u32 v20, v17, 16, 1
	v_add3_u32 v21, v15, v21, s18
	v_add_f32_e32 v16, v16, v7
	v_bfe_u32 v7, v23, 16, 1
	v_add3_u32 v20, v17, v20, s18
	v_and_b32_e32 v21, 0xffff0000, v21
	v_cmp_o_f32_e32 vcc, v15, v15
	v_mul_f32_e32 v22, v8, v23
	v_add3_u32 v7, v23, v7, s18
	v_bfe_u32 v25, v16, 16, 1
	v_and_b32_e32 v20, 0xffff0000, v20
	v_cndmask_b32_e32 v21, v13, v21, vcc
	v_cmp_o_f32_e32 vcc, v17, v17
	v_bfe_u32 v26, v22, 16, 1
	v_lshrrev_b32_e32 v7, 16, v7
	v_add3_u32 v25, v16, v25, s18
	v_cndmask_b32_e32 v20, v13, v20, vcc
	v_cmp_o_f32_e32 vcc, v23, v23
	v_add3_u32 v26, v22, v26, s18
	v_lshrrev_b32_e32 v25, 16, v25
	v_cndmask_b32_e32 v7, v14, v7, vcc
	v_cmp_o_f32_e32 vcc, v16, v16
	v_and_b32_e32 v23, 0xffff0000, v26
	v_cndmask_b32_e32 v25, v14, v25, vcc
	v_cmp_o_f32_e32 vcc, v22, v22
	s_waitcnt vmcnt(0)
	v_lshlrev_b32_e32 v24, 16, v4
	v_or_b32_e32 v7, v7, v20
	v_cndmask_b32_e32 v22, v13, v23, vcc
	v_or3_b32 v20, v7, 0, 0
	v_mul_f32_e32 v7, v22, v24
	v_bfe_u32 v22, v7, 16, 1
	v_add3_u32 v22, v7, v22, s18
	v_and_b32_e32 v22, 0xffff0000, v22
	v_cmp_o_f32_e32 vcc, v7, v7
	v_cndmask_b32_e32 v7, v13, v22, vcc
	v_div_scale_f32 v22, s[4:5], v9, v9, v7
	v_rcp_f32_e32 v23, v22
	v_or3_b32 v21, 0, v25, v21
	global_store_dwordx2 v[18:19], v[20:21], off
	v_div_scale_f32 v18, vcc, v7, v9, v7
	v_fma_f32 v19, -v22, v23, 1.0
	v_fmac_f32_e32 v23, v19, v23
	v_mul_f32_e32 v19, v18, v23
	v_fma_f32 v20, -v22, v19, v18
	v_fmac_f32_e32 v19, v20, v23
	v_fma_f32 v18, -v22, v19, v18
	v_div_fmas_f32 v18, v18, v23, v19
	v_div_fixup_f32 v7, v18, v9, v7
	v_min_f32_e32 v7, 0x43600000, v7
	v_max_f32_e32 v18, 0xc3600000, v7
	v_and_b32_e32 v19, 0x7fffffff, v18
	v_cmp_gt_u32_e32 vcc, s19, v19
	v_mov_b32_e32 v7, 0x80
	s_and_saveexec_b64 s[4:5], vcc
	s_cbranch_execz .LBB13_112
; %bb.107:                              ;   in Loop: Header=BB13_81 Depth=1
	v_cmp_lt_u32_e32 vcc, s20, v19
	s_mov_b64 s[6:7], 0
                                        ; implicit-def: $vgpr19
	s_and_saveexec_b64 s[8:9], vcc
	s_xor_b64 s[8:9], exec, s[8:9]
	s_cbranch_execnz .LBB13_186
; %bb.108:                              ;   in Loop: Header=BB13_81 Depth=1
	s_or_saveexec_b64 s[8:9], s[8:9]
                                        ; implicit-def: $sgpr10
	s_xor_b64 exec, exec, s[8:9]
	s_cbranch_execnz .LBB13_187
.LBB13_109:                             ;   in Loop: Header=BB13_81 Depth=1
	s_or_b64 exec, exec, s[8:9]
	v_mov_b32_e32 v7, s10
	s_and_saveexec_b64 s[8:9], s[6:7]
.LBB13_110:                             ;   in Loop: Header=BB13_81 Depth=1
	v_lshrrev_b32_e32 v7, 24, v18
	v_and_or_b32 v7, v7, s23, v19
.LBB13_111:                             ;   in Loop: Header=BB13_81 Depth=1
	s_or_b64 exec, exec, s[8:9]
.LBB13_112:                             ;   in Loop: Header=BB13_81 Depth=1
	s_or_b64 exec, exec, s[4:5]
	v_mul_f32_e32 v17, v8, v17
	v_bfe_u32 v19, v17, 16, 1
	v_add3_u32 v19, v17, v19, s18
	v_and_b32_e32 v19, 0xffff0000, v19
	v_cmp_o_f32_e32 vcc, v17, v17
	v_and_b32_e32 v18, 0xffff0000, v4
	v_cndmask_b32_e32 v17, v13, v19, vcc
	v_mul_f32_e32 v17, v17, v18
	v_bfe_u32 v18, v17, 16, 1
	v_add3_u32 v18, v17, v18, s18
	v_and_b32_e32 v18, 0xffff0000, v18
	v_cmp_o_f32_e32 vcc, v17, v17
	v_cndmask_b32_e32 v17, v13, v18, vcc
	v_div_scale_f32 v18, s[4:5], v9, v9, v17
	v_rcp_f32_e32 v19, v18
	v_fma_f32 v20, -v18, v19, 1.0
	v_fmac_f32_e32 v19, v20, v19
	v_div_scale_f32 v20, vcc, v17, v9, v17
	v_mul_f32_e32 v21, v20, v19
	v_fma_f32 v22, -v18, v21, v20
	v_fmac_f32_e32 v21, v22, v19
	v_fma_f32 v18, -v18, v21, v20
	v_div_fmas_f32 v18, v18, v19, v21
	v_div_fixup_f32 v17, v18, v9, v17
	v_min_f32_e32 v17, 0x43600000, v17
	v_max_f32_e32 v17, 0xc3600000, v17
	v_and_b32_e32 v18, 0x7fffffff, v17
	v_cmp_gt_u32_e32 vcc, s19, v18
	s_and_saveexec_b64 s[4:5], vcc
	s_cbranch_execz .LBB13_118
; %bb.113:                              ;   in Loop: Header=BB13_81 Depth=1
	v_cmp_lt_u32_e32 vcc, s20, v18
	s_mov_b64 s[6:7], 0
                                        ; implicit-def: $vgpr18
	s_and_saveexec_b64 s[8:9], vcc
	s_xor_b64 s[8:9], exec, s[8:9]
	s_cbranch_execnz .LBB13_188
; %bb.114:                              ;   in Loop: Header=BB13_81 Depth=1
	s_or_saveexec_b64 s[8:9], s[8:9]
                                        ; implicit-def: $sgpr10
	s_xor_b64 exec, exec, s[8:9]
	s_cbranch_execnz .LBB13_189
.LBB13_115:                             ;   in Loop: Header=BB13_81 Depth=1
	s_or_b64 exec, exec, s[8:9]
	v_mov_b32_e32 v6, s10
	s_and_saveexec_b64 s[8:9], s[6:7]
.LBB13_116:                             ;   in Loop: Header=BB13_81 Depth=1
	v_lshrrev_b32_e32 v6, 24, v17
	v_and_or_b32 v6, v6, s23, v18
.LBB13_117:                             ;   in Loop: Header=BB13_81 Depth=1
	s_or_b64 exec, exec, s[8:9]
.LBB13_118:                             ;   in Loop: Header=BB13_81 Depth=1
	s_or_b64 exec, exec, s[4:5]
	v_mul_f32_e32 v16, v8, v16
	v_bfe_u32 v17, v16, 16, 1
	v_add3_u32 v17, v16, v17, s18
	v_and_b32_e32 v17, 0xffff0000, v17
	v_cmp_o_f32_e32 vcc, v16, v16
	v_alignbit_b32 v4, v5, v4, 16
	v_cndmask_b32_e32 v16, v13, v17, vcc
	v_and_b32_e32 v4, 0xffff0000, v4
	v_mul_f32_e32 v4, v16, v4
	v_bfe_u32 v16, v4, 16, 1
	v_add3_u32 v16, v4, v16, s18
	v_and_b32_e32 v16, 0xffff0000, v16
	v_cmp_o_f32_e32 vcc, v4, v4
	v_cndmask_b32_e32 v4, v13, v16, vcc
	v_div_scale_f32 v16, s[4:5], v9, v9, v4
	v_rcp_f32_e32 v17, v16
	v_fma_f32 v18, -v16, v17, 1.0
	v_fmac_f32_e32 v17, v18, v17
	v_div_scale_f32 v18, vcc, v4, v9, v4
	v_mul_f32_e32 v19, v18, v17
	v_fma_f32 v20, -v16, v19, v18
	v_fmac_f32_e32 v19, v20, v17
	v_fma_f32 v16, -v16, v19, v18
	v_div_fmas_f32 v16, v16, v17, v19
	v_div_fixup_f32 v4, v16, v9, v4
	v_min_f32_e32 v4, 0x43600000, v4
	v_max_f32_e32 v17, 0xc3600000, v4
	v_and_b32_e32 v18, 0x7fffffff, v17
	v_cmp_gt_u32_e32 vcc, s19, v18
	v_mov_b32_e32 v4, 0x80
	v_mov_b32_e32 v16, 0x80
	s_and_saveexec_b64 s[4:5], vcc
	s_cbranch_execz .LBB13_124
; %bb.119:                              ;   in Loop: Header=BB13_81 Depth=1
	v_cmp_lt_u32_e32 vcc, s20, v18
	s_mov_b64 s[6:7], 0
                                        ; implicit-def: $vgpr18
	s_and_saveexec_b64 s[8:9], vcc
	s_xor_b64 s[8:9], exec, s[8:9]
	s_cbranch_execnz .LBB13_190
; %bb.120:                              ;   in Loop: Header=BB13_81 Depth=1
	s_or_saveexec_b64 s[8:9], s[8:9]
                                        ; implicit-def: $sgpr10
	s_xor_b64 exec, exec, s[8:9]
	s_cbranch_execnz .LBB13_191
.LBB13_121:                             ;   in Loop: Header=BB13_81 Depth=1
	s_or_b64 exec, exec, s[8:9]
	v_mov_b32_e32 v16, s10
	s_and_saveexec_b64 s[8:9], s[6:7]
.LBB13_122:                             ;   in Loop: Header=BB13_81 Depth=1
	v_lshrrev_b32_e32 v16, 24, v17
	v_and_or_b32 v16, v16, s23, v18
.LBB13_123:                             ;   in Loop: Header=BB13_81 Depth=1
	s_or_b64 exec, exec, s[8:9]
.LBB13_124:                             ;   in Loop: Header=BB13_81 Depth=1
	s_or_b64 exec, exec, s[4:5]
	v_mul_f32_e32 v15, v8, v15
	v_bfe_u32 v17, v15, 16, 1
	v_add3_u32 v17, v15, v17, s18
	v_and_b32_e32 v17, 0xffff0000, v17
	v_cmp_o_f32_e32 vcc, v15, v15
	v_cndmask_b32_e32 v15, v13, v17, vcc
	v_and_b32_e32 v5, 0xffff0000, v5
	v_mul_f32_e32 v5, v15, v5
	v_bfe_u32 v15, v5, 16, 1
	v_add3_u32 v15, v5, v15, s18
	v_and_b32_e32 v15, 0xffff0000, v15
	v_cmp_o_f32_e32 vcc, v5, v5
	v_cndmask_b32_e32 v5, v13, v15, vcc
	v_div_scale_f32 v15, s[4:5], v9, v9, v5
	v_rcp_f32_e32 v17, v15
	v_fma_f32 v18, -v15, v17, 1.0
	v_fmac_f32_e32 v17, v18, v17
	v_div_scale_f32 v18, vcc, v5, v9, v5
	v_mul_f32_e32 v19, v18, v17
	v_fma_f32 v20, -v15, v19, v18
	v_fmac_f32_e32 v19, v20, v17
	v_fma_f32 v15, -v15, v19, v18
	v_div_fmas_f32 v15, v15, v17, v19
	v_div_fixup_f32 v5, v15, v9, v5
	v_min_f32_e32 v5, 0x43600000, v5
	v_max_f32_e32 v5, 0xc3600000, v5
	v_and_b32_e32 v15, 0x7fffffff, v5
	v_cmp_gt_u32_e32 vcc, s19, v15
	s_and_saveexec_b64 s[4:5], vcc
	s_cbranch_execz .LBB13_130
; %bb.125:                              ;   in Loop: Header=BB13_81 Depth=1
	v_cmp_lt_u32_e32 vcc, s20, v15
	s_mov_b64 s[6:7], 0
                                        ; implicit-def: $vgpr15
	s_and_saveexec_b64 s[8:9], vcc
	s_xor_b64 s[8:9], exec, s[8:9]
	s_cbranch_execnz .LBB13_192
; %bb.126:                              ;   in Loop: Header=BB13_81 Depth=1
	s_or_saveexec_b64 s[8:9], s[8:9]
                                        ; implicit-def: $sgpr10
	s_xor_b64 exec, exec, s[8:9]
	s_cbranch_execnz .LBB13_193
.LBB13_127:                             ;   in Loop: Header=BB13_81 Depth=1
	s_or_b64 exec, exec, s[8:9]
	v_mov_b32_e32 v4, s10
	s_and_saveexec_b64 s[8:9], s[6:7]
.LBB13_128:                             ;   in Loop: Header=BB13_81 Depth=1
	v_lshrrev_b32_e32 v4, 24, v5
	v_and_or_b32 v4, v4, s23, v15
.LBB13_129:                             ;   in Loop: Header=BB13_81 Depth=1
	s_or_b64 exec, exec, s[8:9]
.LBB13_130:                             ;   in Loop: Header=BB13_81 Depth=1
	s_or_b64 exec, exec, s[4:5]
	v_lshlrev_b64 v[18:19], 2, v[2:3]
	v_mov_b32_e32 v3, s15
	v_add_co_u32_e32 v18, vcc, s14, v18
	v_addc_co_u32_e32 v19, vcc, v3, v19, vcc
	v_lshlrev_b32_e32 v3, 16, v16
	v_perm_b32 v3, v4, v3, s24
	v_lshlrev_b32_e32 v4, 8, v6
	v_and_b32_e32 v4, 0xff00, v4
	v_and_b32_e32 v5, 0xff, v7
	v_or3_b32 v3, v3, v4, v5
	v_add_u32_e32 v4, s17, v0
	v_cmp_gt_u32_e32 vcc, s51, v4
	s_mov_b64 s[6:7], -1
	global_store_dword v[18:19], v3, off
	s_and_saveexec_b64 s[4:5], vcc
	s_cbranch_execz .LBB13_79
; %bb.131:                              ;   in Loop: Header=BB13_81 Depth=1
	v_mov_b32_e32 v5, v1
	v_lshlrev_b64 v[6:7], 3, v[4:5]
	v_mov_b32_e32 v3, s48
	v_add_co_u32_e32 v16, vcc, s33, v6
	v_addc_co_u32_e32 v17, vcc, v3, v7, vcc
	v_mov_b32_e32 v15, s50
	v_add_co_u32_e32 v20, vcc, s49, v6
	v_addc_co_u32_e32 v21, vcc, v15, v7, vcc
	global_load_dwordx2 v[16:17], v[16:17], off
	v_mov_b32_e32 v3, s31
	global_load_dwordx2 v[18:19], v[20:21], off
	v_add_co_u32_e32 v6, vcc, s30, v6
	v_addc_co_u32_e32 v7, vcc, v3, v7, vcc
	global_load_dwordx2 v[6:7], v[6:7], off
	v_mov_b32_e32 v3, 0x80
	s_waitcnt vmcnt(2)
	v_and_b32_e32 v15, 0xffff0000, v16
	v_lshlrev_b32_e32 v22, 16, v16
	v_alignbit_b32 v16, v17, v16, 16
	v_and_b32_e32 v17, 0xffff0000, v17
	s_waitcnt vmcnt(1)
	v_alignbit_b32 v25, v19, v18, 16
	v_and_b32_e32 v19, 0xffff0000, v19
	v_and_b32_e32 v23, 0xffff0000, v18
	v_and_b32_e32 v27, 0xffff0000, v16
	v_add_f32_e32 v16, v17, v19
	v_lshlrev_b32_e32 v24, 16, v18
	v_add_f32_e32 v18, v15, v23
	v_bfe_u32 v23, v16, 16, 1
	v_add_f32_e32 v22, v22, v24
	v_and_b32_e32 v15, 0xffff0000, v25
	v_bfe_u32 v19, v18, 16, 1
	v_add3_u32 v23, v16, v23, s18
	v_add_f32_e32 v17, v27, v15
	v_bfe_u32 v15, v22, 16, 1
	v_add3_u32 v19, v18, v19, s18
	v_and_b32_e32 v23, 0xffff0000, v23
	v_cmp_o_f32_e32 vcc, v16, v16
	v_mul_f32_e32 v24, v8, v22
	v_add3_u32 v15, v22, v15, s18
	v_bfe_u32 v25, v17, 16, 1
	v_and_b32_e32 v19, 0xffff0000, v19
	v_cndmask_b32_e32 v23, v13, v23, vcc
	v_cmp_o_f32_e32 vcc, v18, v18
	v_bfe_u32 v27, v24, 16, 1
	v_lshrrev_b32_e32 v15, 16, v15
	v_add3_u32 v25, v17, v25, s18
	v_cndmask_b32_e32 v19, v13, v19, vcc
	v_cmp_o_f32_e32 vcc, v22, v22
	v_add3_u32 v27, v24, v27, s18
	v_lshrrev_b32_e32 v25, 16, v25
	v_cndmask_b32_e32 v15, v14, v15, vcc
	v_cmp_o_f32_e32 vcc, v17, v17
	v_and_b32_e32 v22, 0xffff0000, v27
	v_cndmask_b32_e32 v25, v14, v25, vcc
	v_cmp_o_f32_e32 vcc, v24, v24
	s_waitcnt vmcnt(0)
	v_lshlrev_b32_e32 v26, 16, v6
	v_or_b32_e32 v15, v15, v19
	v_cndmask_b32_e32 v19, v13, v22, vcc
	v_or3_b32 v22, v15, 0, 0
	v_mul_f32_e32 v15, v19, v26
	v_bfe_u32 v19, v15, 16, 1
	v_add3_u32 v19, v15, v19, s18
	v_and_b32_e32 v19, 0xffff0000, v19
	v_cmp_o_f32_e32 vcc, v15, v15
	v_cndmask_b32_e32 v15, v13, v19, vcc
	v_div_scale_f32 v19, s[6:7], v9, v9, v15
	v_rcp_f32_e32 v24, v19
	v_or3_b32 v23, 0, v25, v23
	global_store_dwordx2 v[20:21], v[22:23], off
	v_div_scale_f32 v20, vcc, v15, v9, v15
	v_fma_f32 v21, -v19, v24, 1.0
	v_fmac_f32_e32 v24, v21, v24
	v_mul_f32_e32 v21, v20, v24
	v_fma_f32 v22, -v19, v21, v20
	v_fmac_f32_e32 v21, v22, v24
	v_fma_f32 v19, -v19, v21, v20
	v_div_fmas_f32 v19, v19, v24, v21
	v_div_fixup_f32 v15, v19, v9, v15
	v_min_f32_e32 v15, 0x43600000, v15
	v_max_f32_e32 v19, 0xc3600000, v15
	v_and_b32_e32 v20, 0x7fffffff, v19
	v_cmp_gt_u32_e32 vcc, s19, v20
	v_mov_b32_e32 v15, 0x80
	s_and_saveexec_b64 s[6:7], vcc
	s_cbranch_execz .LBB13_137
; %bb.132:                              ;   in Loop: Header=BB13_81 Depth=1
	v_cmp_lt_u32_e32 vcc, s20, v20
	s_mov_b64 s[8:9], 0
                                        ; implicit-def: $vgpr20
	s_and_saveexec_b64 s[10:11], vcc
	s_xor_b64 s[10:11], exec, s[10:11]
	s_cbranch_execnz .LBB13_194
; %bb.133:                              ;   in Loop: Header=BB13_81 Depth=1
	s_or_saveexec_b64 s[10:11], s[10:11]
                                        ; implicit-def: $sgpr12
	s_xor_b64 exec, exec, s[10:11]
	s_cbranch_execnz .LBB13_195
.LBB13_134:                             ;   in Loop: Header=BB13_81 Depth=1
	s_or_b64 exec, exec, s[10:11]
	v_mov_b32_e32 v15, s12
	s_and_saveexec_b64 s[10:11], s[8:9]
.LBB13_135:                             ;   in Loop: Header=BB13_81 Depth=1
	v_lshrrev_b32_e32 v15, 24, v19
	v_and_or_b32 v15, v15, s23, v20
.LBB13_136:                             ;   in Loop: Header=BB13_81 Depth=1
	s_or_b64 exec, exec, s[10:11]
.LBB13_137:                             ;   in Loop: Header=BB13_81 Depth=1
	s_or_b64 exec, exec, s[6:7]
	v_mul_f32_e32 v18, v8, v18
	v_bfe_u32 v20, v18, 16, 1
	v_add3_u32 v20, v18, v20, s18
	v_and_b32_e32 v20, 0xffff0000, v20
	v_cmp_o_f32_e32 vcc, v18, v18
	v_and_b32_e32 v19, 0xffff0000, v6
	v_cndmask_b32_e32 v18, v13, v20, vcc
	v_mul_f32_e32 v18, v18, v19
	v_bfe_u32 v19, v18, 16, 1
	v_add3_u32 v19, v18, v19, s18
	v_and_b32_e32 v19, 0xffff0000, v19
	v_cmp_o_f32_e32 vcc, v18, v18
	v_cndmask_b32_e32 v18, v13, v19, vcc
	v_div_scale_f32 v19, s[6:7], v9, v9, v18
	v_rcp_f32_e32 v20, v19
	v_fma_f32 v21, -v19, v20, 1.0
	v_fmac_f32_e32 v20, v21, v20
	v_div_scale_f32 v21, vcc, v18, v9, v18
	v_mul_f32_e32 v22, v21, v20
	v_fma_f32 v23, -v19, v22, v21
	v_fmac_f32_e32 v22, v23, v20
	v_fma_f32 v19, -v19, v22, v21
	v_div_fmas_f32 v19, v19, v20, v22
	v_div_fixup_f32 v18, v19, v9, v18
	v_min_f32_e32 v18, 0x43600000, v18
	v_max_f32_e32 v18, 0xc3600000, v18
	v_and_b32_e32 v19, 0x7fffffff, v18
	v_cmp_gt_u32_e32 vcc, s19, v19
	s_and_saveexec_b64 s[6:7], vcc
	s_cbranch_execz .LBB13_143
; %bb.138:                              ;   in Loop: Header=BB13_81 Depth=1
	v_cmp_lt_u32_e32 vcc, s20, v19
	s_mov_b64 s[8:9], 0
                                        ; implicit-def: $vgpr19
	s_and_saveexec_b64 s[10:11], vcc
	s_xor_b64 s[10:11], exec, s[10:11]
	s_cbranch_execnz .LBB13_196
; %bb.139:                              ;   in Loop: Header=BB13_81 Depth=1
	s_or_saveexec_b64 s[10:11], s[10:11]
                                        ; implicit-def: $sgpr12
	s_xor_b64 exec, exec, s[10:11]
	s_cbranch_execnz .LBB13_197
.LBB13_140:                             ;   in Loop: Header=BB13_81 Depth=1
	s_or_b64 exec, exec, s[10:11]
	v_mov_b32_e32 v3, s12
	s_and_saveexec_b64 s[10:11], s[8:9]
.LBB13_141:                             ;   in Loop: Header=BB13_81 Depth=1
	v_lshrrev_b32_e32 v3, 24, v18
	v_and_or_b32 v3, v3, s23, v19
.LBB13_142:                             ;   in Loop: Header=BB13_81 Depth=1
	s_or_b64 exec, exec, s[10:11]
.LBB13_143:                             ;   in Loop: Header=BB13_81 Depth=1
	s_or_b64 exec, exec, s[6:7]
	v_mul_f32_e32 v17, v8, v17
	v_bfe_u32 v18, v17, 16, 1
	v_add3_u32 v18, v17, v18, s18
	v_and_b32_e32 v18, 0xffff0000, v18
	v_cmp_o_f32_e32 vcc, v17, v17
	v_alignbit_b32 v6, v7, v6, 16
	v_cndmask_b32_e32 v17, v13, v18, vcc
	v_and_b32_e32 v6, 0xffff0000, v6
	v_mul_f32_e32 v6, v17, v6
	v_bfe_u32 v17, v6, 16, 1
	v_add3_u32 v17, v6, v17, s18
	v_and_b32_e32 v17, 0xffff0000, v17
	v_cmp_o_f32_e32 vcc, v6, v6
	v_cndmask_b32_e32 v6, v13, v17, vcc
	v_div_scale_f32 v17, s[6:7], v9, v9, v6
	v_rcp_f32_e32 v18, v17
	v_fma_f32 v19, -v17, v18, 1.0
	v_fmac_f32_e32 v18, v19, v18
	v_div_scale_f32 v19, vcc, v6, v9, v6
	v_mul_f32_e32 v20, v19, v18
	v_fma_f32 v21, -v17, v20, v19
	v_fmac_f32_e32 v20, v21, v18
	v_fma_f32 v17, -v17, v20, v19
	v_div_fmas_f32 v17, v17, v18, v20
	v_div_fixup_f32 v6, v17, v9, v6
	v_min_f32_e32 v6, 0x43600000, v6
	v_max_f32_e32 v18, 0xc3600000, v6
	v_and_b32_e32 v19, 0x7fffffff, v18
	v_cmp_gt_u32_e32 vcc, s19, v19
	v_mov_b32_e32 v6, 0x80
	v_mov_b32_e32 v17, 0x80
	s_and_saveexec_b64 s[6:7], vcc
	s_cbranch_execz .LBB13_149
; %bb.144:                              ;   in Loop: Header=BB13_81 Depth=1
	v_cmp_lt_u32_e32 vcc, s20, v19
	s_mov_b64 s[8:9], 0
                                        ; implicit-def: $vgpr19
	s_and_saveexec_b64 s[10:11], vcc
	s_xor_b64 s[10:11], exec, s[10:11]
	s_cbranch_execnz .LBB13_198
; %bb.145:                              ;   in Loop: Header=BB13_81 Depth=1
	s_or_saveexec_b64 s[10:11], s[10:11]
                                        ; implicit-def: $sgpr12
	s_xor_b64 exec, exec, s[10:11]
	s_cbranch_execnz .LBB13_199
.LBB13_146:                             ;   in Loop: Header=BB13_81 Depth=1
	s_or_b64 exec, exec, s[10:11]
	v_mov_b32_e32 v17, s12
	s_and_saveexec_b64 s[10:11], s[8:9]
.LBB13_147:                             ;   in Loop: Header=BB13_81 Depth=1
	v_lshrrev_b32_e32 v17, 24, v18
	v_and_or_b32 v17, v17, s23, v19
.LBB13_148:                             ;   in Loop: Header=BB13_81 Depth=1
	s_or_b64 exec, exec, s[10:11]
.LBB13_149:                             ;   in Loop: Header=BB13_81 Depth=1
	s_or_b64 exec, exec, s[6:7]
	v_mul_f32_e32 v16, v8, v16
	v_bfe_u32 v18, v16, 16, 1
	v_add3_u32 v18, v16, v18, s18
	v_and_b32_e32 v18, 0xffff0000, v18
	v_cmp_o_f32_e32 vcc, v16, v16
	v_cndmask_b32_e32 v16, v13, v18, vcc
	v_and_b32_e32 v7, 0xffff0000, v7
	v_mul_f32_e32 v7, v16, v7
	v_bfe_u32 v16, v7, 16, 1
	v_add3_u32 v16, v7, v16, s18
	v_and_b32_e32 v16, 0xffff0000, v16
	v_cmp_o_f32_e32 vcc, v7, v7
	v_cndmask_b32_e32 v7, v13, v16, vcc
	v_div_scale_f32 v16, s[6:7], v9, v9, v7
	v_rcp_f32_e32 v18, v16
	v_fma_f32 v19, -v16, v18, 1.0
	v_fmac_f32_e32 v18, v19, v18
	v_div_scale_f32 v19, vcc, v7, v9, v7
	v_mul_f32_e32 v20, v19, v18
	v_fma_f32 v21, -v16, v20, v19
	v_fmac_f32_e32 v20, v21, v18
	v_fma_f32 v16, -v16, v20, v19
	v_div_fmas_f32 v16, v16, v18, v20
	v_div_fixup_f32 v7, v16, v9, v7
	v_min_f32_e32 v7, 0x43600000, v7
	v_max_f32_e32 v7, 0xc3600000, v7
	v_and_b32_e32 v16, 0x7fffffff, v7
	v_cmp_gt_u32_e32 vcc, s19, v16
	s_and_saveexec_b64 s[6:7], vcc
	s_cbranch_execz .LBB13_155
; %bb.150:                              ;   in Loop: Header=BB13_81 Depth=1
	v_cmp_lt_u32_e32 vcc, s20, v16
	s_mov_b64 s[8:9], 0
                                        ; implicit-def: $vgpr16
	s_and_saveexec_b64 s[10:11], vcc
	s_xor_b64 s[10:11], exec, s[10:11]
	s_cbranch_execnz .LBB13_200
; %bb.151:                              ;   in Loop: Header=BB13_81 Depth=1
	s_or_saveexec_b64 s[10:11], s[10:11]
                                        ; implicit-def: $sgpr12
	s_xor_b64 exec, exec, s[10:11]
	s_cbranch_execnz .LBB13_201
.LBB13_152:                             ;   in Loop: Header=BB13_81 Depth=1
	s_or_b64 exec, exec, s[10:11]
	v_mov_b32_e32 v6, s12
	s_and_saveexec_b64 s[10:11], s[8:9]
.LBB13_153:                             ;   in Loop: Header=BB13_81 Depth=1
	v_lshrrev_b32_e32 v6, 24, v7
	v_and_or_b32 v6, v6, s23, v16
.LBB13_154:                             ;   in Loop: Header=BB13_81 Depth=1
	s_or_b64 exec, exec, s[10:11]
.LBB13_155:                             ;   in Loop: Header=BB13_81 Depth=1
	s_or_b64 exec, exec, s[6:7]
	v_lshlrev_b64 v[4:5], 2, v[4:5]
	v_mov_b32_e32 v7, s15
	v_add_co_u32_e32 v4, vcc, s14, v4
	v_addc_co_u32_e32 v5, vcc, v7, v5, vcc
	v_lshlrev_b32_e32 v7, 16, v17
	v_lshlrev_b32_e32 v3, 8, v3
	v_perm_b32 v6, v6, v7, s24
	v_and_b32_e32 v3, 0xff00, v3
	v_and_b32_e32 v7, 0xff, v15
	v_add_u32_e32 v0, s16, v0
	v_or3_b32 v3, v6, v3, v7
	v_cmp_gt_u32_e32 vcc, s51, v0
	s_mov_b64 s[8:9], -1
	global_store_dword v[4:5], v3, off
	s_and_saveexec_b64 s[6:7], vcc
	s_cbranch_execz .LBB13_78
; %bb.156:                              ;   in Loop: Header=BB13_81 Depth=1
	v_lshlrev_b64 v[4:5], 3, v[0:1]
	v_mov_b32_e32 v3, s48
	v_add_co_u32_e32 v6, vcc, s33, v4
	v_addc_co_u32_e32 v7, vcc, v3, v5, vcc
	v_mov_b32_e32 v15, s50
	v_add_co_u32_e32 v18, vcc, s49, v4
	v_addc_co_u32_e32 v19, vcc, v15, v5, vcc
	global_load_dwordx2 v[6:7], v[6:7], off
	v_mov_b32_e32 v3, s31
	global_load_dwordx2 v[16:17], v[18:19], off
	v_add_co_u32_e32 v4, vcc, s30, v4
	v_addc_co_u32_e32 v5, vcc, v3, v5, vcc
	global_load_dwordx2 v[4:5], v[4:5], off
	v_mov_b32_e32 v3, 0x80
	s_waitcnt vmcnt(2)
	v_and_b32_e32 v15, 0xffff0000, v6
	v_lshlrev_b32_e32 v20, 16, v6
	v_alignbit_b32 v6, v7, v6, 16
	v_and_b32_e32 v7, 0xffff0000, v7
	s_waitcnt vmcnt(1)
	v_alignbit_b32 v23, v17, v16, 16
	v_and_b32_e32 v17, 0xffff0000, v17
	v_and_b32_e32 v21, 0xffff0000, v16
	v_add_f32_e32 v7, v7, v17
	v_lshlrev_b32_e32 v22, 16, v16
	v_add_f32_e32 v16, v15, v21
	v_bfe_u32 v21, v7, 16, 1
	v_and_b32_e32 v6, 0xffff0000, v6
	v_add_f32_e32 v20, v20, v22
	v_and_b32_e32 v15, 0xffff0000, v23
	v_bfe_u32 v17, v16, 16, 1
	v_add3_u32 v21, v7, v21, s18
	v_add_f32_e32 v15, v6, v15
	v_bfe_u32 v6, v20, 16, 1
	v_add3_u32 v17, v16, v17, s18
	v_and_b32_e32 v21, 0xffff0000, v21
	v_cmp_o_f32_e32 vcc, v7, v7
	v_mul_f32_e32 v22, v8, v20
	v_add3_u32 v6, v20, v6, s18
	v_bfe_u32 v23, v15, 16, 1
	v_and_b32_e32 v17, 0xffff0000, v17
	v_cndmask_b32_e32 v21, v13, v21, vcc
	v_cmp_o_f32_e32 vcc, v16, v16
	v_bfe_u32 v25, v22, 16, 1
	v_lshrrev_b32_e32 v6, 16, v6
	v_add3_u32 v23, v15, v23, s18
	v_cndmask_b32_e32 v17, v13, v17, vcc
	v_cmp_o_f32_e32 vcc, v20, v20
	v_add3_u32 v25, v22, v25, s18
	v_lshrrev_b32_e32 v23, 16, v23
	v_cndmask_b32_e32 v6, v14, v6, vcc
	v_cmp_o_f32_e32 vcc, v15, v15
	v_and_b32_e32 v20, 0xffff0000, v25
	v_cndmask_b32_e32 v23, v14, v23, vcc
	v_cmp_o_f32_e32 vcc, v22, v22
	s_waitcnt vmcnt(0)
	v_lshlrev_b32_e32 v24, 16, v4
	v_or_b32_e32 v6, v6, v17
	v_cndmask_b32_e32 v17, v13, v20, vcc
	v_or3_b32 v20, v6, 0, 0
	v_mul_f32_e32 v6, v17, v24
	v_bfe_u32 v17, v6, 16, 1
	v_add3_u32 v17, v6, v17, s18
	v_and_b32_e32 v17, 0xffff0000, v17
	v_cmp_o_f32_e32 vcc, v6, v6
	v_cndmask_b32_e32 v6, v13, v17, vcc
	v_div_scale_f32 v17, s[8:9], v9, v9, v6
	v_rcp_f32_e32 v22, v17
	v_or3_b32 v21, 0, v23, v21
	global_store_dwordx2 v[18:19], v[20:21], off
	v_div_scale_f32 v18, vcc, v6, v9, v6
	v_fma_f32 v19, -v17, v22, 1.0
	v_fmac_f32_e32 v22, v19, v22
	v_mul_f32_e32 v19, v18, v22
	v_fma_f32 v20, -v17, v19, v18
	v_fmac_f32_e32 v19, v20, v22
	v_fma_f32 v17, -v17, v19, v18
	v_div_fmas_f32 v17, v17, v22, v19
	v_div_fixup_f32 v6, v17, v9, v6
	v_min_f32_e32 v6, 0x43600000, v6
	v_max_f32_e32 v17, 0xc3600000, v6
	v_and_b32_e32 v18, 0x7fffffff, v17
	v_cmp_gt_u32_e32 vcc, s19, v18
	v_mov_b32_e32 v6, 0x80
	s_and_saveexec_b64 s[8:9], vcc
	s_cbranch_execz .LBB13_162
; %bb.157:                              ;   in Loop: Header=BB13_81 Depth=1
	v_cmp_lt_u32_e32 vcc, s20, v18
	s_mov_b64 s[10:11], 0
                                        ; implicit-def: $vgpr18
	s_and_saveexec_b64 s[12:13], vcc
	s_xor_b64 s[12:13], exec, s[12:13]
	s_cbranch_execnz .LBB13_202
; %bb.158:                              ;   in Loop: Header=BB13_81 Depth=1
	s_or_saveexec_b64 s[12:13], s[12:13]
                                        ; implicit-def: $sgpr25
	s_xor_b64 exec, exec, s[12:13]
	s_cbranch_execnz .LBB13_203
.LBB13_159:                             ;   in Loop: Header=BB13_81 Depth=1
	s_or_b64 exec, exec, s[12:13]
	v_mov_b32_e32 v6, s25
	s_and_saveexec_b64 s[12:13], s[10:11]
.LBB13_160:                             ;   in Loop: Header=BB13_81 Depth=1
	v_lshrrev_b32_e32 v6, 24, v17
	v_and_or_b32 v6, v6, s23, v18
.LBB13_161:                             ;   in Loop: Header=BB13_81 Depth=1
	s_or_b64 exec, exec, s[12:13]
.LBB13_162:                             ;   in Loop: Header=BB13_81 Depth=1
	s_or_b64 exec, exec, s[8:9]
	v_mul_f32_e32 v16, v8, v16
	v_bfe_u32 v18, v16, 16, 1
	v_add3_u32 v18, v16, v18, s18
	v_and_b32_e32 v18, 0xffff0000, v18
	v_cmp_o_f32_e32 vcc, v16, v16
	v_and_b32_e32 v17, 0xffff0000, v4
	v_cndmask_b32_e32 v16, v13, v18, vcc
	v_mul_f32_e32 v16, v16, v17
	v_bfe_u32 v17, v16, 16, 1
	v_add3_u32 v17, v16, v17, s18
	v_and_b32_e32 v17, 0xffff0000, v17
	v_cmp_o_f32_e32 vcc, v16, v16
	v_cndmask_b32_e32 v16, v13, v17, vcc
	v_div_scale_f32 v17, s[8:9], v9, v9, v16
	v_rcp_f32_e32 v18, v17
	v_fma_f32 v19, -v17, v18, 1.0
	v_fmac_f32_e32 v18, v19, v18
	v_div_scale_f32 v19, vcc, v16, v9, v16
	v_mul_f32_e32 v20, v19, v18
	v_fma_f32 v21, -v17, v20, v19
	v_fmac_f32_e32 v20, v21, v18
	v_fma_f32 v17, -v17, v20, v19
	v_div_fmas_f32 v17, v17, v18, v20
	v_div_fixup_f32 v16, v17, v9, v16
	v_min_f32_e32 v16, 0x43600000, v16
	v_max_f32_e32 v16, 0xc3600000, v16
	v_and_b32_e32 v17, 0x7fffffff, v16
	v_cmp_gt_u32_e32 vcc, s19, v17
	s_and_saveexec_b64 s[8:9], vcc
	s_cbranch_execz .LBB13_168
; %bb.163:                              ;   in Loop: Header=BB13_81 Depth=1
	v_cmp_lt_u32_e32 vcc, s20, v17
	s_mov_b64 s[10:11], 0
                                        ; implicit-def: $vgpr17
	s_and_saveexec_b64 s[12:13], vcc
	s_xor_b64 s[12:13], exec, s[12:13]
	s_cbranch_execnz .LBB13_204
; %bb.164:                              ;   in Loop: Header=BB13_81 Depth=1
	s_or_saveexec_b64 s[12:13], s[12:13]
                                        ; implicit-def: $sgpr25
	s_xor_b64 exec, exec, s[12:13]
	s_cbranch_execnz .LBB13_205
.LBB13_165:                             ;   in Loop: Header=BB13_81 Depth=1
	s_or_b64 exec, exec, s[12:13]
	v_mov_b32_e32 v3, s25
	s_and_saveexec_b64 s[12:13], s[10:11]
.LBB13_166:                             ;   in Loop: Header=BB13_81 Depth=1
	v_lshrrev_b32_e32 v3, 24, v16
	v_and_or_b32 v3, v3, s23, v17
.LBB13_167:                             ;   in Loop: Header=BB13_81 Depth=1
	s_or_b64 exec, exec, s[12:13]
.LBB13_168:                             ;   in Loop: Header=BB13_81 Depth=1
	s_or_b64 exec, exec, s[8:9]
	v_mul_f32_e32 v15, v8, v15
	v_bfe_u32 v16, v15, 16, 1
	v_add3_u32 v16, v15, v16, s18
	v_and_b32_e32 v16, 0xffff0000, v16
	v_cmp_o_f32_e32 vcc, v15, v15
	v_alignbit_b32 v4, v5, v4, 16
	v_cndmask_b32_e32 v15, v13, v16, vcc
	v_and_b32_e32 v4, 0xffff0000, v4
	v_mul_f32_e32 v4, v15, v4
	v_bfe_u32 v15, v4, 16, 1
	v_add3_u32 v15, v4, v15, s18
	v_and_b32_e32 v15, 0xffff0000, v15
	v_cmp_o_f32_e32 vcc, v4, v4
	v_cndmask_b32_e32 v4, v13, v15, vcc
	v_div_scale_f32 v15, s[8:9], v9, v9, v4
	v_rcp_f32_e32 v16, v15
	v_fma_f32 v17, -v15, v16, 1.0
	v_fmac_f32_e32 v16, v17, v16
	v_div_scale_f32 v17, vcc, v4, v9, v4
	v_mul_f32_e32 v18, v17, v16
	v_fma_f32 v19, -v15, v18, v17
	v_fmac_f32_e32 v18, v19, v16
	v_fma_f32 v15, -v15, v18, v17
	v_div_fmas_f32 v15, v15, v16, v18
	v_div_fixup_f32 v4, v15, v9, v4
	v_min_f32_e32 v4, 0x43600000, v4
	v_max_f32_e32 v16, 0xc3600000, v4
	v_and_b32_e32 v17, 0x7fffffff, v16
	v_cmp_gt_u32_e32 vcc, s19, v17
	v_mov_b32_e32 v4, 0x80
	v_mov_b32_e32 v15, 0x80
	s_and_saveexec_b64 s[8:9], vcc
	s_cbranch_execz .LBB13_174
; %bb.169:                              ;   in Loop: Header=BB13_81 Depth=1
	v_cmp_lt_u32_e32 vcc, s20, v17
	s_mov_b64 s[10:11], 0
                                        ; implicit-def: $vgpr17
	s_and_saveexec_b64 s[12:13], vcc
	s_xor_b64 s[12:13], exec, s[12:13]
	s_cbranch_execnz .LBB13_206
; %bb.170:                              ;   in Loop: Header=BB13_81 Depth=1
	s_or_saveexec_b64 s[12:13], s[12:13]
                                        ; implicit-def: $sgpr25
	s_xor_b64 exec, exec, s[12:13]
	s_cbranch_execnz .LBB13_207
.LBB13_171:                             ;   in Loop: Header=BB13_81 Depth=1
	s_or_b64 exec, exec, s[12:13]
	v_mov_b32_e32 v15, s25
	s_and_saveexec_b64 s[12:13], s[10:11]
.LBB13_172:                             ;   in Loop: Header=BB13_81 Depth=1
	v_lshrrev_b32_e32 v15, 24, v16
	v_and_or_b32 v15, v15, s23, v17
.LBB13_173:                             ;   in Loop: Header=BB13_81 Depth=1
	s_or_b64 exec, exec, s[12:13]
.LBB13_174:                             ;   in Loop: Header=BB13_81 Depth=1
	s_or_b64 exec, exec, s[8:9]
	v_mul_f32_e32 v7, v8, v7
	v_bfe_u32 v16, v7, 16, 1
	v_add3_u32 v16, v7, v16, s18
	v_and_b32_e32 v16, 0xffff0000, v16
	v_cmp_o_f32_e32 vcc, v7, v7
	v_cndmask_b32_e32 v7, v13, v16, vcc
	v_and_b32_e32 v5, 0xffff0000, v5
	v_mul_f32_e32 v5, v7, v5
	v_bfe_u32 v7, v5, 16, 1
	v_add3_u32 v7, v5, v7, s18
	v_and_b32_e32 v7, 0xffff0000, v7
	v_cmp_o_f32_e32 vcc, v5, v5
	v_cndmask_b32_e32 v5, v13, v7, vcc
	v_div_scale_f32 v7, s[8:9], v9, v9, v5
	v_rcp_f32_e32 v16, v7
	v_fma_f32 v17, -v7, v16, 1.0
	v_fmac_f32_e32 v16, v17, v16
	v_div_scale_f32 v17, vcc, v5, v9, v5
	v_mul_f32_e32 v18, v17, v16
	v_fma_f32 v19, -v7, v18, v17
	v_fmac_f32_e32 v18, v19, v16
	v_fma_f32 v7, -v7, v18, v17
	v_div_fmas_f32 v7, v7, v16, v18
	v_div_fixup_f32 v5, v7, v9, v5
	v_min_f32_e32 v5, 0x43600000, v5
	v_max_f32_e32 v5, 0xc3600000, v5
	v_and_b32_e32 v7, 0x7fffffff, v5
	v_cmp_gt_u32_e32 vcc, s19, v7
	s_and_saveexec_b64 s[8:9], vcc
	s_cbranch_execz .LBB13_77
; %bb.175:                              ;   in Loop: Header=BB13_81 Depth=1
	v_cmp_lt_u32_e32 vcc, s20, v7
	s_mov_b64 s[10:11], 0
                                        ; implicit-def: $vgpr7
	s_and_saveexec_b64 s[12:13], vcc
	s_xor_b64 s[12:13], exec, s[12:13]
	s_cbranch_execnz .LBB13_208
; %bb.176:                              ;   in Loop: Header=BB13_81 Depth=1
	s_or_saveexec_b64 s[12:13], s[12:13]
                                        ; implicit-def: $sgpr25
	s_xor_b64 exec, exec, s[12:13]
	s_cbranch_execnz .LBB13_209
.LBB13_177:                             ;   in Loop: Header=BB13_81 Depth=1
	s_or_b64 exec, exec, s[12:13]
	v_mov_b32_e32 v4, s25
	s_and_saveexec_b64 s[12:13], s[10:11]
	s_cbranch_execz .LBB13_76
	s_branch .LBB13_210
.LBB13_178:                             ;   in Loop: Header=BB13_81 Depth=1
	v_bfe_u32 v5, v16, 20, 1
	v_add3_u32 v5, v16, v5, s21
	s_mov_b64 s[4:5], exec
	v_lshrrev_b32_e32 v17, 20, v5
	s_or_saveexec_b64 s[6:7], s[6:7]
                                        ; implicit-def: $sgpr8
	s_xor_b64 exec, exec, s[6:7]
	s_cbranch_execz .LBB13_84
.LBB13_179:                             ;   in Loop: Header=BB13_81 Depth=1
	v_add_f32_e64 v5, |v16|, s22
	v_and_b32_e32 v17, 0xff, v5
	v_cmp_ne_u32_e32 vcc, 0, v17
	s_andn2_b64 s[4:5], s[4:5], exec
	s_and_b64 s[10:11], vcc, exec
	s_mov_b32 s8, 0
	s_or_b64 s[4:5], s[4:5], s[10:11]
	s_or_b64 exec, exec, s[6:7]
	v_mov_b32_e32 v5, s8
	s_and_saveexec_b64 s[6:7], s[4:5]
	s_cbranch_execnz .LBB13_85
	s_branch .LBB13_86
.LBB13_180:                             ;   in Loop: Header=BB13_81 Depth=1
	v_bfe_u32 v4, v15, 20, 1
	v_add3_u32 v4, v15, v4, s21
	s_mov_b64 s[4:5], exec
	v_lshrrev_b32_e32 v16, 20, v4
	s_or_saveexec_b64 s[6:7], s[6:7]
                                        ; implicit-def: $sgpr8
	s_xor_b64 exec, exec, s[6:7]
	s_cbranch_execz .LBB13_90
.LBB13_181:                             ;   in Loop: Header=BB13_81 Depth=1
	v_add_f32_e64 v4, |v15|, s22
	v_and_b32_e32 v16, 0xff, v4
	v_cmp_ne_u32_e32 vcc, 0, v16
	s_andn2_b64 s[4:5], s[4:5], exec
	s_and_b64 s[10:11], vcc, exec
	s_mov_b32 s8, 0
	s_or_b64 s[4:5], s[4:5], s[10:11]
	s_or_b64 exec, exec, s[6:7]
	v_mov_b32_e32 v4, s8
	s_and_saveexec_b64 s[6:7], s[4:5]
	s_cbranch_execnz .LBB13_91
	s_branch .LBB13_92
.LBB13_182:                             ;   in Loop: Header=BB13_81 Depth=1
	v_bfe_u32 v7, v15, 20, 1
	v_add3_u32 v7, v15, v7, s21
	s_mov_b64 s[4:5], exec
	v_lshrrev_b32_e32 v16, 20, v7
	s_or_saveexec_b64 s[6:7], s[6:7]
                                        ; implicit-def: $sgpr8
	s_xor_b64 exec, exec, s[6:7]
	s_cbranch_execz .LBB13_96
.LBB13_183:                             ;   in Loop: Header=BB13_81 Depth=1
	v_add_f32_e64 v7, |v15|, s22
	v_and_b32_e32 v16, 0xff, v7
	v_cmp_ne_u32_e32 vcc, 0, v16
	s_andn2_b64 s[4:5], s[4:5], exec
	s_and_b64 s[10:11], vcc, exec
	s_mov_b32 s8, 0
	s_or_b64 s[4:5], s[4:5], s[10:11]
	s_or_b64 exec, exec, s[6:7]
	v_mov_b32_e32 v7, s8
	s_and_saveexec_b64 s[6:7], s[4:5]
	s_cbranch_execnz .LBB13_97
	s_branch .LBB13_98
.LBB13_184:                             ;   in Loop: Header=BB13_81 Depth=1
	v_bfe_u32 v2, v3, 20, 1
	v_add3_u32 v2, v3, v2, s21
	s_mov_b64 s[4:5], exec
	v_lshrrev_b32_e32 v6, 20, v2
	s_or_saveexec_b64 s[6:7], s[6:7]
                                        ; implicit-def: $sgpr8
	s_xor_b64 exec, exec, s[6:7]
	s_cbranch_execz .LBB13_102
.LBB13_185:                             ;   in Loop: Header=BB13_81 Depth=1
	v_add_f32_e64 v2, |v3|, s22
	v_and_b32_e32 v6, 0xff, v2
	v_cmp_ne_u32_e32 vcc, 0, v6
	s_andn2_b64 s[4:5], s[4:5], exec
	s_and_b64 s[10:11], vcc, exec
	s_mov_b32 s8, 0
	s_or_b64 s[4:5], s[4:5], s[10:11]
	s_or_b64 exec, exec, s[6:7]
	v_mov_b32_e32 v2, s8
	s_and_saveexec_b64 s[6:7], s[4:5]
	s_cbranch_execnz .LBB13_103
	s_branch .LBB13_104
.LBB13_186:                             ;   in Loop: Header=BB13_81 Depth=1
	v_bfe_u32 v7, v18, 20, 1
	v_add3_u32 v7, v18, v7, s21
	s_mov_b64 s[6:7], exec
	v_lshrrev_b32_e32 v19, 20, v7
	s_or_saveexec_b64 s[8:9], s[8:9]
                                        ; implicit-def: $sgpr10
	s_xor_b64 exec, exec, s[8:9]
	s_cbranch_execz .LBB13_109
.LBB13_187:                             ;   in Loop: Header=BB13_81 Depth=1
	v_add_f32_e64 v7, |v18|, s22
	v_and_b32_e32 v19, 0xff, v7
	v_cmp_ne_u32_e32 vcc, 0, v19
	s_andn2_b64 s[6:7], s[6:7], exec
	s_and_b64 s[12:13], vcc, exec
	s_mov_b32 s10, 0
	s_or_b64 s[6:7], s[6:7], s[12:13]
	s_or_b64 exec, exec, s[8:9]
	v_mov_b32_e32 v7, s10
	s_and_saveexec_b64 s[8:9], s[6:7]
	s_cbranch_execnz .LBB13_110
	s_branch .LBB13_111
.LBB13_188:                             ;   in Loop: Header=BB13_81 Depth=1
	v_bfe_u32 v6, v17, 20, 1
	v_add3_u32 v6, v17, v6, s21
	s_mov_b64 s[6:7], exec
	v_lshrrev_b32_e32 v18, 20, v6
	s_or_saveexec_b64 s[8:9], s[8:9]
                                        ; implicit-def: $sgpr10
	s_xor_b64 exec, exec, s[8:9]
	s_cbranch_execz .LBB13_115
.LBB13_189:                             ;   in Loop: Header=BB13_81 Depth=1
	v_add_f32_e64 v6, |v17|, s22
	v_and_b32_e32 v18, 0xff, v6
	v_cmp_ne_u32_e32 vcc, 0, v18
	s_andn2_b64 s[6:7], s[6:7], exec
	s_and_b64 s[12:13], vcc, exec
	s_mov_b32 s10, 0
	s_or_b64 s[6:7], s[6:7], s[12:13]
	s_or_b64 exec, exec, s[8:9]
	v_mov_b32_e32 v6, s10
	s_and_saveexec_b64 s[8:9], s[6:7]
	s_cbranch_execnz .LBB13_116
	s_branch .LBB13_117
.LBB13_190:                             ;   in Loop: Header=BB13_81 Depth=1
	v_bfe_u32 v16, v17, 20, 1
	v_add3_u32 v16, v17, v16, s21
	s_mov_b64 s[6:7], exec
	v_lshrrev_b32_e32 v18, 20, v16
	s_or_saveexec_b64 s[8:9], s[8:9]
                                        ; implicit-def: $sgpr10
	s_xor_b64 exec, exec, s[8:9]
	s_cbranch_execz .LBB13_121
.LBB13_191:                             ;   in Loop: Header=BB13_81 Depth=1
	v_add_f32_e64 v16, |v17|, s22
	v_and_b32_e32 v18, 0xff, v16
	v_cmp_ne_u32_e32 vcc, 0, v18
	s_andn2_b64 s[6:7], s[6:7], exec
	s_and_b64 s[12:13], vcc, exec
	s_mov_b32 s10, 0
	s_or_b64 s[6:7], s[6:7], s[12:13]
	s_or_b64 exec, exec, s[8:9]
	v_mov_b32_e32 v16, s10
	s_and_saveexec_b64 s[8:9], s[6:7]
	s_cbranch_execnz .LBB13_122
	s_branch .LBB13_123
.LBB13_192:                             ;   in Loop: Header=BB13_81 Depth=1
	v_bfe_u32 v4, v5, 20, 1
	v_add3_u32 v4, v5, v4, s21
	s_mov_b64 s[6:7], exec
	v_lshrrev_b32_e32 v15, 20, v4
	s_or_saveexec_b64 s[8:9], s[8:9]
                                        ; implicit-def: $sgpr10
	s_xor_b64 exec, exec, s[8:9]
	s_cbranch_execz .LBB13_127
.LBB13_193:                             ;   in Loop: Header=BB13_81 Depth=1
	v_add_f32_e64 v4, |v5|, s22
	v_and_b32_e32 v15, 0xff, v4
	v_cmp_ne_u32_e32 vcc, 0, v15
	s_andn2_b64 s[6:7], s[6:7], exec
	s_and_b64 s[12:13], vcc, exec
	s_mov_b32 s10, 0
	s_or_b64 s[6:7], s[6:7], s[12:13]
	s_or_b64 exec, exec, s[8:9]
	v_mov_b32_e32 v4, s10
	s_and_saveexec_b64 s[8:9], s[6:7]
	s_cbranch_execnz .LBB13_128
	s_branch .LBB13_129
.LBB13_194:                             ;   in Loop: Header=BB13_81 Depth=1
	v_bfe_u32 v15, v19, 20, 1
	v_add3_u32 v15, v19, v15, s21
	s_mov_b64 s[8:9], exec
	v_lshrrev_b32_e32 v20, 20, v15
	s_or_saveexec_b64 s[10:11], s[10:11]
                                        ; implicit-def: $sgpr12
	s_xor_b64 exec, exec, s[10:11]
	s_cbranch_execz .LBB13_134
.LBB13_195:                             ;   in Loop: Header=BB13_81 Depth=1
	v_add_f32_e64 v15, |v19|, s22
	v_and_b32_e32 v20, 0xff, v15
	v_cmp_ne_u32_e32 vcc, 0, v20
	s_andn2_b64 s[8:9], s[8:9], exec
	s_and_b64 s[26:27], vcc, exec
	s_mov_b32 s12, 0
	s_or_b64 s[8:9], s[8:9], s[26:27]
	s_or_b64 exec, exec, s[10:11]
	v_mov_b32_e32 v15, s12
	s_and_saveexec_b64 s[10:11], s[8:9]
	s_cbranch_execnz .LBB13_135
	s_branch .LBB13_136
.LBB13_196:                             ;   in Loop: Header=BB13_81 Depth=1
	v_bfe_u32 v3, v18, 20, 1
	v_add3_u32 v3, v18, v3, s21
	s_mov_b64 s[8:9], exec
	v_lshrrev_b32_e32 v19, 20, v3
	s_or_saveexec_b64 s[10:11], s[10:11]
                                        ; implicit-def: $sgpr12
	s_xor_b64 exec, exec, s[10:11]
	s_cbranch_execz .LBB13_140
.LBB13_197:                             ;   in Loop: Header=BB13_81 Depth=1
	v_add_f32_e64 v3, |v18|, s22
	v_and_b32_e32 v19, 0xff, v3
	v_cmp_ne_u32_e32 vcc, 0, v19
	s_andn2_b64 s[8:9], s[8:9], exec
	s_and_b64 s[26:27], vcc, exec
	s_mov_b32 s12, 0
	s_or_b64 s[8:9], s[8:9], s[26:27]
	s_or_b64 exec, exec, s[10:11]
	v_mov_b32_e32 v3, s12
	s_and_saveexec_b64 s[10:11], s[8:9]
	s_cbranch_execnz .LBB13_141
	s_branch .LBB13_142
.LBB13_198:                             ;   in Loop: Header=BB13_81 Depth=1
	v_bfe_u32 v17, v18, 20, 1
	v_add3_u32 v17, v18, v17, s21
	s_mov_b64 s[8:9], exec
	v_lshrrev_b32_e32 v19, 20, v17
	s_or_saveexec_b64 s[10:11], s[10:11]
                                        ; implicit-def: $sgpr12
	s_xor_b64 exec, exec, s[10:11]
	s_cbranch_execz .LBB13_146
.LBB13_199:                             ;   in Loop: Header=BB13_81 Depth=1
	v_add_f32_e64 v17, |v18|, s22
	v_and_b32_e32 v19, 0xff, v17
	v_cmp_ne_u32_e32 vcc, 0, v19
	s_andn2_b64 s[8:9], s[8:9], exec
	s_and_b64 s[26:27], vcc, exec
	s_mov_b32 s12, 0
	s_or_b64 s[8:9], s[8:9], s[26:27]
	s_or_b64 exec, exec, s[10:11]
	v_mov_b32_e32 v17, s12
	s_and_saveexec_b64 s[10:11], s[8:9]
	s_cbranch_execnz .LBB13_147
	s_branch .LBB13_148
.LBB13_200:                             ;   in Loop: Header=BB13_81 Depth=1
	v_bfe_u32 v6, v7, 20, 1
	v_add3_u32 v6, v7, v6, s21
	s_mov_b64 s[8:9], exec
	v_lshrrev_b32_e32 v16, 20, v6
	s_or_saveexec_b64 s[10:11], s[10:11]
                                        ; implicit-def: $sgpr12
	s_xor_b64 exec, exec, s[10:11]
	s_cbranch_execz .LBB13_152
.LBB13_201:                             ;   in Loop: Header=BB13_81 Depth=1
	v_add_f32_e64 v6, |v7|, s22
	v_and_b32_e32 v16, 0xff, v6
	v_cmp_ne_u32_e32 vcc, 0, v16
	s_andn2_b64 s[8:9], s[8:9], exec
	s_and_b64 s[26:27], vcc, exec
	s_mov_b32 s12, 0
	s_or_b64 s[8:9], s[8:9], s[26:27]
	s_or_b64 exec, exec, s[10:11]
	v_mov_b32_e32 v6, s12
	s_and_saveexec_b64 s[10:11], s[8:9]
	s_cbranch_execnz .LBB13_153
	s_branch .LBB13_154
.LBB13_202:                             ;   in Loop: Header=BB13_81 Depth=1
	v_bfe_u32 v6, v17, 20, 1
	v_add3_u32 v6, v17, v6, s21
	s_mov_b64 s[10:11], exec
	v_lshrrev_b32_e32 v18, 20, v6
	s_or_saveexec_b64 s[12:13], s[12:13]
                                        ; implicit-def: $sgpr25
	s_xor_b64 exec, exec, s[12:13]
	s_cbranch_execz .LBB13_159
.LBB13_203:                             ;   in Loop: Header=BB13_81 Depth=1
	v_add_f32_e64 v6, |v17|, s22
	v_and_b32_e32 v18, 0xff, v6
	v_cmp_ne_u32_e32 vcc, 0, v18
	s_andn2_b64 s[10:11], s[10:11], exec
	s_and_b64 s[26:27], vcc, exec
	s_mov_b32 s25, 0
	s_or_b64 s[10:11], s[10:11], s[26:27]
	s_or_b64 exec, exec, s[12:13]
	v_mov_b32_e32 v6, s25
	s_and_saveexec_b64 s[12:13], s[10:11]
	s_cbranch_execnz .LBB13_160
	s_branch .LBB13_161
.LBB13_204:                             ;   in Loop: Header=BB13_81 Depth=1
	v_bfe_u32 v3, v16, 20, 1
	v_add3_u32 v3, v16, v3, s21
	s_mov_b64 s[10:11], exec
	v_lshrrev_b32_e32 v17, 20, v3
	s_or_saveexec_b64 s[12:13], s[12:13]
                                        ; implicit-def: $sgpr25
	s_xor_b64 exec, exec, s[12:13]
	s_cbranch_execz .LBB13_165
.LBB13_205:                             ;   in Loop: Header=BB13_81 Depth=1
	v_add_f32_e64 v3, |v16|, s22
	v_and_b32_e32 v17, 0xff, v3
	v_cmp_ne_u32_e32 vcc, 0, v17
	s_andn2_b64 s[10:11], s[10:11], exec
	s_and_b64 s[26:27], vcc, exec
	s_mov_b32 s25, 0
	s_or_b64 s[10:11], s[10:11], s[26:27]
	s_or_b64 exec, exec, s[12:13]
	v_mov_b32_e32 v3, s25
	s_and_saveexec_b64 s[12:13], s[10:11]
	s_cbranch_execnz .LBB13_166
	s_branch .LBB13_167
.LBB13_206:                             ;   in Loop: Header=BB13_81 Depth=1
	v_bfe_u32 v15, v16, 20, 1
	v_add3_u32 v15, v16, v15, s21
	s_mov_b64 s[10:11], exec
	v_lshrrev_b32_e32 v17, 20, v15
	s_or_saveexec_b64 s[12:13], s[12:13]
                                        ; implicit-def: $sgpr25
	s_xor_b64 exec, exec, s[12:13]
	s_cbranch_execz .LBB13_171
.LBB13_207:                             ;   in Loop: Header=BB13_81 Depth=1
	v_add_f32_e64 v15, |v16|, s22
	v_and_b32_e32 v17, 0xff, v15
	v_cmp_ne_u32_e32 vcc, 0, v17
	s_andn2_b64 s[10:11], s[10:11], exec
	s_and_b64 s[26:27], vcc, exec
	s_mov_b32 s25, 0
	s_or_b64 s[10:11], s[10:11], s[26:27]
	s_or_b64 exec, exec, s[12:13]
	v_mov_b32_e32 v15, s25
	s_and_saveexec_b64 s[12:13], s[10:11]
	s_cbranch_execnz .LBB13_172
	s_branch .LBB13_173
.LBB13_208:                             ;   in Loop: Header=BB13_81 Depth=1
	v_bfe_u32 v4, v5, 20, 1
	v_add3_u32 v4, v5, v4, s21
	s_mov_b64 s[10:11], exec
	v_lshrrev_b32_e32 v7, 20, v4
	s_or_saveexec_b64 s[12:13], s[12:13]
                                        ; implicit-def: $sgpr25
	s_xor_b64 exec, exec, s[12:13]
	s_cbranch_execz .LBB13_177
.LBB13_209:                             ;   in Loop: Header=BB13_81 Depth=1
	v_add_f32_e64 v4, |v5|, s22
	v_and_b32_e32 v7, 0xff, v4
	v_cmp_ne_u32_e32 vcc, 0, v7
	s_andn2_b64 s[10:11], s[10:11], exec
	s_and_b64 s[26:27], vcc, exec
	s_mov_b32 s25, 0
	s_or_b64 s[10:11], s[10:11], s[26:27]
	s_or_b64 exec, exec, s[12:13]
	v_mov_b32_e32 v4, s25
	s_and_saveexec_b64 s[12:13], s[10:11]
	s_cbranch_execz .LBB13_76
.LBB13_210:                             ;   in Loop: Header=BB13_81 Depth=1
	v_lshrrev_b32_e32 v4, 24, v5
	v_and_or_b32 v4, v4, s23, v7
	s_branch .LBB13_76
.LBB13_211:
	s_endpgm
	.section	.rodata,"a",@progbits
	.p2align	6, 0x0
	.amdhsa_kernel _ZN4vllm39rms_norm_dynamic_per_token_quant_kernelIN3c108BFloat16ENS1_15Float8_e4m3fnuzELb1EEEvPT0_PfPKT_S9_PKffiiPS7_
		.amdhsa_group_segment_fixed_size 272
		.amdhsa_private_segment_fixed_size 0
		.amdhsa_kernarg_size 320
		.amdhsa_user_sgpr_count 6
		.amdhsa_user_sgpr_private_segment_buffer 1
		.amdhsa_user_sgpr_dispatch_ptr 0
		.amdhsa_user_sgpr_queue_ptr 0
		.amdhsa_user_sgpr_kernarg_segment_ptr 1
		.amdhsa_user_sgpr_dispatch_id 0
		.amdhsa_user_sgpr_flat_scratch_init 0
		.amdhsa_user_sgpr_kernarg_preload_length 0
		.amdhsa_user_sgpr_kernarg_preload_offset 0
		.amdhsa_user_sgpr_private_segment_size 0
		.amdhsa_uses_dynamic_stack 0
		.amdhsa_system_sgpr_private_segment_wavefront_offset 0
		.amdhsa_system_sgpr_workgroup_id_x 1
		.amdhsa_system_sgpr_workgroup_id_y 0
		.amdhsa_system_sgpr_workgroup_id_z 0
		.amdhsa_system_sgpr_workgroup_info 0
		.amdhsa_system_vgpr_workitem_id 0
		.amdhsa_next_free_vgpr 34
		.amdhsa_next_free_sgpr 57
		.amdhsa_accum_offset 36
		.amdhsa_reserve_vcc 1
		.amdhsa_reserve_flat_scratch 0
		.amdhsa_float_round_mode_32 0
		.amdhsa_float_round_mode_16_64 0
		.amdhsa_float_denorm_mode_32 3
		.amdhsa_float_denorm_mode_16_64 3
		.amdhsa_dx10_clamp 1
		.amdhsa_ieee_mode 1
		.amdhsa_fp16_overflow 0
		.amdhsa_tg_split 0
		.amdhsa_exception_fp_ieee_invalid_op 0
		.amdhsa_exception_fp_denorm_src 0
		.amdhsa_exception_fp_ieee_div_zero 0
		.amdhsa_exception_fp_ieee_overflow 0
		.amdhsa_exception_fp_ieee_underflow 0
		.amdhsa_exception_fp_ieee_inexact 0
		.amdhsa_exception_int_div_zero 0
	.end_amdhsa_kernel
	.section	.text._ZN4vllm39rms_norm_dynamic_per_token_quant_kernelIN3c108BFloat16ENS1_15Float8_e4m3fnuzELb1EEEvPT0_PfPKT_S9_PKffiiPS7_,"axG",@progbits,_ZN4vllm39rms_norm_dynamic_per_token_quant_kernelIN3c108BFloat16ENS1_15Float8_e4m3fnuzELb1EEEvPT0_PfPKT_S9_PKffiiPS7_,comdat
.Lfunc_end13:
	.size	_ZN4vllm39rms_norm_dynamic_per_token_quant_kernelIN3c108BFloat16ENS1_15Float8_e4m3fnuzELb1EEEvPT0_PfPKT_S9_PKffiiPS7_, .Lfunc_end13-_ZN4vllm39rms_norm_dynamic_per_token_quant_kernelIN3c108BFloat16ENS1_15Float8_e4m3fnuzELb1EEEvPT0_PfPKT_S9_PKffiiPS7_
                                        ; -- End function
	.section	.AMDGPU.csdata,"",@progbits
; Kernel info:
; codeLenInByte = 15620
; NumSgprs: 61
; NumVgprs: 34
; NumAgprs: 0
; TotalNumVgprs: 34
; ScratchSize: 0
; MemoryBound: 0
; FloatMode: 240
; IeeeMode: 1
; LDSByteSize: 272 bytes/workgroup (compile time only)
; SGPRBlocks: 7
; VGPRBlocks: 4
; NumSGPRsForWavesPerEU: 61
; NumVGPRsForWavesPerEU: 34
; AccumOffset: 36
; Occupancy: 8
; WaveLimiterHint : 0
; COMPUTE_PGM_RSRC2:SCRATCH_EN: 0
; COMPUTE_PGM_RSRC2:USER_SGPR: 6
; COMPUTE_PGM_RSRC2:TRAP_HANDLER: 0
; COMPUTE_PGM_RSRC2:TGID_X_EN: 1
; COMPUTE_PGM_RSRC2:TGID_Y_EN: 0
; COMPUTE_PGM_RSRC2:TGID_Z_EN: 0
; COMPUTE_PGM_RSRC2:TIDIG_COMP_CNT: 0
; COMPUTE_PGM_RSRC3_GFX90A:ACCUM_OFFSET: 8
; COMPUTE_PGM_RSRC3_GFX90A:TG_SPLIT: 0
	.section	.text._ZN4vllm39rms_norm_dynamic_per_token_quant_kernelIN3c108BFloat16EaLb1EEEvPT0_PfPKT_S8_PKffiiPS6_,"axG",@progbits,_ZN4vllm39rms_norm_dynamic_per_token_quant_kernelIN3c108BFloat16EaLb1EEEvPT0_PfPKT_S8_PKffiiPS6_,comdat
	.protected	_ZN4vllm39rms_norm_dynamic_per_token_quant_kernelIN3c108BFloat16EaLb1EEEvPT0_PfPKT_S8_PKffiiPS6_ ; -- Begin function _ZN4vllm39rms_norm_dynamic_per_token_quant_kernelIN3c108BFloat16EaLb1EEEvPT0_PfPKT_S8_PKffiiPS6_
	.globl	_ZN4vllm39rms_norm_dynamic_per_token_quant_kernelIN3c108BFloat16EaLb1EEEvPT0_PfPKT_S8_PKffiiPS6_
	.p2align	8
	.type	_ZN4vllm39rms_norm_dynamic_per_token_quant_kernelIN3c108BFloat16EaLb1EEEvPT0_PfPKT_S8_PKffiiPS6_,@function
_ZN4vllm39rms_norm_dynamic_per_token_quant_kernelIN3c108BFloat16EaLb1EEEvPT0_PfPKT_S8_PKffiiPS6_: ; @_ZN4vllm39rms_norm_dynamic_per_token_quant_kernelIN3c108BFloat16EaLb1EEEvPT0_PfPKT_S8_PKffiiPS6_
; %bb.0:
	s_load_dwordx4 s[36:39], s[4:5], 0x28
	s_load_dwordx2 s[34:35], s[4:5], 0x20
	s_load_dwordx8 s[24:31], s[4:5], 0x0
	s_load_dwordx2 s[22:23], s[4:5], 0x38
	s_waitcnt lgkmcnt(0)
	s_or_b32 s0, s38, s37
	s_and_b32 s0, s0, 3
	s_cmp_lg_u32 s0, 0
	s_cbranch_scc0 .LBB14_31
; %bb.1:
	v_cmp_gt_u32_e64 s[0:1], s37, v0
	v_cmp_le_u32_e64 s[2:3], s37, v0
                                        ; implicit-def: $sgpr7
                                        ; implicit-def: $sgpr10_sgpr11
	s_and_saveexec_b64 s[8:9], s[2:3]
	s_xor_b64 s[8:9], exec, s[8:9]
; %bb.2:
	s_add_u32 s10, s4, 64
	s_addc_u32 s11, s5, 0
	s_mov_b32 s7, 0
; %bb.3:
	s_or_saveexec_b64 s[8:9], s[8:9]
	v_mov_b32_e32 v6, s7
	v_pk_mov_b32 v[2:3], s[10:11], s[10:11] op_sel:[0,1]
	v_mov_b32_e32 v1, s6
	s_xor_b64 exec, exec, s[8:9]
	s_cbranch_execz .LBB14_7
; %bb.4:
	s_ashr_i32 s7, s37, 31
	s_mul_hi_u32 s10, s37, s6
	s_mul_i32 s7, s7, s6
	s_add_i32 s11, s10, s7
	s_ashr_i32 s7, s38, 31
	s_mul_hi_u32 s12, s38, s6
	s_mul_i32 s7, s7, s6
	s_add_i32 s13, s12, s7
	s_mul_i32 s12, s38, s6
	s_lshl_b64 s[12:13], s[12:13], 1
	s_mul_i32 s10, s37, s6
	s_add_u32 s7, s28, s12
	s_load_dword s12, s[4:5], 0x4c
	s_addc_u32 s16, s29, s13
	s_lshl_b64 s[10:11], s[10:11], 1
	s_add_u32 s14, s22, s10
	s_addc_u32 s17, s23, s11
	s_add_u32 s10, s4, 64
	s_addc_u32 s11, s5, 0
	s_waitcnt lgkmcnt(0)
	s_and_b32 s15, s12, 0xffff
	s_mov_b64 s[12:13], 0
	v_mov_b32_e32 v3, 0
	v_mov_b32_e32 v1, s16
	v_mov_b32_e32 v4, s17
	v_mov_b32_e32 v6, 0
	v_mov_b32_e32 v2, v0
.LBB14_5:                               ; =>This Inner Loop Header: Depth=1
	v_lshlrev_b64 v[8:9], 1, v[2:3]
	v_add_co_u32_e32 v10, vcc, s7, v8
	v_addc_co_u32_e32 v11, vcc, v1, v9, vcc
	v_add_co_u32_e32 v8, vcc, s14, v8
	v_addc_co_u32_e32 v9, vcc, v4, v9, vcc
	global_load_ushort v5, v[10:11], off
	global_load_ushort v7, v[8:9], off
	v_add_u32_e32 v2, s15, v2
	v_cmp_le_u32_e32 vcc, s37, v2
	s_or_b64 s[12:13], vcc, s[12:13]
	s_waitcnt vmcnt(1)
	v_lshlrev_b32_e32 v5, 16, v5
	s_waitcnt vmcnt(0)
	v_lshlrev_b32_e32 v7, 16, v7
	v_add_f32_e32 v5, v7, v5
	v_fmac_f32_e32 v6, v5, v5
	s_andn2_b64 exec, exec, s[12:13]
	s_cbranch_execnz .LBB14_5
; %bb.6:
	s_or_b64 exec, exec, s[12:13]
	v_pk_mov_b32 v[2:3], s[10:11], s[10:11] op_sel:[0,1]
	v_mov_b32_e32 v1, s6
.LBB14_7:
	s_or_b64 exec, exec, s[8:9]
	global_load_dword v4, v[2:3], off
	v_and_b32_e32 v5, 0x3c0, v0
	s_waitcnt vmcnt(0)
	v_cmp_lt_u32_e32 vcc, v1, v4
	v_cndmask_b32_e64 v1, 18, 12, vcc
	v_add_co_u32_e32 v2, vcc, v2, v1
	v_addc_co_u32_e32 v3, vcc, 0, v3, vcc
	global_load_ushort v1, v[2:3], off
	v_mbcnt_lo_u32_b32 v2, -1, 0
	v_mbcnt_hi_u32_b32 v4, -1, v2
	v_and_b32_e32 v2, 63, v4
	v_cmp_ne_u32_e32 vcc, 63, v2
	v_addc_co_u32_e32 v3, vcc, 0, v4, vcc
	v_lshlrev_b32_e32 v14, 2, v3
	ds_bpermute_b32 v3, v14, v6
	v_cmp_gt_u32_e32 vcc, 62, v2
	v_cndmask_b32_e64 v12, 0, 1, vcc
	v_lshlrev_b32_e32 v12, 1, v12
	v_add_u32_e32 v7, 1, v4
	v_add_lshl_u32 v13, v12, v4, 2
	s_waitcnt lgkmcnt(0)
	v_add_f32_e32 v3, v6, v3
	v_add_u32_e32 v8, 2, v4
	v_add_u32_e32 v10, 4, v4
	;; [unrolled: 1-line block ×5, first 2 shown]
	v_cmp_eq_u32_e64 s[8:9], 0, v4
	s_waitcnt vmcnt(0)
	v_sub_u32_e64 v12, v1, v5 clamp
	v_cmp_lt_u32_e32 vcc, v7, v12
	v_cndmask_b32_e32 v3, v6, v3, vcc
	ds_bpermute_b32 v6, v13, v3
	v_cmp_gt_u32_e32 vcc, 60, v2
	v_cndmask_b32_e64 v15, 0, 1, vcc
	v_lshlrev_b32_e32 v15, 2, v15
	v_cmp_lt_u32_e32 vcc, v8, v12
	s_waitcnt lgkmcnt(0)
	v_add_f32_e32 v6, v3, v6
	v_add_lshl_u32 v15, v15, v4, 2
	v_cndmask_b32_e32 v3, v3, v6, vcc
	ds_bpermute_b32 v6, v15, v3
	v_cmp_gt_u32_e32 vcc, 56, v2
	v_cndmask_b32_e64 v16, 0, 1, vcc
	v_lshlrev_b32_e32 v16, 3, v16
	v_cmp_lt_u32_e32 vcc, v10, v12
	s_waitcnt lgkmcnt(0)
	v_add_f32_e32 v6, v3, v6
	v_add_lshl_u32 v16, v16, v4, 2
	v_cndmask_b32_e32 v3, v3, v6, vcc
	ds_bpermute_b32 v6, v16, v3
	v_cmp_gt_u32_e32 vcc, 48, v2
	v_cndmask_b32_e64 v17, 0, 1, vcc
	v_lshlrev_b32_e32 v17, 4, v17
	v_cmp_lt_u32_e32 vcc, v11, v12
	s_waitcnt lgkmcnt(0)
	v_add_f32_e32 v6, v3, v6
	v_add_lshl_u32 v18, v17, v4, 2
	v_cndmask_b32_e32 v3, v3, v6, vcc
	ds_bpermute_b32 v6, v18, v3
	v_cmp_gt_u32_e32 vcc, 32, v2
	v_cndmask_b32_e64 v2, 0, 1, vcc
	v_lshlrev_b32_e32 v2, 5, v2
	v_add_lshl_u32 v17, v2, v4, 2
	s_waitcnt lgkmcnt(0)
	v_add_f32_e32 v2, v3, v6
	v_cmp_lt_u32_e32 vcc, v9, v12
	v_cndmask_b32_e32 v2, v3, v2, vcc
	ds_bpermute_b32 v3, v17, v2
	v_cmp_lt_u32_e32 vcc, v19, v12
	s_waitcnt lgkmcnt(0)
	v_add_f32_e32 v3, v2, v3
	v_cndmask_b32_e32 v2, v2, v3, vcc
	s_and_saveexec_b64 s[10:11], s[8:9]
	s_cbranch_execz .LBB14_9
; %bb.8:
	v_lshrrev_b32_e32 v3, 4, v0
	v_and_b32_e32 v3, 60, v3
	ds_write_b32 v3, v2 offset:128
.LBB14_9:
	s_or_b64 exec, exec, s[10:11]
	v_cmp_gt_u32_e64 s[10:11], 16, v0
	v_lshlrev_b32_e32 v12, 2, v4
	v_and_b32_e32 v6, 15, v4
	s_waitcnt lgkmcnt(0)
	s_barrier
	s_and_saveexec_b64 s[14:15], s[10:11]
	s_cbranch_execz .LBB14_11
; %bb.10:
	ds_read_b32 v2, v12 offset:128
	v_cmp_ne_u32_e32 vcc, 15, v6
	v_addc_co_u32_e32 v3, vcc, 0, v4, vcc
	v_lshlrev_b32_e32 v3, 2, v3
	s_waitcnt lgkmcnt(0)
	ds_bpermute_b32 v3, v3, v2
	v_add_u32_e32 v1, 63, v1
	v_add_u32_e32 v20, 1, v6
	v_lshrrev_b32_e32 v1, 6, v1
	v_cmp_gt_u32_e64 s[12:13], 14, v6
	v_cmp_lt_u32_e32 vcc, v20, v1
	v_cndmask_b32_e64 v20, 0, 1, s[12:13]
	s_waitcnt lgkmcnt(0)
	v_add_f32_e32 v3, v2, v3
	v_lshlrev_b32_e32 v20, 1, v20
	v_cndmask_b32_e32 v3, v2, v3, vcc
	v_add_lshl_u32 v20, v20, v4, 2
	ds_bpermute_b32 v20, v20, v3
	v_add_u32_e32 v21, 2, v6
	v_cmp_lt_u32_e64 s[12:13], v21, v1
	v_add_u32_e32 v21, 4, v6
	s_waitcnt lgkmcnt(0)
	v_add_f32_e32 v20, v3, v20
	v_cndmask_b32_e64 v3, v3, v20, s[12:13]
	v_cmp_gt_u32_e64 s[12:13], 12, v6
	v_cndmask_b32_e64 v20, 0, 1, s[12:13]
	v_lshlrev_b32_e32 v20, 2, v20
	v_add_lshl_u32 v20, v20, v4, 2
	ds_bpermute_b32 v20, v20, v3
	v_cmp_lt_u32_e64 s[12:13], v21, v1
	v_add_u32_e32 v21, 8, v6
	s_waitcnt lgkmcnt(0)
	v_add_f32_e32 v20, v3, v20
	v_cndmask_b32_e64 v3, v3, v20, s[12:13]
	v_cmp_gt_u32_e64 s[12:13], 8, v6
	v_cndmask_b32_e64 v20, 0, 1, s[12:13]
	v_lshlrev_b32_e32 v20, 3, v20
	v_add_lshl_u32 v20, v20, v4, 2
	ds_bpermute_b32 v20, v20, v3
	v_cmp_lt_u32_e64 s[12:13], v21, v1
	s_waitcnt lgkmcnt(0)
	v_add_f32_e32 v20, v3, v20
	v_cndmask_b32_e64 v1, v3, v20, s[12:13]
	v_cndmask_b32_e32 v2, v2, v1, vcc
.LBB14_11:
	s_or_b64 exec, exec, s[14:15]
	s_mov_b32 s7, 0
	v_cmp_eq_u32_e64 s[12:13], 0, v0
	s_and_saveexec_b64 s[14:15], s[12:13]
	s_cbranch_execz .LBB14_13
; %bb.12:
	v_cvt_f32_i32_e32 v1, s37
	v_div_scale_f32 v3, s[16:17], v1, v1, v2
	v_rcp_f32_e32 v20, v3
	v_div_scale_f32 v21, vcc, v2, v1, v2
	s_mov_b32 s16, 0x800000
	v_fma_f32 v22, -v3, v20, 1.0
	v_fmac_f32_e32 v20, v22, v20
	v_mul_f32_e32 v22, v21, v20
	v_fma_f32 v23, -v3, v22, v21
	v_fmac_f32_e32 v22, v23, v20
	v_fma_f32 v3, -v3, v22, v21
	v_div_fmas_f32 v3, v3, v20, v22
	v_div_fixup_f32 v1, v3, v1, v2
	v_add_f32_e32 v1, s36, v1
	v_mul_f32_e32 v2, 0x4b800000, v1
	v_cmp_gt_f32_e32 vcc, s16, v1
	v_cndmask_b32_e32 v1, v1, v2, vcc
	v_rsq_f32_e32 v1, v1
	v_mul_f32_e32 v2, 0x45800000, v1
	v_cndmask_b32_e32 v1, v1, v2, vcc
	v_mov_b32_e32 v2, 0
	ds_write_b32 v2, v1 offset:264
.LBB14_13:
	s_or_b64 exec, exec, s[14:15]
	v_mov_b32_e32 v1, 0
	s_waitcnt lgkmcnt(0)
	s_barrier
	ds_read_b32 v1, v1 offset:264
	s_waitcnt lgkmcnt(0)
	s_barrier
	s_waitcnt lgkmcnt(0)
                                        ; implicit-def: $sgpr16
                                        ; implicit-def: $sgpr14_sgpr15
	s_and_saveexec_b64 s[18:19], s[2:3]
	s_xor_b64 s[2:3], exec, s[18:19]
; %bb.14:
	s_add_u32 s14, s4, 64
	s_addc_u32 s15, s5, 0
	s_mov_b32 s16, 0
; %bb.15:
	s_or_saveexec_b64 s[2:3], s[2:3]
	v_mov_b32_e32 v20, s16
	v_pk_mov_b32 v[2:3], s[14:15], s[14:15] op_sel:[0,1]
	s_mul_hi_u32 s39, s37, s6
	s_mul_i32 s40, s37, s6
	s_mul_hi_u32 s33, s38, s6
	s_mul_i32 s42, s38, s6
	s_xor_b64 exec, exec, s[2:3]
	s_cbranch_execz .LBB14_19
; %bb.16:
	s_ashr_i32 s14, s37, 31
	s_mul_i32 s14, s14, s6
	s_add_i32 s41, s39, s14
	s_ashr_i32 s14, s38, 31
	s_mul_i32 s14, s14, s6
	s_add_i32 s43, s33, s14
	s_lshl_b64 s[14:15], s[42:43], 1
	s_add_u32 s18, s28, s14
	s_load_dword s16, s[4:5], 0x4c
	s_addc_u32 s21, s29, s15
	s_lshl_b64 s[14:15], s[40:41], 1
	s_add_u32 s19, s22, s14
	s_addc_u32 s41, s23, s15
	s_add_u32 s14, s4, 64
	s_addc_u32 s15, s5, 0
	s_waitcnt lgkmcnt(0)
	s_and_b32 s20, s16, 0xffff
	s_mov_b64 s[16:17], 0
	v_mov_b32_e32 v3, 0
	v_mov_b32_e32 v21, s21
	;; [unrolled: 1-line block ×3, first 2 shown]
	s_movk_i32 s21, 0x7fff
	v_mov_b32_e32 v23, s31
	v_mov_b32_e32 v24, 0x7fc00000
	;; [unrolled: 1-line block ×4, first 2 shown]
.LBB14_17:                              ; =>This Inner Loop Header: Depth=1
	v_lshlrev_b64 v[26:27], 1, v[2:3]
	v_add_co_u32_e32 v28, vcc, s18, v26
	v_addc_co_u32_e32 v29, vcc, v21, v27, vcc
	v_add_co_u32_e32 v30, vcc, s19, v26
	v_addc_co_u32_e32 v31, vcc, v22, v27, vcc
	;; [unrolled: 2-line block ×3, first 2 shown]
	global_load_ushort v25, v[28:29], off
	global_load_ushort v32, v[30:31], off
	global_load_ushort v33, v[26:27], off
	v_add_u32_e32 v2, s20, v2
	v_cmp_le_u32_e32 vcc, s37, v2
	s_or_b64 s[16:17], vcc, s[16:17]
	v_max_f32_e32 v20, v20, v20
	s_waitcnt vmcnt(2)
	v_lshlrev_b32_e32 v25, 16, v25
	s_waitcnt vmcnt(1)
	v_lshlrev_b32_e32 v26, 16, v32
	v_add_f32_e32 v25, v26, v25
	v_mul_f32_e32 v25, v1, v25
	v_bfe_u32 v26, v25, 16, 1
	v_add3_u32 v26, v25, v26, s21
	v_and_b32_e32 v26, 0xffff0000, v26
	v_cmp_o_f32_e32 vcc, v25, v25
	s_waitcnt vmcnt(0)
	v_lshlrev_b32_e32 v27, 16, v33
	v_cndmask_b32_e32 v25, v24, v26, vcc
	v_mul_f32_e32 v25, v25, v27
	v_bfe_u32 v26, v25, 16, 1
	v_add3_u32 v26, v25, v26, s21
	v_and_b32_e32 v26, 0xffff0000, v26
	v_cmp_o_f32_e32 vcc, v25, v25
	v_cndmask_b32_e64 v25, v24, |v26|, vcc
	v_max_f32_e32 v25, v25, v25
	v_max_f32_e32 v20, v20, v25
	s_andn2_b64 exec, exec, s[16:17]
	s_cbranch_execnz .LBB14_17
; %bb.18:
	s_or_b64 exec, exec, s[16:17]
	v_pk_mov_b32 v[2:3], s[14:15], s[14:15] op_sel:[0,1]
.LBB14_19:
	s_or_b64 exec, exec, s[2:3]
	global_load_dword v21, v[2:3], off
	s_waitcnt vmcnt(0)
	v_cmp_lt_u32_e32 vcc, s6, v21
	v_cndmask_b32_e64 v21, 18, 12, vcc
	v_add_co_u32_e32 v2, vcc, v2, v21
	v_addc_co_u32_e32 v3, vcc, 0, v3, vcc
	global_load_ushort v2, v[2:3], off
	ds_bpermute_b32 v3, v14, v20
	s_waitcnt lgkmcnt(0)
	v_cmp_lt_f32_e32 vcc, v20, v3
	v_cndmask_b32_e32 v3, v20, v3, vcc
	s_waitcnt vmcnt(0)
	v_sub_u32_e64 v5, v2, v5 clamp
	v_cmp_lt_u32_e32 vcc, v7, v5
	v_cndmask_b32_e32 v3, v20, v3, vcc
	ds_bpermute_b32 v7, v13, v3
	v_cmp_lt_u32_e64 s[18:19], v19, v5
	s_waitcnt lgkmcnt(0)
	v_cmp_lt_f32_e64 s[2:3], v3, v7
	v_cndmask_b32_e64 v7, v3, v7, s[2:3]
	v_cmp_lt_u32_e64 s[2:3], v8, v5
	v_cndmask_b32_e64 v3, v3, v7, s[2:3]
	ds_bpermute_b32 v7, v15, v3
	s_or_b64 s[2:3], vcc, s[2:3]
	s_waitcnt lgkmcnt(0)
	v_cmp_lt_f32_e64 s[14:15], v3, v7
	v_cndmask_b32_e64 v7, v3, v7, s[14:15]
	v_cmp_lt_u32_e64 s[14:15], v10, v5
	v_cndmask_b32_e64 v3, v3, v7, s[14:15]
	ds_bpermute_b32 v7, v16, v3
	s_or_b64 s[2:3], s[14:15], s[2:3]
	s_waitcnt lgkmcnt(0)
	v_cmp_lt_f32_e64 s[16:17], v3, v7
	v_cndmask_b32_e64 v7, v3, v7, s[16:17]
	v_cmp_lt_u32_e64 s[16:17], v11, v5
	v_cndmask_b32_e64 v3, v3, v7, s[16:17]
	ds_bpermute_b32 v7, v18, v3
	s_or_b64 s[2:3], s[16:17], s[2:3]
	s_waitcnt lgkmcnt(0)
	v_cmp_lt_f32_e64 s[20:21], v3, v7
	v_cndmask_b32_e64 v7, v3, v7, s[20:21]
	v_cmp_lt_u32_e64 s[20:21], v9, v5
	v_cndmask_b32_e64 v3, v3, v7, s[20:21]
	ds_bpermute_b32 v5, v17, v3
	s_or_b64 s[2:3], s[20:21], s[2:3]
	s_waitcnt lgkmcnt(0)
	v_cmp_lt_f32_e32 vcc, v3, v5
	s_and_b64 vcc, s[18:19], vcc
	v_cndmask_b32_e32 v3, v3, v5, vcc
	s_or_b64 vcc, s[18:19], s[2:3]
	v_cndmask_b32_e32 v3, v20, v3, vcc
	s_and_saveexec_b64 s[2:3], s[8:9]
	s_cbranch_execz .LBB14_21
; %bb.20:
	v_lshrrev_b32_e32 v5, 4, v0
	v_and_b32_e32 v5, 60, v5
	ds_write_b32 v5, v3 offset:192
.LBB14_21:
	s_or_b64 exec, exec, s[2:3]
	s_waitcnt lgkmcnt(0)
	s_barrier
	s_and_saveexec_b64 s[14:15], s[10:11]
	s_cbranch_execz .LBB14_23
; %bb.22:
	ds_read_b32 v3, v12 offset:192
	v_cmp_ne_u32_e32 vcc, 15, v6
	v_addc_co_u32_e32 v5, vcc, 0, v4, vcc
	v_lshlrev_b32_e32 v5, 2, v5
	s_waitcnt lgkmcnt(0)
	ds_bpermute_b32 v5, v5, v3
	v_add_u32_e32 v2, 63, v2
	v_add_u32_e32 v7, 1, v6
	v_lshrrev_b32_e32 v2, 6, v2
	v_cmp_gt_u32_e64 s[2:3], 14, v6
	s_waitcnt lgkmcnt(0)
	v_cmp_lt_f32_e32 vcc, v3, v5
	v_cndmask_b32_e32 v5, v3, v5, vcc
	v_cmp_lt_u32_e32 vcc, v7, v2
	v_cndmask_b32_e64 v7, 0, 1, s[2:3]
	v_lshlrev_b32_e32 v7, 1, v7
	v_cndmask_b32_e32 v5, v3, v5, vcc
	v_add_lshl_u32 v7, v7, v4, 2
	ds_bpermute_b32 v7, v7, v5
	v_add_u32_e32 v8, 2, v6
	s_waitcnt lgkmcnt(0)
	v_cmp_lt_f32_e64 s[2:3], v5, v7
	v_cndmask_b32_e64 v7, v5, v7, s[2:3]
	v_cmp_lt_u32_e64 s[2:3], v8, v2
	v_cndmask_b32_e64 v5, v5, v7, s[2:3]
	v_cmp_gt_u32_e64 s[2:3], 12, v6
	v_cndmask_b32_e64 v7, 0, 1, s[2:3]
	v_lshlrev_b32_e32 v7, 2, v7
	v_add_lshl_u32 v7, v7, v4, 2
	ds_bpermute_b32 v7, v7, v5
	v_add_u32_e32 v8, 4, v6
	s_waitcnt lgkmcnt(0)
	v_cmp_lt_f32_e64 s[2:3], v5, v7
	v_cndmask_b32_e64 v7, v5, v7, s[2:3]
	v_cmp_lt_u32_e64 s[2:3], v8, v2
	v_cndmask_b32_e64 v5, v5, v7, s[2:3]
	v_cmp_gt_u32_e64 s[2:3], 8, v6
	v_cndmask_b32_e64 v7, 0, 1, s[2:3]
	v_lshlrev_b32_e32 v7, 3, v7
	v_add_lshl_u32 v4, v7, v4, 2
	ds_bpermute_b32 v4, v4, v5
	v_add_u32_e32 v6, 8, v6
	v_cmp_lt_u32_e64 s[2:3], v6, v2
	s_waitcnt lgkmcnt(0)
	v_cmp_lt_f32_e64 s[8:9], v5, v4
	s_and_b64 s[2:3], s[2:3], s[8:9]
	v_cndmask_b32_e64 v2, v5, v4, s[2:3]
	v_cndmask_b32_e32 v3, v3, v2, vcc
.LBB14_23:
	s_or_b64 exec, exec, s[14:15]
	s_and_saveexec_b64 s[2:3], s[12:13]
	s_cbranch_execz .LBB14_27
; %bb.24:
	s_cmp_eq_u64 s[34:35], 0
	s_cbranch_scc1 .LBB14_26
; %bb.25:
	s_load_dword s8, s[34:35], 0x0
	v_max_f32_e32 v2, v3, v3
	s_waitcnt lgkmcnt(0)
	v_max_f32_e64 v3, s8, s8
	v_min_f32_e32 v3, v2, v3
.LBB14_26:
	s_mov_b32 s10, 0x42fe0000
	v_div_scale_f32 v2, s[8:9], s10, s10, v3
	v_rcp_f32_e32 v4, v2
	v_div_scale_f32 v5, vcc, v3, s10, v3
	s_lshl_b64 s[8:9], s[6:7], 2
	v_fma_f32 v6, -v2, v4, 1.0
	v_fmac_f32_e32 v4, v6, v4
	v_mul_f32_e32 v6, v5, v4
	v_fma_f32 v7, -v2, v6, v5
	v_fmac_f32_e32 v6, v7, v4
	v_fma_f32 v2, -v2, v6, v5
	v_div_fmas_f32 v2, v2, v4, v6
	v_div_fixup_f32 v2, v2, s10, v3
	s_add_u32 s8, s26, s8
	v_max_f32_e32 v2, 0x34000000, v2
	v_mov_b32_e32 v3, 0
	s_addc_u32 s9, s27, s9
	ds_write_b32 v3, v2 offset:268
	global_store_dword v3, v2, s[8:9]
.LBB14_27:
	s_or_b64 exec, exec, s[2:3]
	s_waitcnt lgkmcnt(0)
	s_barrier
	s_and_saveexec_b64 s[2:3], s[0:1]
	s_cbranch_execz .LBB14_30
; %bb.28:
	v_mov_b32_e32 v3, 0
	ds_read_b32 v2, v3 offset:268
	s_ashr_i32 s0, s37, 31
	s_mul_i32 s7, s0, s6
	s_load_dword s8, s[4:5], 0x4c
	s_add_i32 s9, s39, s7
	s_waitcnt lgkmcnt(0)
	v_div_scale_f32 v4, s[0:1], v2, v2, 1.0
	v_rcp_f32_e32 v5, v4
	v_div_scale_f32 v6, vcc, 1.0, v2, 1.0
	s_ashr_i32 s0, s38, 31
	v_fma_f32 v7, -v4, v5, 1.0
	v_fmac_f32_e32 v5, v7, v5
	v_mul_f32_e32 v7, v6, v5
	s_mul_i32 s0, s0, s6
	v_fma_f32 v8, -v4, v7, v6
	s_add_i32 s43, s33, s0
	v_fmac_f32_e32 v7, v8, v5
	s_lshl_b64 s[0:1], s[42:43], 1
	v_fma_f32 v4, -v4, v7, v6
	s_add_u32 s7, s28, s0
	v_div_fmas_f32 v4, v4, v5, v7
	s_addc_u32 s10, s29, s1
	v_div_fixup_f32 v4, v4, v2, 1.0
	s_and_b32 s8, s8, 0xffff
	s_mov_b64 s[0:1], 0
	v_mov_b32_e32 v5, s10
	v_mov_b32_e32 v6, s9
	;; [unrolled: 1-line block ×3, first 2 shown]
	s_movk_i32 s9, 0x7fff
	v_mov_b32_e32 v8, 0x7fc0
	v_mov_b32_e32 v9, s31
	;; [unrolled: 1-line block ×3, first 2 shown]
	s_mov_b32 s10, 0x42fe0000
	v_mov_b32_e32 v11, 0x42fe0000
	s_mov_b32 s11, 0xc3000000
	v_mov_b32_e32 v12, 0xc3000000
	v_mov_b32_e32 v13, s25
	;; [unrolled: 1-line block ×3, first 2 shown]
.LBB14_29:                              ; =>This Inner Loop Header: Depth=1
	v_add_co_u32_e32 v16, vcc, s40, v2
	v_lshlrev_b64 v[14:15], 1, v[2:3]
	v_addc_co_u32_e32 v17, vcc, 0, v6, vcc
	v_add_co_u32_e32 v18, vcc, s7, v14
	v_addc_co_u32_e32 v19, vcc, v5, v15, vcc
	v_add_co_u32_e32 v14, vcc, s30, v14
	v_lshlrev_b64 v[20:21], 1, v[16:17]
	v_addc_co_u32_e32 v15, vcc, v9, v15, vcc
	v_add_co_u32_e32 v20, vcc, s22, v20
	v_addc_co_u32_e32 v21, vcc, v7, v21, vcc
	global_load_ushort v22, v[18:19], off
	global_load_ushort v23, v[20:21], off
	;; [unrolled: 1-line block ×3, first 2 shown]
	v_add_co_u32_e32 v14, vcc, s24, v16
	v_add_u32_e32 v2, s8, v2
	v_addc_co_u32_e32 v15, vcc, v13, v17, vcc
	v_cmp_le_u32_e32 vcc, s37, v2
	s_or_b64 s[0:1], vcc, s[0:1]
	s_waitcnt vmcnt(2)
	v_lshlrev_b32_e32 v16, 16, v22
	s_waitcnt vmcnt(1)
	v_lshlrev_b32_e32 v18, 16, v23
	v_add_f32_e32 v16, v18, v16
	v_mul_f32_e32 v19, v1, v16
	v_bfe_u32 v22, v19, 16, 1
	v_add3_u32 v22, v19, v22, s9
	v_and_b32_e32 v22, 0xffff0000, v22
	v_cmp_o_f32_e32 vcc, v19, v19
	s_waitcnt vmcnt(0)
	v_lshlrev_b32_e32 v17, 16, v24
	v_cndmask_b32_e32 v19, v10, v22, vcc
	v_mul_f32_e32 v17, v19, v17
	v_bfe_u32 v19, v17, 16, 1
	v_add3_u32 v19, v17, v19, s9
	v_and_b32_e32 v19, 0xffff0000, v19
	v_cmp_o_f32_e32 vcc, v17, v17
	v_cndmask_b32_e32 v17, v10, v19, vcc
	v_mul_f32_e32 v17, v4, v17
	v_rndne_f32_e32 v17, v17
	v_cmp_nlt_f32_e32 vcc, s10, v17
	v_cndmask_b32_e32 v19, v11, v17, vcc
	v_cmp_ngt_f32_e32 vcc, s11, v17
	v_bfe_u32 v18, v16, 16, 1
	v_cndmask_b32_e32 v17, v12, v19, vcc
	v_add3_u32 v18, v16, v18, s9
	v_cvt_i32_f32_e32 v17, v17
	v_lshrrev_b32_e32 v18, 16, v18
	v_cmp_o_f32_e32 vcc, v16, v16
	v_cndmask_b32_e32 v16, v8, v18, vcc
	global_store_short v[20:21], v16, off
	global_store_byte v[14:15], v17, off
	s_andn2_b64 exec, exec, s[0:1]
	s_cbranch_execnz .LBB14_29
.LBB14_30:
	s_or_b64 exec, exec, s[2:3]
	s_branch .LBB14_75
.LBB14_31:
	s_cbranch_execz .LBB14_75
; %bb.32:
	s_ashr_i32 s0, s38, 31
	s_mul_hi_u32 s1, s38, s6
	s_mul_i32 s0, s0, s6
	s_ashr_i32 s2, s37, 31
	s_add_i32 s1, s1, s0
	s_mul_i32 s0, s38, s6
	s_mul_hi_u32 s3, s37, s6
	s_mul_i32 s2, s2, s6
	s_add_i32 s39, s3, s2
	s_lshl_b64 s[0:1], s[0:1], 1
	s_mul_i32 s38, s37, s6
	s_add_u32 s33, s28, s0
	s_addc_u32 s48, s29, s1
	s_lshl_b64 s[0:1], s[38:39], 1
	s_load_dword s18, s[4:5], 0x40
	s_add_u32 s49, s22, s0
	s_addc_u32 s50, s23, s1
	s_ashr_i32 s51, s37, 2
	s_add_u32 s19, s4, 64
	s_mov_b32 s7, 0
	v_cmp_gt_u32_e64 s[0:1], s51, v0
	s_addc_u32 s20, s5, 0
	v_mov_b32_e32 v10, 0
	s_and_saveexec_b64 s[2:3], s[0:1]
	s_cbranch_execz .LBB14_42
; %bb.33:
	s_waitcnt lgkmcnt(0)
	s_cmp_lt_u32 s6, s18
	s_cselect_b32 s4, 12, 18
	s_add_u32 s4, s19, s4
	s_addc_u32 s5, s20, 0
	v_mov_b32_e32 v3, 0
	global_load_ushort v1, v3, s[4:5]
	s_mov_b64 s[4:5], 0
	v_mov_b32_e32 v8, s48
	v_mov_b32_e32 v9, s50
	;; [unrolled: 1-line block ×4, first 2 shown]
                                        ; implicit-def: $sgpr8_sgpr9
	s_waitcnt vmcnt(0)
	v_add_u32_e32 v4, v1, v1
	v_mul_lo_u32 v11, v1, 3
	v_lshlrev_b32_e32 v12, 1, v1
	v_add_u32_e32 v13, v4, v1
	s_branch .LBB14_37
.LBB14_34:                              ;   in Loop: Header=BB14_37 Depth=1
	s_or_b64 exec, exec, s[14:15]
	s_orn2_b64 s[14:15], s[16:17], exec
.LBB14_35:                              ;   in Loop: Header=BB14_37 Depth=1
	s_or_b64 exec, exec, s[12:13]
	s_andn2_b64 s[8:9], s[8:9], exec
	s_and_b64 s[12:13], s[14:15], exec
	s_or_b64 s[8:9], s[8:9], s[12:13]
.LBB14_36:                              ;   in Loop: Header=BB14_37 Depth=1
	s_or_b64 exec, exec, s[10:11]
	s_and_b64 s[10:11], exec, s[8:9]
	s_or_b64 s[4:5], s[10:11], s[4:5]
	s_andn2_b64 exec, exec, s[4:5]
	s_cbranch_execz .LBB14_41
.LBB14_37:                              ; =>This Inner Loop Header: Depth=1
	v_lshlrev_b64 v[4:5], 3, v[2:3]
	v_add_co_u32_e32 v6, vcc, s33, v4
	v_addc_co_u32_e32 v7, vcc, v8, v5, vcc
	v_add_co_u32_e32 v4, vcc, s49, v4
	v_addc_co_u32_e32 v5, vcc, v9, v5, vcc
	global_load_dwordx2 v[6:7], v[6:7], off
	s_or_b64 s[8:9], s[8:9], exec
	global_load_dwordx2 v[14:15], v[4:5], off
	v_add_u32_e32 v4, v2, v1
	v_cmp_gt_u32_e32 vcc, s51, v4
	s_waitcnt vmcnt(1)
	v_lshlrev_b32_e32 v16, 16, v6
	v_and_b32_e32 v5, 0xffff0000, v6
	s_waitcnt vmcnt(0)
	v_lshlrev_b32_e32 v18, 16, v14
	v_alignbit_b32 v6, v7, v6, 16
	v_and_b32_e32 v17, 0xffff0000, v14
	v_alignbit_b32 v14, v15, v14, 16
	v_add_f32_e32 v16, v16, v18
	v_and_b32_e32 v6, 0xffff0000, v6
	v_add_f32_e32 v5, v5, v17
	v_and_b32_e32 v14, 0xffff0000, v14
	v_fmac_f32_e32 v10, v16, v16
	v_and_b32_e32 v7, 0xffff0000, v7
	v_and_b32_e32 v15, 0xffff0000, v15
	v_add_f32_e32 v6, v6, v14
	v_fmac_f32_e32 v10, v5, v5
	v_add_f32_e32 v7, v7, v15
	v_fmac_f32_e32 v10, v6, v6
	v_fmac_f32_e32 v10, v7, v7
	s_and_saveexec_b64 s[10:11], vcc
	s_cbranch_execz .LBB14_36
; %bb.38:                               ;   in Loop: Header=BB14_37 Depth=1
	v_mov_b32_e32 v5, v3
	v_lshlrev_b64 v[6:7], 3, v[4:5]
	v_add_co_u32_e32 v14, vcc, s33, v6
	v_addc_co_u32_e32 v15, vcc, v8, v7, vcc
	v_add_co_u32_e32 v6, vcc, s49, v6
	v_addc_co_u32_e32 v7, vcc, v9, v7, vcc
	global_load_dwordx2 v[14:15], v[14:15], off
	s_mov_b64 s[14:15], -1
	global_load_dwordx2 v[16:17], v[6:7], off
	v_add_u32_e32 v6, v12, v2
	v_cmp_gt_u32_e32 vcc, s51, v6
	s_waitcnt vmcnt(1)
	v_lshlrev_b32_e32 v7, 16, v14
	v_and_b32_e32 v5, 0xffff0000, v14
	s_waitcnt vmcnt(0)
	v_lshlrev_b32_e32 v19, 16, v16
	v_alignbit_b32 v14, v15, v14, 16
	v_and_b32_e32 v18, 0xffff0000, v16
	v_alignbit_b32 v16, v17, v16, 16
	v_add_f32_e32 v7, v7, v19
	v_and_b32_e32 v14, 0xffff0000, v14
	v_add_f32_e32 v5, v5, v18
	v_and_b32_e32 v16, 0xffff0000, v16
	v_fmac_f32_e32 v10, v7, v7
	v_and_b32_e32 v15, 0xffff0000, v15
	v_and_b32_e32 v17, 0xffff0000, v17
	v_add_f32_e32 v14, v14, v16
	v_fmac_f32_e32 v10, v5, v5
	v_add_f32_e32 v15, v15, v17
	v_fmac_f32_e32 v10, v14, v14
	v_fmac_f32_e32 v10, v15, v15
	s_and_saveexec_b64 s[12:13], vcc
	s_cbranch_execz .LBB14_35
; %bb.39:                               ;   in Loop: Header=BB14_37 Depth=1
	v_mov_b32_e32 v7, v3
	v_lshlrev_b64 v[6:7], 3, v[6:7]
	v_add_co_u32_e32 v14, vcc, s33, v6
	v_addc_co_u32_e32 v15, vcc, v8, v7, vcc
	v_add_co_u32_e32 v6, vcc, s49, v6
	v_addc_co_u32_e32 v7, vcc, v9, v7, vcc
	global_load_dwordx2 v[14:15], v[14:15], off
	v_add_u32_e32 v2, v11, v2
	global_load_dwordx2 v[6:7], v[6:7], off
	v_cmp_gt_u32_e32 vcc, s51, v2
	s_mov_b64 s[16:17], -1
	s_waitcnt vmcnt(1)
	v_lshlrev_b32_e32 v16, 16, v14
	v_and_b32_e32 v5, 0xffff0000, v14
	s_waitcnt vmcnt(0)
	v_lshlrev_b32_e32 v18, 16, v6
	v_alignbit_b32 v14, v15, v14, 16
	v_and_b32_e32 v17, 0xffff0000, v6
	v_alignbit_b32 v6, v7, v6, 16
	v_add_f32_e32 v16, v16, v18
	v_and_b32_e32 v14, 0xffff0000, v14
	v_add_f32_e32 v5, v5, v17
	v_and_b32_e32 v6, 0xffff0000, v6
	v_fmac_f32_e32 v10, v16, v16
	v_and_b32_e32 v15, 0xffff0000, v15
	v_and_b32_e32 v7, 0xffff0000, v7
	v_add_f32_e32 v6, v14, v6
	v_fmac_f32_e32 v10, v5, v5
	v_add_f32_e32 v7, v15, v7
	v_fmac_f32_e32 v10, v6, v6
	v_fmac_f32_e32 v10, v7, v7
	s_and_saveexec_b64 s[14:15], vcc
	s_xor_b64 s[14:15], exec, s[14:15]
	s_cbranch_execz .LBB14_34
; %bb.40:                               ;   in Loop: Header=BB14_37 Depth=1
	v_lshlrev_b64 v[6:7], 3, v[2:3]
	v_mov_b32_e32 v2, s48
	v_add_co_u32_e32 v14, vcc, s33, v6
	v_addc_co_u32_e32 v15, vcc, v2, v7, vcc
	v_mov_b32_e32 v2, s50
	v_add_co_u32_e32 v6, vcc, s49, v6
	v_addc_co_u32_e32 v7, vcc, v2, v7, vcc
	global_load_dwordx2 v[14:15], v[14:15], off
	v_add_u32_e32 v2, v13, v4
	global_load_dwordx2 v[6:7], v[6:7], off
	v_cmp_le_u32_e32 vcc, s51, v2
	s_orn2_b64 s[16:17], vcc, exec
	s_waitcnt vmcnt(1)
	v_lshlrev_b32_e32 v5, 16, v14
	v_and_b32_e32 v4, 0xffff0000, v14
	s_waitcnt vmcnt(0)
	v_lshlrev_b32_e32 v17, 16, v6
	v_alignbit_b32 v14, v15, v14, 16
	v_and_b32_e32 v16, 0xffff0000, v6
	v_alignbit_b32 v6, v7, v6, 16
	v_add_f32_e32 v5, v5, v17
	v_and_b32_e32 v14, 0xffff0000, v14
	v_add_f32_e32 v4, v4, v16
	v_and_b32_e32 v6, 0xffff0000, v6
	v_fmac_f32_e32 v10, v5, v5
	v_and_b32_e32 v15, 0xffff0000, v15
	v_and_b32_e32 v7, 0xffff0000, v7
	v_add_f32_e32 v6, v14, v6
	v_fmac_f32_e32 v10, v4, v4
	v_add_f32_e32 v7, v15, v7
	v_fmac_f32_e32 v10, v6, v6
	v_fmac_f32_e32 v10, v7, v7
	s_branch .LBB14_34
.LBB14_41:
	s_or_b64 exec, exec, s[4:5]
.LBB14_42:
	s_or_b64 exec, exec, s[2:3]
	s_waitcnt lgkmcnt(0)
	s_cmp_lt_u32 s6, s18
	s_cselect_b32 s2, 12, 18
	s_add_u32 s2, s19, s2
	s_addc_u32 s3, s20, 0
	v_mov_b32_e32 v1, 0
	global_load_ushort v2, v1, s[2:3]
	v_mbcnt_lo_u32_b32 v1, -1, 0
	v_mbcnt_hi_u32_b32 v1, -1, v1
	v_and_b32_e32 v4, 63, v1
	v_cmp_ne_u32_e32 vcc, 63, v4
	v_addc_co_u32_e32 v8, vcc, 0, v1, vcc
	v_lshlrev_b32_e32 v8, 2, v8
	ds_bpermute_b32 v11, v8, v10
	v_and_b32_e32 v3, 0x3c0, v0
	v_cmp_gt_u32_e32 vcc, 62, v4
	v_add_u32_e32 v5, 1, v1
	v_cndmask_b32_e64 v9, 0, 1, vcc
	v_lshlrev_b32_e32 v9, 1, v9
	s_waitcnt lgkmcnt(0)
	v_add_f32_e32 v11, v10, v11
	v_add_lshl_u32 v9, v9, v1, 2
	v_cmp_gt_u32_e32 vcc, 60, v4
	v_add_u32_e32 v6, 2, v1
	v_add_u32_e32 v7, 4, v1
	;; [unrolled: 1-line block ×4, first 2 shown]
	v_cmp_eq_u32_e64 s[14:15], 0, v1
	s_waitcnt vmcnt(0)
	v_sub_u32_e64 v3, v2, v3 clamp
	v_cmp_lt_u32_e64 s[2:3], v5, v3
	v_cndmask_b32_e64 v5, v10, v11, s[2:3]
	ds_bpermute_b32 v10, v9, v5
	v_cndmask_b32_e64 v11, 0, 1, vcc
	v_lshlrev_b32_e32 v11, 2, v11
	v_cmp_lt_u32_e64 s[4:5], v6, v3
	v_add_lshl_u32 v11, v11, v1, 2
	s_waitcnt lgkmcnt(0)
	v_add_f32_e32 v10, v5, v10
	v_cndmask_b32_e64 v5, v5, v10, s[4:5]
	ds_bpermute_b32 v6, v11, v5
	v_cmp_gt_u32_e32 vcc, 56, v4
	v_cndmask_b32_e64 v10, 0, 1, vcc
	v_lshlrev_b32_e32 v10, 3, v10
	v_cmp_lt_u32_e64 s[8:9], v7, v3
	s_waitcnt lgkmcnt(0)
	v_add_f32_e32 v6, v5, v6
	v_add_lshl_u32 v12, v10, v1, 2
	v_cndmask_b32_e64 v5, v5, v6, s[8:9]
	ds_bpermute_b32 v6, v12, v5
	v_cmp_gt_u32_e32 vcc, 48, v4
	v_cndmask_b32_e64 v7, 0, 1, vcc
	v_lshlrev_b32_e32 v7, 4, v7
	v_cmp_lt_u32_e64 s[10:11], v14, v3
	s_waitcnt lgkmcnt(0)
	v_add_f32_e32 v6, v5, v6
	v_add_lshl_u32 v13, v7, v1, 2
	v_cndmask_b32_e64 v5, v5, v6, s[10:11]
	ds_bpermute_b32 v6, v13, v5
	v_cmp_gt_u32_e32 vcc, 32, v4
	v_cndmask_b32_e64 v4, 0, 1, vcc
	v_lshlrev_b32_e32 v4, 5, v4
	v_add_lshl_u32 v14, v4, v1, 2
	s_waitcnt lgkmcnt(0)
	v_add_f32_e32 v4, v5, v6
	v_cmp_lt_u32_e64 s[12:13], v15, v3
	v_cndmask_b32_e64 v4, v5, v4, s[12:13]
	ds_bpermute_b32 v5, v14, v4
	v_add_u32_e32 v6, 32, v1
	v_readfirstlane_b32 s52, v2
	v_cmp_lt_u32_e64 s[20:21], v6, v3
	s_waitcnt lgkmcnt(0)
	v_add_f32_e32 v2, v4, v5
	v_cndmask_b32_e64 v2, v4, v2, s[20:21]
	s_and_saveexec_b64 s[16:17], s[14:15]
	s_cbranch_execz .LBB14_44
; %bb.43:
	v_lshrrev_b32_e32 v3, 4, v0
	v_and_b32_e32 v3, 60, v3
	ds_write_b32 v3, v2
.LBB14_44:
	s_or_b64 exec, exec, s[16:17]
	v_cmp_gt_u32_e64 s[16:17], 16, v0
	s_waitcnt lgkmcnt(0)
	s_barrier
	s_and_saveexec_b64 s[22:23], s[16:17]
	s_cbranch_execz .LBB14_46
; %bb.45:
	v_lshlrev_b32_e32 v2, 2, v1
	ds_read_b32 v2, v2
	v_and_b32_e32 v3, 15, v1
	v_cmp_ne_u32_e32 vcc, 15, v3
	v_addc_co_u32_e32 v4, vcc, 0, v1, vcc
	v_lshlrev_b32_e32 v4, 2, v4
	s_waitcnt lgkmcnt(0)
	ds_bpermute_b32 v4, v4, v2
	s_add_i32 s18, s52, 63
	s_lshr_b32 s28, s18, 6
	v_add_u32_e32 v5, 1, v3
	v_cmp_gt_u32_e64 s[18:19], 14, v3
	v_cmp_gt_u32_e32 vcc, s28, v5
	v_cndmask_b32_e64 v5, 0, 1, s[18:19]
	s_waitcnt lgkmcnt(0)
	v_add_f32_e32 v4, v2, v4
	v_lshlrev_b32_e32 v5, 1, v5
	v_cndmask_b32_e32 v4, v2, v4, vcc
	v_add_lshl_u32 v5, v5, v1, 2
	ds_bpermute_b32 v5, v5, v4
	v_add_u32_e32 v6, 2, v3
	v_cmp_gt_u32_e64 s[18:19], s28, v6
	v_add_u32_e32 v6, 4, v3
	s_waitcnt lgkmcnt(0)
	v_add_f32_e32 v5, v4, v5
	v_cndmask_b32_e64 v4, v4, v5, s[18:19]
	v_cmp_gt_u32_e64 s[18:19], 12, v3
	v_cndmask_b32_e64 v5, 0, 1, s[18:19]
	v_lshlrev_b32_e32 v5, 2, v5
	v_add_lshl_u32 v5, v5, v1, 2
	ds_bpermute_b32 v5, v5, v4
	v_cmp_gt_u32_e64 s[18:19], s28, v6
	s_waitcnt lgkmcnt(0)
	v_add_f32_e32 v5, v4, v5
	v_cndmask_b32_e64 v4, v4, v5, s[18:19]
	v_cmp_gt_u32_e64 s[18:19], 8, v3
	v_cndmask_b32_e64 v5, 0, 1, s[18:19]
	v_lshlrev_b32_e32 v5, 3, v5
	v_add_lshl_u32 v5, v5, v1, 2
	ds_bpermute_b32 v5, v5, v4
	v_add_u32_e32 v3, 8, v3
	v_cmp_gt_u32_e64 s[18:19], s28, v3
	s_waitcnt lgkmcnt(0)
	v_add_f32_e32 v5, v4, v5
	v_cndmask_b32_e64 v3, v4, v5, s[18:19]
	v_cndmask_b32_e32 v2, v2, v3, vcc
.LBB14_46:
	s_or_b64 exec, exec, s[22:23]
	v_cmp_eq_u32_e64 s[18:19], 0, v0
	s_and_saveexec_b64 s[22:23], s[18:19]
	s_cbranch_execz .LBB14_48
; %bb.47:
	v_cvt_f32_i32_e32 v3, s37
	v_div_scale_f32 v4, s[28:29], v3, v3, v2
	v_rcp_f32_e32 v5, v4
	v_div_scale_f32 v6, vcc, v2, v3, v2
	s_mov_b32 s28, 0x800000
	v_fma_f32 v7, -v4, v5, 1.0
	v_fmac_f32_e32 v5, v7, v5
	v_mul_f32_e32 v7, v6, v5
	v_fma_f32 v10, -v4, v7, v6
	v_fmac_f32_e32 v7, v10, v5
	v_fma_f32 v4, -v4, v7, v6
	v_div_fmas_f32 v4, v4, v5, v7
	v_div_fixup_f32 v2, v4, v3, v2
	v_add_f32_e32 v2, s36, v2
	v_mul_f32_e32 v3, 0x4b800000, v2
	v_cmp_gt_f32_e32 vcc, s28, v2
	v_cndmask_b32_e32 v2, v2, v3, vcc
	v_rsq_f32_e32 v2, v2
	v_mul_f32_e32 v3, 0x45800000, v2
	v_cndmask_b32_e32 v2, v2, v3, vcc
	v_mov_b32_e32 v3, 0
	ds_write_b32 v3, v2 offset:256
.LBB14_48:
	s_or_b64 exec, exec, s[22:23]
	v_mov_b32_e32 v15, 0
	s_waitcnt lgkmcnt(0)
	s_barrier
	ds_read_b32 v10, v15 offset:256
	s_and_saveexec_b64 s[28:29], s[0:1]
	s_cbranch_execz .LBB14_58
; %bb.49:
	v_mov_b32_e32 v3, 0
	s_add_i32 s56, s52, s52
	s_mul_i32 s53, s52, 3
	s_lshl_b32 s54, s52, 1
	s_mov_b64 s[36:37], 0
	v_mov_b32_e32 v16, s48
	v_mov_b32_e32 v17, s31
	;; [unrolled: 1-line block ×3, first 2 shown]
	s_movk_i32 s55, 0x7fff
	v_mov_b32_e32 v19, 0x7fc00000
	s_add_i32 s56, s56, s52
	v_mov_b32_e32 v2, v0
	v_mov_b32_e32 v15, v3
                                        ; implicit-def: $sgpr40_sgpr41
	s_branch .LBB14_53
.LBB14_50:                              ;   in Loop: Header=BB14_53 Depth=1
	s_or_b64 exec, exec, s[46:47]
	s_orn2_b64 s[22:23], s[22:23], exec
.LBB14_51:                              ;   in Loop: Header=BB14_53 Depth=1
	s_or_b64 exec, exec, s[44:45]
	s_andn2_b64 s[40:41], s[40:41], exec
	s_and_b64 s[22:23], s[22:23], exec
	s_or_b64 s[40:41], s[40:41], s[22:23]
.LBB14_52:                              ;   in Loop: Header=BB14_53 Depth=1
	s_or_b64 exec, exec, s[42:43]
	s_and_b64 s[22:23], exec, s[40:41]
	s_or_b64 s[36:37], s[22:23], s[36:37]
	s_andn2_b64 exec, exec, s[36:37]
	s_cbranch_execz .LBB14_57
.LBB14_53:                              ; =>This Inner Loop Header: Depth=1
	v_lshlrev_b64 v[4:5], 3, v[2:3]
	v_add_co_u32_e32 v6, vcc, s33, v4
	v_addc_co_u32_e32 v7, vcc, v16, v5, vcc
	v_add_co_u32_e32 v20, vcc, s30, v4
	v_addc_co_u32_e32 v21, vcc, v17, v5, vcc
	;; [unrolled: 2-line block ×3, first 2 shown]
	global_load_dwordx2 v[6:7], v[6:7], off
	s_or_b64 s[40:41], s[40:41], exec
	global_load_dwordx2 v[22:23], v[4:5], off
	v_add_u32_e32 v4, s52, v2
	global_load_dwordx2 v[20:21], v[20:21], off
	v_cmp_gt_u32_e32 vcc, s51, v4
	s_waitcnt vmcnt(2)
	v_and_b32_e32 v5, 0xffff0000, v6
	v_lshlrev_b32_e32 v25, 16, v6
	v_alignbit_b32 v6, v7, v6, 16
	s_waitcnt vmcnt(1)
	v_and_b32_e32 v26, 0xffff0000, v22
	v_lshlrev_b32_e32 v27, 16, v22
	v_alignbit_b32 v22, v23, v22, 16
	v_and_b32_e32 v6, 0xffff0000, v6
	v_add_f32_e32 v25, v25, v27
	v_and_b32_e32 v22, 0xffff0000, v22
	v_and_b32_e32 v7, 0xffff0000, v7
	;; [unrolled: 1-line block ×3, first 2 shown]
	v_add_f32_e32 v5, v5, v26
	v_add_f32_e32 v6, v6, v22
	s_waitcnt lgkmcnt(0)
	v_mul_f32_e32 v22, v10, v25
	v_add_f32_e32 v7, v7, v23
	v_mul_f32_e32 v5, v10, v5
	v_bfe_u32 v23, v22, 16, 1
	v_mul_f32_e32 v7, v10, v7
	v_bfe_u32 v25, v5, 16, 1
	v_add3_u32 v23, v22, v23, s55
	v_bfe_u32 v26, v7, 16, 1
	v_add3_u32 v25, v5, v25, s55
	v_and_b32_e32 v23, 0xffff0000, v23
	v_cmp_o_f32_e64 s[22:23], v22, v22
	v_mul_f32_e32 v6, v10, v6
	v_add3_u32 v26, v7, v26, s55
	v_and_b32_e32 v25, 0xffff0000, v25
	v_cndmask_b32_e64 v22, v19, v23, s[22:23]
	v_cmp_o_f32_e64 s[22:23], v5, v5
	s_waitcnt vmcnt(0)
	v_lshlrev_b32_e32 v28, 16, v20
	v_bfe_u32 v27, v6, 16, 1
	v_and_b32_e32 v26, 0xffff0000, v26
	v_cndmask_b32_e64 v5, v19, v25, s[22:23]
	v_cmp_o_f32_e64 s[22:23], v7, v7
	v_and_b32_e32 v24, 0xffff0000, v20
	v_alignbit_b32 v20, v21, v20, 16
	v_and_b32_e32 v21, 0xffff0000, v21
	v_add3_u32 v27, v6, v27, s55
	v_cndmask_b32_e64 v7, v19, v26, s[22:23]
	v_mul_f32_e32 v22, v22, v28
	v_and_b32_e32 v23, 0xffff0000, v27
	v_mul_f32_e32 v5, v5, v24
	v_cmp_o_f32_e64 s[22:23], v6, v6
	v_mul_f32_e32 v7, v7, v21
	v_bfe_u32 v21, v22, 16, 1
	v_and_b32_e32 v20, 0xffff0000, v20
	v_cndmask_b32_e64 v6, v19, v23, s[22:23]
	v_bfe_u32 v23, v5, 16, 1
	v_add3_u32 v21, v22, v21, s55
	v_mul_f32_e32 v6, v6, v20
	v_bfe_u32 v20, v7, 16, 1
	v_add3_u32 v23, v5, v23, s55
	v_and_b32_e32 v21, 0xffff0000, v21
	v_cmp_o_f32_e64 s[22:23], v22, v22
	v_bfe_u32 v24, v6, 16, 1
	v_add3_u32 v20, v7, v20, s55
	v_and_b32_e32 v23, 0xffff0000, v23
	v_cndmask_b32_e64 v21, v19, |v21|, s[22:23]
	v_cmp_o_f32_e64 s[22:23], v5, v5
	v_add3_u32 v24, v6, v24, s55
	v_and_b32_e32 v20, 0xffff0000, v20
	v_cndmask_b32_e64 v5, v19, |v23|, s[22:23]
	v_cmp_o_f32_e64 s[22:23], v7, v7
	v_and_b32_e32 v22, 0xffff0000, v24
	v_cndmask_b32_e64 v7, v19, |v20|, s[22:23]
	v_cmp_o_f32_e64 s[22:23], v6, v6
	v_max3_f32 v5, v15, v21, v5
	v_cndmask_b32_e64 v6, v19, |v22|, s[22:23]
	v_max3_f32 v15, v5, v6, v7
	s_and_saveexec_b64 s[42:43], vcc
	s_cbranch_execz .LBB14_52
; %bb.54:                               ;   in Loop: Header=BB14_53 Depth=1
	v_mov_b32_e32 v5, v3
	v_lshlrev_b64 v[6:7], 3, v[4:5]
	v_add_co_u32_e32 v20, vcc, s33, v6
	v_addc_co_u32_e32 v21, vcc, v16, v7, vcc
	v_add_co_u32_e32 v22, vcc, s30, v6
	v_addc_co_u32_e32 v23, vcc, v17, v7, vcc
	;; [unrolled: 2-line block ×3, first 2 shown]
	global_load_dwordx2 v[20:21], v[20:21], off
	s_waitcnt vmcnt(0)
	v_and_b32_e32 v5, 0xffff0000, v20
	global_load_dwordx2 v[24:25], v[6:7], off
	v_lshlrev_b32_e32 v26, 16, v20
	global_load_dwordx2 v[22:23], v[22:23], off
	v_alignbit_b32 v20, v21, v20, 16
	v_and_b32_e32 v20, 0xffff0000, v20
	v_and_b32_e32 v21, 0xffff0000, v21
	v_add_u32_e32 v6, s54, v2
	v_cmp_gt_u32_e32 vcc, s51, v6
	s_waitcnt vmcnt(1)
	v_and_b32_e32 v27, 0xffff0000, v24
	v_lshlrev_b32_e32 v28, 16, v24
	v_alignbit_b32 v24, v25, v24, 16
	v_add_f32_e32 v26, v26, v28
	v_and_b32_e32 v24, 0xffff0000, v24
	v_and_b32_e32 v25, 0xffff0000, v25
	v_add_f32_e32 v5, v5, v27
	v_add_f32_e32 v20, v20, v24
	v_mul_f32_e32 v24, v10, v26
	v_add_f32_e32 v21, v21, v25
	v_mul_f32_e32 v5, v10, v5
	v_bfe_u32 v25, v24, 16, 1
	v_mul_f32_e32 v21, v10, v21
	v_bfe_u32 v26, v5, 16, 1
	v_add3_u32 v25, v24, v25, s55
	v_bfe_u32 v27, v21, 16, 1
	v_add3_u32 v26, v5, v26, s55
	v_and_b32_e32 v25, 0xffff0000, v25
	v_cmp_o_f32_e64 s[22:23], v24, v24
	v_mul_f32_e32 v20, v10, v20
	v_add3_u32 v27, v21, v27, s55
	v_and_b32_e32 v26, 0xffff0000, v26
	v_cndmask_b32_e64 v24, v19, v25, s[22:23]
	v_cmp_o_f32_e64 s[22:23], v5, v5
	s_waitcnt vmcnt(0)
	v_lshlrev_b32_e32 v29, 16, v22
	v_bfe_u32 v28, v20, 16, 1
	v_and_b32_e32 v27, 0xffff0000, v27
	v_cndmask_b32_e64 v5, v19, v26, s[22:23]
	v_cmp_o_f32_e64 s[22:23], v21, v21
	v_and_b32_e32 v7, 0xffff0000, v22
	v_alignbit_b32 v22, v23, v22, 16
	v_and_b32_e32 v23, 0xffff0000, v23
	v_add3_u32 v28, v20, v28, s55
	v_cndmask_b32_e64 v21, v19, v27, s[22:23]
	v_mul_f32_e32 v24, v24, v29
	v_and_b32_e32 v25, 0xffff0000, v28
	v_mul_f32_e32 v5, v5, v7
	v_cmp_o_f32_e64 s[22:23], v20, v20
	v_mul_f32_e32 v20, v21, v23
	v_bfe_u32 v21, v24, 16, 1
	v_and_b32_e32 v22, 0xffff0000, v22
	v_cndmask_b32_e64 v7, v19, v25, s[22:23]
	v_bfe_u32 v23, v5, 16, 1
	v_add3_u32 v21, v24, v21, s55
	v_mul_f32_e32 v7, v7, v22
	v_bfe_u32 v22, v20, 16, 1
	v_add3_u32 v23, v5, v23, s55
	v_and_b32_e32 v21, 0xffff0000, v21
	v_cmp_o_f32_e64 s[22:23], v24, v24
	v_bfe_u32 v25, v7, 16, 1
	v_add3_u32 v22, v20, v22, s55
	v_and_b32_e32 v23, 0xffff0000, v23
	v_cndmask_b32_e64 v21, v19, |v21|, s[22:23]
	v_cmp_o_f32_e64 s[22:23], v5, v5
	v_add3_u32 v25, v7, v25, s55
	v_and_b32_e32 v22, 0xffff0000, v22
	v_cndmask_b32_e64 v5, v19, |v23|, s[22:23]
	v_cmp_o_f32_e64 s[22:23], v20, v20
	v_and_b32_e32 v23, 0xffff0000, v25
	v_cndmask_b32_e64 v20, v19, |v22|, s[22:23]
	v_cmp_o_f32_e64 s[22:23], v7, v7
	v_max3_f32 v5, v15, v21, v5
	v_cndmask_b32_e64 v7, v19, |v23|, s[22:23]
	v_max3_f32 v15, v5, v7, v20
	s_mov_b64 s[22:23], -1
	s_and_saveexec_b64 s[44:45], vcc
	s_cbranch_execz .LBB14_51
; %bb.55:                               ;   in Loop: Header=BB14_53 Depth=1
	v_mov_b32_e32 v7, v3
	v_lshlrev_b64 v[6:7], 3, v[6:7]
	v_add_co_u32_e32 v20, vcc, s33, v6
	v_addc_co_u32_e32 v21, vcc, v16, v7, vcc
	v_add_co_u32_e32 v22, vcc, s30, v6
	v_addc_co_u32_e32 v23, vcc, v17, v7, vcc
	;; [unrolled: 2-line block ×3, first 2 shown]
	global_load_dwordx2 v[20:21], v[20:21], off
	v_add_u32_e32 v2, s53, v2
	global_load_dwordx2 v[6:7], v[6:7], off
	v_cmp_gt_u32_e32 vcc, s51, v2
	global_load_dwordx2 v[22:23], v[22:23], off
	s_waitcnt vmcnt(2)
	v_and_b32_e32 v5, 0xffff0000, v20
	v_lshlrev_b32_e32 v25, 16, v20
	v_alignbit_b32 v20, v21, v20, 16
	s_waitcnt vmcnt(1)
	v_and_b32_e32 v26, 0xffff0000, v6
	v_lshlrev_b32_e32 v27, 16, v6
	v_alignbit_b32 v6, v7, v6, 16
	v_and_b32_e32 v20, 0xffff0000, v20
	v_add_f32_e32 v25, v25, v27
	v_and_b32_e32 v6, 0xffff0000, v6
	s_waitcnt vmcnt(0)
	v_and_b32_e32 v24, 0xffff0000, v22
	v_and_b32_e32 v21, 0xffff0000, v21
	v_and_b32_e32 v7, 0xffff0000, v7
	v_lshlrev_b32_e32 v28, 16, v22
	v_alignbit_b32 v22, v23, v22, 16
	v_add_f32_e32 v5, v5, v26
	v_add_f32_e32 v6, v20, v6
	v_mul_f32_e32 v20, v10, v25
	v_add_f32_e32 v7, v21, v7
	v_and_b32_e32 v21, 0xffff0000, v22
	v_mul_f32_e32 v5, v10, v5
	v_bfe_u32 v22, v20, 16, 1
	v_mul_f32_e32 v7, v10, v7
	v_bfe_u32 v25, v5, 16, 1
	v_add3_u32 v22, v20, v22, s55
	v_mul_f32_e32 v6, v10, v6
	v_bfe_u32 v26, v7, 16, 1
	v_add3_u32 v25, v5, v25, s55
	v_and_b32_e32 v22, 0xffff0000, v22
	v_cmp_o_f32_e64 s[22:23], v20, v20
	v_bfe_u32 v27, v6, 16, 1
	v_add3_u32 v26, v7, v26, s55
	v_and_b32_e32 v25, 0xffff0000, v25
	v_cndmask_b32_e64 v20, v19, v22, s[22:23]
	v_cmp_o_f32_e64 s[22:23], v5, v5
	v_add3_u32 v27, v6, v27, s55
	v_and_b32_e32 v26, 0xffff0000, v26
	v_cndmask_b32_e64 v5, v19, v25, s[22:23]
	v_cmp_o_f32_e64 s[22:23], v7, v7
	v_and_b32_e32 v22, 0xffff0000, v27
	v_cndmask_b32_e64 v7, v19, v26, s[22:23]
	v_mul_f32_e32 v20, v20, v28
	v_cmp_o_f32_e64 s[22:23], v6, v6
	v_and_b32_e32 v23, 0xffff0000, v23
	v_mul_f32_e32 v5, v5, v24
	v_cndmask_b32_e64 v6, v19, v22, s[22:23]
	v_bfe_u32 v22, v20, 16, 1
	v_mul_f32_e32 v7, v7, v23
	v_bfe_u32 v23, v5, 16, 1
	v_add3_u32 v22, v20, v22, s55
	v_mul_f32_e32 v6, v6, v21
	v_bfe_u32 v21, v7, 16, 1
	v_add3_u32 v23, v5, v23, s55
	v_and_b32_e32 v22, 0xffff0000, v22
	v_cmp_o_f32_e64 s[22:23], v20, v20
	v_bfe_u32 v24, v6, 16, 1
	v_add3_u32 v21, v7, v21, s55
	v_and_b32_e32 v23, 0xffff0000, v23
	v_cndmask_b32_e64 v20, v19, |v22|, s[22:23]
	v_cmp_o_f32_e64 s[22:23], v5, v5
	v_add3_u32 v24, v6, v24, s55
	v_and_b32_e32 v21, 0xffff0000, v21
	v_cndmask_b32_e64 v5, v19, |v23|, s[22:23]
	v_cmp_o_f32_e64 s[22:23], v7, v7
	v_and_b32_e32 v22, 0xffff0000, v24
	v_cndmask_b32_e64 v7, v19, |v21|, s[22:23]
	v_cmp_o_f32_e64 s[22:23], v6, v6
	v_max3_f32 v5, v15, v20, v5
	v_cndmask_b32_e64 v6, v19, |v22|, s[22:23]
	v_max3_f32 v15, v5, v6, v7
	s_mov_b64 s[22:23], -1
	s_and_saveexec_b64 s[46:47], vcc
	s_xor_b64 s[46:47], exec, s[46:47]
	s_cbranch_execz .LBB14_50
; %bb.56:                               ;   in Loop: Header=BB14_53 Depth=1
	v_lshlrev_b64 v[6:7], 3, v[2:3]
	v_mov_b32_e32 v2, s48
	v_add_co_u32_e32 v20, vcc, s33, v6
	v_addc_co_u32_e32 v21, vcc, v2, v7, vcc
	v_mov_b32_e32 v2, s31
	v_add_co_u32_e32 v22, vcc, s30, v6
	v_addc_co_u32_e32 v23, vcc, v2, v7, vcc
	;; [unrolled: 3-line block ×3, first 2 shown]
	global_load_dwordx2 v[20:21], v[20:21], off
	v_add_u32_e32 v2, s56, v4
	global_load_dwordx2 v[6:7], v[6:7], off
	v_cmp_le_u32_e32 vcc, s51, v2
	global_load_dwordx2 v[22:23], v[22:23], off
	s_waitcnt vmcnt(2)
	v_and_b32_e32 v4, 0xffff0000, v20
	v_lshlrev_b32_e32 v24, 16, v20
	v_alignbit_b32 v20, v21, v20, 16
	s_waitcnt vmcnt(1)
	v_and_b32_e32 v25, 0xffff0000, v6
	v_lshlrev_b32_e32 v26, 16, v6
	v_alignbit_b32 v6, v7, v6, 16
	v_and_b32_e32 v20, 0xffff0000, v20
	v_add_f32_e32 v24, v24, v26
	v_and_b32_e32 v6, 0xffff0000, v6
	s_waitcnt vmcnt(0)
	v_and_b32_e32 v5, 0xffff0000, v22
	v_and_b32_e32 v21, 0xffff0000, v21
	;; [unrolled: 1-line block ×3, first 2 shown]
	v_lshlrev_b32_e32 v27, 16, v22
	v_alignbit_b32 v22, v23, v22, 16
	v_add_f32_e32 v4, v4, v25
	v_add_f32_e32 v6, v20, v6
	v_mul_f32_e32 v20, v10, v24
	v_add_f32_e32 v7, v21, v7
	v_and_b32_e32 v21, 0xffff0000, v22
	v_mul_f32_e32 v4, v10, v4
	v_bfe_u32 v22, v20, 16, 1
	v_mul_f32_e32 v7, v10, v7
	v_bfe_u32 v24, v4, 16, 1
	v_add3_u32 v22, v20, v22, s55
	v_bfe_u32 v25, v7, 16, 1
	v_add3_u32 v24, v4, v24, s55
	v_and_b32_e32 v22, 0xffff0000, v22
	v_cmp_o_f32_e64 s[22:23], v20, v20
	v_mul_f32_e32 v6, v10, v6
	v_add3_u32 v25, v7, v25, s55
	v_and_b32_e32 v24, 0xffff0000, v24
	v_cndmask_b32_e64 v20, v19, v22, s[22:23]
	v_cmp_o_f32_e64 s[22:23], v4, v4
	v_bfe_u32 v26, v6, 16, 1
	v_and_b32_e32 v25, 0xffff0000, v25
	v_cndmask_b32_e64 v4, v19, v24, s[22:23]
	v_cmp_o_f32_e64 s[22:23], v7, v7
	v_and_b32_e32 v23, 0xffff0000, v23
	v_add3_u32 v26, v6, v26, s55
	v_cndmask_b32_e64 v7, v19, v25, s[22:23]
	v_mul_f32_e32 v20, v20, v27
	v_and_b32_e32 v22, 0xffff0000, v26
	v_mul_f32_e32 v4, v4, v5
	v_cmp_o_f32_e64 s[22:23], v6, v6
	v_mul_f32_e32 v6, v7, v23
	v_bfe_u32 v7, v20, 16, 1
	v_cndmask_b32_e64 v5, v19, v22, s[22:23]
	v_bfe_u32 v22, v4, 16, 1
	v_add3_u32 v7, v20, v7, s55
	v_mul_f32_e32 v5, v5, v21
	v_bfe_u32 v21, v6, 16, 1
	v_add3_u32 v22, v4, v22, s55
	v_and_b32_e32 v7, 0xffff0000, v7
	v_cmp_o_f32_e64 s[22:23], v20, v20
	v_bfe_u32 v23, v5, 16, 1
	v_add3_u32 v21, v6, v21, s55
	v_and_b32_e32 v22, 0xffff0000, v22
	v_cndmask_b32_e64 v7, v19, |v7|, s[22:23]
	v_cmp_o_f32_e64 s[22:23], v4, v4
	v_add3_u32 v23, v5, v23, s55
	v_and_b32_e32 v21, 0xffff0000, v21
	v_cndmask_b32_e64 v4, v19, |v22|, s[22:23]
	v_cmp_o_f32_e64 s[22:23], v6, v6
	v_and_b32_e32 v20, 0xffff0000, v23
	v_cndmask_b32_e64 v6, v19, |v21|, s[22:23]
	v_cmp_o_f32_e64 s[22:23], v5, v5
	v_max3_f32 v4, v15, v7, v4
	v_cndmask_b32_e64 v5, v19, |v20|, s[22:23]
	v_max3_f32 v15, v4, v5, v6
	s_orn2_b64 s[22:23], vcc, exec
	s_branch .LBB14_50
.LBB14_57:
	s_or_b64 exec, exec, s[36:37]
.LBB14_58:
	s_or_b64 exec, exec, s[28:29]
	ds_bpermute_b32 v2, v8, v15
	s_waitcnt lgkmcnt(0)
	v_cmp_lt_f32_e32 vcc, v15, v2
	v_cndmask_b32_e32 v2, v15, v2, vcc
	v_cndmask_b32_e64 v2, v15, v2, s[2:3]
	ds_bpermute_b32 v3, v9, v2
	s_or_b64 s[2:3], s[2:3], s[4:5]
	s_or_b64 s[2:3], s[8:9], s[2:3]
	;; [unrolled: 1-line block ×4, first 2 shown]
	s_waitcnt lgkmcnt(0)
	v_cmp_lt_f32_e32 vcc, v2, v3
	v_cndmask_b32_e32 v3, v2, v3, vcc
	v_cndmask_b32_e64 v2, v2, v3, s[4:5]
	ds_bpermute_b32 v3, v11, v2
	s_waitcnt lgkmcnt(0)
	v_cmp_lt_f32_e32 vcc, v2, v3
	v_cndmask_b32_e32 v3, v2, v3, vcc
	v_cndmask_b32_e64 v2, v2, v3, s[8:9]
	ds_bpermute_b32 v3, v12, v2
	;; [unrolled: 5-line block ×4, first 2 shown]
	s_waitcnt lgkmcnt(0)
	v_cmp_lt_f32_e32 vcc, v2, v3
	s_and_b64 vcc, s[20:21], vcc
	v_cndmask_b32_e32 v2, v2, v3, vcc
	s_or_b64 vcc, s[20:21], s[2:3]
	v_cndmask_b32_e32 v2, v15, v2, vcc
	s_and_saveexec_b64 s[2:3], s[14:15]
	s_cbranch_execz .LBB14_60
; %bb.59:
	v_lshrrev_b32_e32 v3, 4, v0
	v_and_b32_e32 v3, 60, v3
	ds_write_b32 v3, v2 offset:64
.LBB14_60:
	s_or_b64 exec, exec, s[2:3]
	s_waitcnt lgkmcnt(0)
	s_barrier
	s_and_saveexec_b64 s[8:9], s[16:17]
	s_cbranch_execz .LBB14_62
; %bb.61:
	v_lshlrev_b32_e32 v2, 2, v1
	ds_read_b32 v2, v2 offset:64
	v_and_b32_e32 v3, 15, v1
	v_cmp_ne_u32_e32 vcc, 15, v3
	v_addc_co_u32_e32 v4, vcc, 0, v1, vcc
	v_lshlrev_b32_e32 v4, 2, v4
	s_waitcnt lgkmcnt(0)
	ds_bpermute_b32 v4, v4, v2
	s_add_i32 s2, s52, 63
	s_lshr_b32 s4, s2, 6
	v_add_u32_e32 v5, 1, v3
	v_cmp_gt_u32_e64 s[2:3], 14, v3
	s_waitcnt lgkmcnt(0)
	v_cmp_lt_f32_e32 vcc, v2, v4
	v_cndmask_b32_e32 v4, v2, v4, vcc
	v_cmp_gt_u32_e32 vcc, s4, v5
	v_cndmask_b32_e64 v5, 0, 1, s[2:3]
	v_lshlrev_b32_e32 v5, 1, v5
	v_cndmask_b32_e32 v4, v2, v4, vcc
	v_add_lshl_u32 v5, v5, v1, 2
	ds_bpermute_b32 v5, v5, v4
	v_add_u32_e32 v6, 2, v3
	s_waitcnt lgkmcnt(0)
	v_cmp_lt_f32_e64 s[2:3], v4, v5
	v_cndmask_b32_e64 v5, v4, v5, s[2:3]
	v_cmp_gt_u32_e64 s[2:3], s4, v6
	v_cndmask_b32_e64 v4, v4, v5, s[2:3]
	v_cmp_gt_u32_e64 s[2:3], 12, v3
	v_cndmask_b32_e64 v5, 0, 1, s[2:3]
	v_lshlrev_b32_e32 v5, 2, v5
	v_add_lshl_u32 v5, v5, v1, 2
	ds_bpermute_b32 v5, v5, v4
	v_add_u32_e32 v6, 4, v3
	s_waitcnt lgkmcnt(0)
	v_cmp_lt_f32_e64 s[2:3], v4, v5
	v_cndmask_b32_e64 v5, v4, v5, s[2:3]
	v_cmp_gt_u32_e64 s[2:3], s4, v6
	v_cndmask_b32_e64 v4, v4, v5, s[2:3]
	v_cmp_gt_u32_e64 s[2:3], 8, v3
	v_cndmask_b32_e64 v5, 0, 1, s[2:3]
	v_lshlrev_b32_e32 v5, 3, v5
	v_add_lshl_u32 v1, v5, v1, 2
	ds_bpermute_b32 v1, v1, v4
	v_add_u32_e32 v3, 8, v3
	v_cmp_gt_u32_e64 s[2:3], s4, v3
	s_waitcnt lgkmcnt(0)
	v_cmp_lt_f32_e64 s[4:5], v4, v1
	s_and_b64 s[2:3], s[2:3], s[4:5]
	v_cndmask_b32_e64 v1, v4, v1, s[2:3]
	v_cndmask_b32_e32 v2, v2, v1, vcc
.LBB14_62:
	s_or_b64 exec, exec, s[8:9]
	s_and_saveexec_b64 s[2:3], s[18:19]
	s_cbranch_execz .LBB14_66
; %bb.63:
	s_cmp_eq_u64 s[34:35], 0
	s_cbranch_scc1 .LBB14_65
; %bb.64:
	s_load_dword s4, s[34:35], 0x0
	v_max_f32_e32 v1, v2, v2
	s_waitcnt lgkmcnt(0)
	v_max_f32_e64 v2, s4, s4
	v_min_f32_e32 v2, v1, v2
.LBB14_65:
	s_mov_b32 s8, 0x42fe0000
	v_div_scale_f32 v1, s[4:5], s8, s8, v2
	v_rcp_f32_e32 v3, v1
	v_div_scale_f32 v4, vcc, v2, s8, v2
	s_lshl_b64 s[4:5], s[6:7], 2
	v_fma_f32 v5, -v1, v3, 1.0
	v_fmac_f32_e32 v3, v5, v3
	v_mul_f32_e32 v5, v4, v3
	v_fma_f32 v6, -v1, v5, v4
	v_fmac_f32_e32 v5, v6, v3
	v_fma_f32 v1, -v1, v5, v4
	v_div_fmas_f32 v1, v1, v3, v5
	v_div_fixup_f32 v1, v1, s8, v2
	s_add_u32 s4, s26, s4
	v_max_f32_e32 v1, 0x34000000, v1
	v_mov_b32_e32 v2, 0
	s_addc_u32 s5, s27, s5
	ds_write_b32 v2, v1 offset:260
	global_store_dword v2, v1, s[4:5]
.LBB14_66:
	s_or_b64 exec, exec, s[2:3]
	s_waitcnt lgkmcnt(0)
	s_barrier
	s_and_saveexec_b64 s[2:3], s[0:1]
	s_cbranch_execz .LBB14_75
; %bb.67:
	v_mov_b32_e32 v1, 0
	ds_read_b32 v2, v1 offset:260
	s_add_u32 s12, s24, s38
	s_addc_u32 s14, s25, s39
	s_add_i32 s19, s52, s52
	s_mul_i32 s13, s52, 3
	s_waitcnt lgkmcnt(0)
	v_div_scale_f32 v3, s[0:1], v2, v2, 1.0
	v_rcp_f32_e32 v4, v3
	v_div_scale_f32 v5, vcc, 1.0, v2, 1.0
	s_lshl_b32 s15, s52, 1
	v_fma_f32 v6, -v3, v4, 1.0
	v_fmac_f32_e32 v4, v6, v4
	v_mul_f32_e32 v6, v5, v4
	v_fma_f32 v7, -v3, v6, v5
	v_fmac_f32_e32 v6, v7, v4
	v_fma_f32 v3, -v3, v6, v5
	v_div_fmas_f32 v3, v3, v4, v6
	v_div_fixup_f32 v2, v3, v2, 1.0
	v_mov_b32_e32 v3, v2
	s_mov_b64 s[0:1], 0
	v_mov_b32_e32 v11, s48
	v_mov_b32_e32 v12, s31
	;; [unrolled: 1-line block ×3, first 2 shown]
	s_movk_i32 s16, 0x7fff
	v_mov_b32_e32 v14, 0x7fc00000
	v_mov_b32_e32 v15, 0x7fc0
	s_mov_b32 s17, 0x42fe0000
	v_mov_b32_e32 v16, 0x42fe0000
	s_mov_b32 s18, 0xc3000000
	v_mov_b32_e32 v17, 0xc3000000
	v_mov_b32_e32 v18, s14
	s_add_i32 s19, s19, s52
	v_mov_b32_e32 v19, 8
                                        ; implicit-def: $sgpr2_sgpr3
	s_branch .LBB14_71
.LBB14_68:                              ;   in Loop: Header=BB14_71 Depth=1
	s_or_b64 exec, exec, s[8:9]
	s_orn2_b64 s[8:9], s[10:11], exec
.LBB14_69:                              ;   in Loop: Header=BB14_71 Depth=1
	s_or_b64 exec, exec, s[6:7]
	s_andn2_b64 s[2:3], s[2:3], exec
	s_and_b64 s[6:7], s[8:9], exec
	s_or_b64 s[2:3], s[2:3], s[6:7]
.LBB14_70:                              ;   in Loop: Header=BB14_71 Depth=1
	s_or_b64 exec, exec, s[4:5]
	s_and_b64 s[4:5], exec, s[2:3]
	s_or_b64 s[0:1], s[4:5], s[0:1]
	s_andn2_b64 exec, exec, s[0:1]
	s_cbranch_execz .LBB14_75
.LBB14_71:                              ; =>This Inner Loop Header: Depth=1
	v_lshlrev_b64 v[4:5], 3, v[0:1]
	v_add_co_u32_e32 v6, vcc, s33, v4
	v_addc_co_u32_e32 v7, vcc, v11, v5, vcc
	global_load_dwordx2 v[8:9], v[6:7], off
	v_add_co_u32_e32 v6, vcc, s49, v4
	v_addc_co_u32_e32 v7, vcc, v13, v5, vcc
	global_load_dwordx2 v[20:21], v[6:7], off
	;; [unrolled: 3-line block ×3, first 2 shown]
	s_or_b64 s[2:3], s[2:3], exec
	s_waitcnt vmcnt(2)
	v_and_b32_e32 v22, 0xffff0000, v8
	v_lshlrev_b32_e32 v23, 16, v8
	v_alignbit_b32 v8, v9, v8, 16
	v_and_b32_e32 v9, 0xffff0000, v9
	v_and_b32_e32 v8, 0xffff0000, v8
	s_waitcnt vmcnt(1)
	v_and_b32_e32 v24, 0xffff0000, v20
	v_lshlrev_b32_e32 v25, 16, v20
	v_alignbit_b32 v20, v21, v20, 16
	v_and_b32_e32 v21, 0xffff0000, v21
	v_add_f32_e32 v9, v9, v21
	v_add_f32_e32 v23, v23, v25
	v_add_f32_e32 v22, v22, v24
	v_bfe_u32 v25, v9, 16, 1
	v_and_b32_e32 v20, 0xffff0000, v20
	v_bfe_u32 v24, v22, 16, 1
	v_add3_u32 v25, v9, v25, s16
	s_waitcnt vmcnt(0)
	v_alignbit_b32 v27, v5, v4, 16
	v_add_f32_e32 v8, v8, v20
	v_bfe_u32 v20, v23, 16, 1
	v_add3_u32 v24, v22, v24, s16
	v_and_b32_e32 v25, 0xffff0000, v25
	v_cmp_o_f32_e32 vcc, v9, v9
	v_and_b32_e32 v21, 0xffff0000, v27
	v_mul_f32_e32 v27, v10, v23
	v_mul_f32_e32 v29, v10, v9
	v_add3_u32 v20, v23, v20, s16
	v_bfe_u32 v30, v8, 16, 1
	v_and_b32_e32 v24, 0xffff0000, v24
	v_cndmask_b32_e32 v9, v14, v25, vcc
	v_cmp_o_f32_e32 vcc, v22, v22
	v_mul_f32_e32 v28, v10, v22
	v_bfe_u32 v31, v27, 16, 1
	v_lshrrev_b32_e32 v20, 16, v20
	v_add3_u32 v30, v8, v30, s16
	v_cndmask_b32_e32 v22, v14, v24, vcc
	v_cmp_o_f32_e32 vcc, v23, v23
	v_mul_f32_e32 v33, v10, v8
	v_add3_u32 v31, v27, v31, s16
	v_lshrrev_b32_e32 v30, 16, v30
	v_cndmask_b32_e32 v20, v15, v20, vcc
	v_cmp_o_f32_e32 vcc, v8, v8
	v_bfe_u32 v34, v33, 16, 1
	v_and_b32_e32 v23, 0xffff0000, v31
	v_cndmask_b32_e32 v8, v15, v30, vcc
	v_cmp_o_f32_e32 vcc, v27, v27
	v_lshlrev_b32_e32 v26, 16, v4
	v_add3_u32 v25, v33, v34, s16
	v_or_b32_e32 v20, v20, v22
	v_cndmask_b32_e32 v22, v14, v23, vcc
	v_and_b32_e32 v23, 0xffff0000, v25
	v_or3_b32 v9, 0, v8, v9
	v_or3_b32 v8, v20, 0, 0
	v_mul_f32_e32 v20, v22, v26
	v_cmp_o_f32_e32 vcc, v33, v33
	v_cndmask_b32_e32 v22, v14, v23, vcc
	global_store_dwordx2 v[6:7], v[8:9], off
	v_bfe_u32 v6, v20, 16, 1
	v_mul_f32_e32 v7, v22, v21
	v_add3_u32 v6, v20, v6, s16
	v_bfe_u32 v8, v7, 16, 1
	v_and_b32_e32 v6, 0xffff0000, v6
	v_cmp_o_f32_e32 vcc, v20, v20
	v_add3_u32 v8, v7, v8, s16
	v_cndmask_b32_e32 v6, v14, v6, vcc
	v_and_b32_e32 v8, 0xffff0000, v8
	v_mul_f32_e32 v6, v2, v6
	v_cmp_o_f32_e32 vcc, v7, v7
	v_cndmask_b32_e32 v7, v14, v8, vcc
	v_rndne_f32_e32 v6, v6
	v_mul_f32_e32 v7, v2, v7
	v_cmp_nlt_f32_e32 vcc, s17, v6
	v_cndmask_b32_e32 v8, v16, v6, vcc
	v_rndne_f32_e32 v7, v7
	v_cmp_ngt_f32_e32 vcc, s18, v6
	v_cndmask_b32_e32 v6, v17, v8, vcc
	v_cmp_nlt_f32_e32 vcc, s17, v7
	v_cndmask_b32_e32 v8, v16, v7, vcc
	v_cmp_ngt_f32_e32 vcc, s18, v7
	v_cvt_i32_f32_e32 v22, v6
	v_cndmask_b32_e32 v6, v17, v8, vcc
	v_cvt_i32_f32_e32 v23, v6
	v_bfe_u32 v6, v29, 16, 1
	v_add3_u32 v6, v29, v6, s16
	v_and_b32_e32 v8, 0xffff0000, v6
	v_lshlrev_b64 v[6:7], 2, v[0:1]
	v_bfe_u32 v32, v28, 16, 1
	v_add_co_u32_e32 v6, vcc, s12, v6
	v_add3_u32 v32, v28, v32, s16
	v_addc_co_u32_e32 v7, vcc, v18, v7, vcc
	v_and_b32_e32 v24, 0xffff0000, v32
	v_cmp_o_f32_e32 vcc, v28, v28
	v_cndmask_b32_e32 v9, v14, v24, vcc
	v_cmp_o_f32_e32 vcc, v29, v29
	v_cndmask_b32_e32 v8, v14, v8, vcc
	v_and_b32_e32 v21, 0xffff0000, v4
	v_and_b32_e32 v20, 0xffff0000, v5
	v_pk_mul_f32 v[4:5], v[8:9], v[20:21]
	v_bfe_u32 v9, v5, 16, 1
	v_bfe_u32 v8, v4, 16, 1
	v_add3_u32 v9, v5, v9, s16
	v_add3_u32 v8, v4, v8, s16
	v_and_b32_e32 v9, 0xffff0000, v9
	v_cmp_o_f32_e32 vcc, v5, v5
	v_and_b32_e32 v8, 0xffff0000, v8
	v_cndmask_b32_e32 v5, v14, v9, vcc
	v_cmp_o_f32_e32 vcc, v4, v4
	v_cndmask_b32_e32 v4, v14, v8, vcc
	v_pk_mul_f32 v[4:5], v[2:3], v[4:5]
	v_rndne_f32_e32 v4, v4
	v_rndne_f32_e32 v5, v5
	v_cmp_nlt_f32_e32 vcc, s17, v4
	v_cndmask_b32_e32 v8, v16, v4, vcc
	v_cmp_nlt_f32_e32 vcc, s17, v5
	v_cndmask_b32_e32 v9, v16, v5, vcc
	v_cmp_ngt_f32_e32 vcc, s18, v5
	v_cndmask_b32_e32 v5, v17, v9, vcc
	v_cmp_ngt_f32_e32 vcc, s18, v4
	v_cndmask_b32_e32 v4, v17, v8, vcc
	v_cvt_i32_f32_e32 v5, v5
	v_cvt_i32_f32_e32 v4, v4
	v_and_b32_e32 v8, 0xff, v23
	v_lshlrev_b32_e32 v8, 16, v8
	v_lshlrev_b32_sdwa v5, v19, v5 dst_sel:DWORD dst_unused:UNUSED_PAD src0_sel:DWORD src1_sel:BYTE_0
	v_lshl_or_b32 v4, v4, 24, v8
	v_and_b32_e32 v8, 0xff, v22
	v_or3_b32 v4, v4, v5, v8
	global_store_dword v[6:7], v4, off
	v_add_u32_e32 v4, s52, v0
	v_cmp_gt_u32_e32 vcc, s51, v4
	s_and_saveexec_b64 s[4:5], vcc
	s_cbranch_execz .LBB14_70
; %bb.72:                               ;   in Loop: Header=BB14_71 Depth=1
	v_mov_b32_e32 v5, v1
	v_lshlrev_b64 v[6:7], 3, v[4:5]
	v_add_co_u32_e32 v8, vcc, s33, v6
	v_addc_co_u32_e32 v9, vcc, v11, v7, vcc
	global_load_dwordx2 v[20:21], v[8:9], off
	v_add_co_u32_e32 v8, vcc, s49, v6
	v_addc_co_u32_e32 v9, vcc, v13, v7, vcc
	global_load_dwordx2 v[22:23], v[8:9], off
	;; [unrolled: 3-line block ×3, first 2 shown]
	s_mov_b64 s[8:9], -1
	s_waitcnt vmcnt(2)
	v_and_b32_e32 v24, 0xffff0000, v20
	v_lshlrev_b32_e32 v25, 16, v20
	v_alignbit_b32 v20, v21, v20, 16
	v_and_b32_e32 v21, 0xffff0000, v21
	v_and_b32_e32 v20, 0xffff0000, v20
	s_waitcnt vmcnt(1)
	v_and_b32_e32 v26, 0xffff0000, v22
	v_lshlrev_b32_e32 v27, 16, v22
	v_alignbit_b32 v22, v23, v22, 16
	v_and_b32_e32 v23, 0xffff0000, v23
	v_add_f32_e32 v21, v21, v23
	v_add_f32_e32 v25, v25, v27
	;; [unrolled: 1-line block ×3, first 2 shown]
	v_bfe_u32 v27, v21, 16, 1
	v_and_b32_e32 v22, 0xffff0000, v22
	v_bfe_u32 v26, v24, 16, 1
	v_add3_u32 v27, v21, v27, s16
	s_waitcnt vmcnt(0)
	v_alignbit_b32 v29, v7, v6, 16
	v_add_f32_e32 v20, v20, v22
	v_bfe_u32 v22, v25, 16, 1
	v_add3_u32 v26, v24, v26, s16
	v_and_b32_e32 v27, 0xffff0000, v27
	v_cmp_o_f32_e32 vcc, v21, v21
	v_and_b32_e32 v23, 0xffff0000, v29
	v_mul_f32_e32 v29, v10, v25
	v_mul_f32_e32 v31, v10, v21
	v_add3_u32 v22, v25, v22, s16
	v_bfe_u32 v32, v20, 16, 1
	v_and_b32_e32 v26, 0xffff0000, v26
	v_cndmask_b32_e32 v21, v14, v27, vcc
	v_cmp_o_f32_e32 vcc, v24, v24
	v_mul_f32_e32 v30, v10, v24
	v_bfe_u32 v33, v29, 16, 1
	v_lshrrev_b32_e32 v22, 16, v22
	v_add3_u32 v32, v20, v32, s16
	v_cndmask_b32_e32 v24, v14, v26, vcc
	v_cmp_o_f32_e32 vcc, v25, v25
	v_mul_f32_e32 v35, v10, v20
	v_add3_u32 v33, v29, v33, s16
	v_lshrrev_b32_e32 v32, 16, v32
	v_cndmask_b32_e32 v22, v15, v22, vcc
	v_cmp_o_f32_e32 vcc, v20, v20
	v_bfe_u32 v36, v35, 16, 1
	v_and_b32_e32 v25, 0xffff0000, v33
	v_cndmask_b32_e32 v20, v15, v32, vcc
	v_cmp_o_f32_e32 vcc, v29, v29
	v_lshlrev_b32_e32 v28, 16, v6
	v_add3_u32 v27, v35, v36, s16
	v_or_b32_e32 v22, v22, v24
	v_cndmask_b32_e32 v24, v14, v25, vcc
	v_and_b32_e32 v25, 0xffff0000, v27
	v_or3_b32 v21, 0, v20, v21
	v_or3_b32 v20, v22, 0, 0
	v_mul_f32_e32 v22, v24, v28
	v_cmp_o_f32_e32 vcc, v35, v35
	v_cndmask_b32_e32 v24, v14, v25, vcc
	global_store_dwordx2 v[8:9], v[20:21], off
	v_bfe_u32 v8, v22, 16, 1
	v_mul_f32_e32 v9, v24, v23
	v_add3_u32 v8, v22, v8, s16
	v_bfe_u32 v20, v9, 16, 1
	v_and_b32_e32 v8, 0xffff0000, v8
	v_cmp_o_f32_e32 vcc, v22, v22
	v_add3_u32 v20, v9, v20, s16
	v_cndmask_b32_e32 v8, v14, v8, vcc
	v_and_b32_e32 v20, 0xffff0000, v20
	v_mul_f32_e32 v8, v2, v8
	v_cmp_o_f32_e32 vcc, v9, v9
	v_cndmask_b32_e32 v9, v14, v20, vcc
	v_rndne_f32_e32 v8, v8
	v_mul_f32_e32 v9, v2, v9
	v_cmp_nlt_f32_e32 vcc, s17, v8
	v_cndmask_b32_e32 v20, v16, v8, vcc
	v_rndne_f32_e32 v9, v9
	v_cmp_ngt_f32_e32 vcc, s18, v8
	v_cndmask_b32_e32 v8, v17, v20, vcc
	v_cmp_nlt_f32_e32 vcc, s17, v9
	v_cndmask_b32_e32 v20, v16, v9, vcc
	v_cmp_ngt_f32_e32 vcc, s18, v9
	v_cvt_i32_f32_e32 v24, v8
	v_cndmask_b32_e32 v8, v17, v20, vcc
	v_cvt_i32_f32_e32 v25, v8
	v_bfe_u32 v8, v31, 16, 1
	v_add3_u32 v8, v31, v8, s16
	v_and_b32_e32 v20, 0xffff0000, v8
	v_lshlrev_b64 v[8:9], 2, v[4:5]
	v_bfe_u32 v34, v30, 16, 1
	v_add_co_u32_e32 v8, vcc, s12, v8
	v_add3_u32 v34, v30, v34, s16
	v_addc_co_u32_e32 v9, vcc, v18, v9, vcc
	v_and_b32_e32 v26, 0xffff0000, v34
	v_cmp_o_f32_e32 vcc, v30, v30
	v_cndmask_b32_e32 v21, v14, v26, vcc
	v_cmp_o_f32_e32 vcc, v31, v31
	v_cndmask_b32_e32 v20, v14, v20, vcc
	v_and_b32_e32 v23, 0xffff0000, v6
	v_and_b32_e32 v22, 0xffff0000, v7
	v_pk_mul_f32 v[6:7], v[20:21], v[22:23]
	v_bfe_u32 v20, v7, 16, 1
	v_bfe_u32 v5, v6, 16, 1
	v_add3_u32 v20, v7, v20, s16
	v_add3_u32 v5, v6, v5, s16
	v_and_b32_e32 v20, 0xffff0000, v20
	v_cmp_o_f32_e32 vcc, v7, v7
	v_and_b32_e32 v5, 0xffff0000, v5
	v_cndmask_b32_e32 v7, v14, v20, vcc
	v_cmp_o_f32_e32 vcc, v6, v6
	v_cndmask_b32_e32 v6, v14, v5, vcc
	v_pk_mul_f32 v[6:7], v[2:3], v[6:7]
	v_rndne_f32_e32 v6, v6
	v_rndne_f32_e32 v5, v7
	v_cmp_nlt_f32_e32 vcc, s17, v6
	v_cndmask_b32_e32 v7, v16, v6, vcc
	v_cmp_nlt_f32_e32 vcc, s17, v5
	v_cndmask_b32_e32 v20, v16, v5, vcc
	v_cmp_ngt_f32_e32 vcc, s18, v5
	v_cndmask_b32_e32 v5, v17, v20, vcc
	v_cmp_ngt_f32_e32 vcc, s18, v6
	v_cndmask_b32_e32 v6, v17, v7, vcc
	v_cvt_i32_f32_e32 v5, v5
	v_cvt_i32_f32_e32 v6, v6
	v_and_b32_e32 v7, 0xff, v25
	v_lshlrev_b32_e32 v7, 16, v7
	v_lshlrev_b32_sdwa v5, v19, v5 dst_sel:DWORD dst_unused:UNUSED_PAD src0_sel:DWORD src1_sel:BYTE_0
	v_lshl_or_b32 v6, v6, 24, v7
	v_and_b32_e32 v7, 0xff, v24
	v_or3_b32 v5, v6, v5, v7
	v_add_u32_e32 v6, s15, v0
	v_cmp_gt_u32_e32 vcc, s51, v6
	global_store_dword v[8:9], v5, off
	s_and_saveexec_b64 s[6:7], vcc
	s_cbranch_execz .LBB14_69
; %bb.73:                               ;   in Loop: Header=BB14_71 Depth=1
	v_mov_b32_e32 v7, v1
	v_lshlrev_b64 v[8:9], 3, v[6:7]
	v_mov_b32_e32 v5, s48
	v_add_co_u32_e32 v20, vcc, s33, v8
	v_addc_co_u32_e32 v21, vcc, v5, v9, vcc
	v_mov_b32_e32 v23, s50
	v_add_co_u32_e32 v22, vcc, s49, v8
	v_addc_co_u32_e32 v23, vcc, v23, v9, vcc
	global_load_dwordx2 v[20:21], v[20:21], off
	v_mov_b32_e32 v5, s31
	global_load_dwordx2 v[24:25], v[22:23], off
	v_add_co_u32_e32 v8, vcc, s30, v8
	v_addc_co_u32_e32 v9, vcc, v5, v9, vcc
	global_load_dwordx2 v[8:9], v[8:9], off
	v_lshlrev_b64 v[6:7], 2, v[6:7]
	v_add_u32_e32 v0, s13, v0
	s_mov_b64 s[10:11], -1
	s_waitcnt vmcnt(2)
	v_and_b32_e32 v5, 0xffff0000, v20
	v_lshlrev_b32_e32 v26, 16, v20
	v_alignbit_b32 v20, v21, v20, 16
	v_and_b32_e32 v21, 0xffff0000, v21
	s_waitcnt vmcnt(1)
	v_and_b32_e32 v27, 0xffff0000, v24
	v_lshlrev_b32_e32 v28, 16, v24
	v_alignbit_b32 v24, v25, v24, 16
	v_and_b32_e32 v25, 0xffff0000, v25
	v_add_f32_e32 v25, v21, v25
	v_and_b32_e32 v20, 0xffff0000, v20
	v_add_f32_e32 v26, v26, v28
	v_add_f32_e32 v5, v5, v27
	v_and_b32_e32 v24, 0xffff0000, v24
	v_bfe_u32 v28, v25, 16, 1
	v_add_f32_e32 v20, v20, v24
	v_bfe_u32 v24, v5, 16, 1
	v_add3_u32 v28, v25, v28, s16
	s_waitcnt vmcnt(0)
	v_alignbit_b32 v30, v9, v8, 16
	v_bfe_u32 v21, v26, 16, 1
	v_add3_u32 v24, v5, v24, s16
	v_and_b32_e32 v28, 0xffff0000, v28
	v_cmp_o_f32_e32 vcc, v25, v25
	v_and_b32_e32 v27, 0xffff0000, v30
	v_mul_f32_e32 v30, v10, v26
	v_add3_u32 v21, v26, v21, s16
	v_bfe_u32 v32, v20, 16, 1
	v_and_b32_e32 v24, 0xffff0000, v24
	v_cndmask_b32_e32 v28, v14, v28, vcc
	v_cmp_o_f32_e32 vcc, v5, v5
	v_mul_f32_e32 v31, v10, v5
	v_bfe_u32 v33, v30, 16, 1
	v_lshrrev_b32_e32 v21, 16, v21
	v_add3_u32 v32, v20, v32, s16
	v_cndmask_b32_e32 v5, v14, v24, vcc
	v_cmp_o_f32_e32 vcc, v26, v26
	v_mul_f32_e32 v35, v10, v20
	v_add3_u32 v33, v30, v33, s16
	v_lshrrev_b32_e32 v32, 16, v32
	v_cndmask_b32_e32 v21, v15, v21, vcc
	v_cmp_o_f32_e32 vcc, v20, v20
	v_bfe_u32 v36, v35, 16, 1
	v_and_b32_e32 v24, 0xffff0000, v33
	v_cndmask_b32_e32 v20, v15, v32, vcc
	v_cmp_o_f32_e32 vcc, v30, v30
	v_lshlrev_b32_e32 v29, 16, v8
	v_add3_u32 v33, v35, v36, s16
	v_or_b32_e32 v5, v21, v5
	v_cndmask_b32_e32 v24, v14, v24, vcc
	v_and_b32_e32 v30, 0xffff0000, v33
	v_or3_b32 v21, 0, v20, v28
	v_or3_b32 v20, v5, 0, 0
	v_mul_f32_e32 v5, v24, v29
	v_cmp_o_f32_e32 vcc, v35, v35
	v_cndmask_b32_e32 v24, v14, v30, vcc
	global_store_dwordx2 v[22:23], v[20:21], off
	v_bfe_u32 v20, v5, 16, 1
	v_mul_f32_e32 v21, v24, v27
	v_add3_u32 v20, v5, v20, s16
	v_bfe_u32 v22, v21, 16, 1
	v_and_b32_e32 v20, 0xffff0000, v20
	v_cmp_o_f32_e32 vcc, v5, v5
	v_add3_u32 v22, v21, v22, s16
	v_cndmask_b32_e32 v5, v14, v20, vcc
	v_and_b32_e32 v20, 0xffff0000, v22
	v_mul_f32_e32 v5, v2, v5
	v_cmp_o_f32_e32 vcc, v21, v21
	v_cndmask_b32_e32 v20, v14, v20, vcc
	v_rndne_f32_e32 v5, v5
	v_mul_f32_e32 v20, v2, v20
	v_cmp_nlt_f32_e32 vcc, s17, v5
	v_cndmask_b32_e32 v21, v16, v5, vcc
	v_rndne_f32_e32 v20, v20
	v_cmp_ngt_f32_e32 vcc, s18, v5
	v_cndmask_b32_e32 v5, v17, v21, vcc
	v_cmp_nlt_f32_e32 vcc, s17, v20
	v_cndmask_b32_e32 v21, v16, v20, vcc
	v_cmp_ngt_f32_e32 vcc, s18, v20
	v_cndmask_b32_e32 v20, v17, v21, vcc
	v_cvt_i32_f32_e32 v24, v20
	v_mul_f32_e32 v20, v10, v25
	v_bfe_u32 v21, v20, 16, 1
	v_add3_u32 v21, v20, v21, s16
	v_bfe_u32 v34, v31, 16, 1
	v_and_b32_e32 v22, 0xffff0000, v21
	v_mov_b32_e32 v21, s14
	v_add_co_u32_e32 v6, vcc, s12, v6
	v_add3_u32 v34, v31, v34, s16
	v_addc_co_u32_e32 v7, vcc, v21, v7, vcc
	v_and_b32_e32 v26, 0xffff0000, v34
	v_cmp_o_f32_e32 vcc, v31, v31
	v_cndmask_b32_e32 v21, v14, v26, vcc
	v_cmp_o_f32_e32 vcc, v20, v20
	v_cndmask_b32_e32 v20, v14, v22, vcc
	v_and_b32_e32 v23, 0xffff0000, v8
	v_and_b32_e32 v22, 0xffff0000, v9
	v_pk_mul_f32 v[8:9], v[20:21], v[22:23]
	v_bfe_u32 v21, v9, 16, 1
	v_bfe_u32 v20, v8, 16, 1
	v_add3_u32 v21, v9, v21, s16
	v_add3_u32 v20, v8, v20, s16
	v_and_b32_e32 v21, 0xffff0000, v21
	v_cmp_o_f32_e32 vcc, v9, v9
	v_and_b32_e32 v20, 0xffff0000, v20
	v_cndmask_b32_e32 v9, v14, v21, vcc
	v_cmp_o_f32_e32 vcc, v8, v8
	v_cndmask_b32_e32 v8, v14, v20, vcc
	v_pk_mul_f32 v[8:9], v[2:3], v[8:9]
	v_rndne_f32_e32 v8, v8
	v_rndne_f32_e32 v9, v9
	v_cmp_nlt_f32_e32 vcc, s17, v8
	v_cndmask_b32_e32 v20, v16, v8, vcc
	v_cmp_nlt_f32_e32 vcc, s17, v9
	v_cndmask_b32_e32 v21, v16, v9, vcc
	v_cmp_ngt_f32_e32 vcc, s18, v9
	v_cndmask_b32_e32 v9, v17, v21, vcc
	v_cmp_ngt_f32_e32 vcc, s18, v8
	v_cndmask_b32_e32 v8, v17, v20, vcc
	v_cvt_i32_f32_e32 v5, v5
	v_cvt_i32_f32_e32 v9, v9
	;; [unrolled: 1-line block ×3, first 2 shown]
	v_and_b32_e32 v20, 0xff, v24
	v_lshlrev_b32_e32 v20, 16, v20
	v_lshlrev_b32_sdwa v9, v19, v9 dst_sel:DWORD dst_unused:UNUSED_PAD src0_sel:DWORD src1_sel:BYTE_0
	v_lshl_or_b32 v8, v8, 24, v20
	v_and_b32_e32 v5, 0xff, v5
	v_or3_b32 v5, v8, v9, v5
	v_cmp_gt_u32_e32 vcc, s51, v0
	global_store_dword v[6:7], v5, off
	s_and_saveexec_b64 s[8:9], vcc
	s_cbranch_execz .LBB14_68
; %bb.74:                               ;   in Loop: Header=BB14_71 Depth=1
	v_lshlrev_b64 v[6:7], 3, v[0:1]
	v_mov_b32_e32 v5, s48
	v_add_co_u32_e32 v8, vcc, s33, v6
	v_addc_co_u32_e32 v9, vcc, v5, v7, vcc
	v_mov_b32_e32 v21, s50
	v_add_co_u32_e32 v20, vcc, s49, v6
	v_addc_co_u32_e32 v21, vcc, v21, v7, vcc
	global_load_dwordx2 v[8:9], v[8:9], off
	v_mov_b32_e32 v5, s31
	global_load_dwordx2 v[22:23], v[20:21], off
	v_add_co_u32_e32 v6, vcc, s30, v6
	v_addc_co_u32_e32 v7, vcc, v5, v7, vcc
	global_load_dwordx2 v[6:7], v[6:7], off
	s_waitcnt vmcnt(2)
	v_and_b32_e32 v5, 0xffff0000, v8
	v_lshlrev_b32_e32 v24, 16, v8
	v_alignbit_b32 v8, v9, v8, 16
	v_and_b32_e32 v9, 0xffff0000, v9
	s_waitcnt vmcnt(1)
	v_and_b32_e32 v25, 0xffff0000, v22
	v_lshlrev_b32_e32 v26, 16, v22
	v_alignbit_b32 v22, v23, v22, 16
	v_and_b32_e32 v23, 0xffff0000, v23
	v_add_f32_e32 v23, v9, v23
	v_and_b32_e32 v8, 0xffff0000, v8
	v_add_f32_e32 v24, v24, v26
	v_add_f32_e32 v5, v5, v25
	v_and_b32_e32 v22, 0xffff0000, v22
	v_bfe_u32 v26, v23, 16, 1
	v_add_f32_e32 v8, v8, v22
	v_bfe_u32 v22, v5, 16, 1
	v_add3_u32 v26, v23, v26, s16
	s_waitcnt vmcnt(0)
	v_alignbit_b32 v28, v7, v6, 16
	v_bfe_u32 v9, v24, 16, 1
	v_add3_u32 v22, v5, v22, s16
	v_and_b32_e32 v26, 0xffff0000, v26
	v_cmp_o_f32_e32 vcc, v23, v23
	v_and_b32_e32 v25, 0xffff0000, v28
	v_mul_f32_e32 v28, v10, v24
	v_add3_u32 v9, v24, v9, s16
	v_bfe_u32 v30, v8, 16, 1
	v_and_b32_e32 v22, 0xffff0000, v22
	v_cndmask_b32_e32 v26, v14, v26, vcc
	v_cmp_o_f32_e32 vcc, v5, v5
	v_mul_f32_e32 v29, v10, v5
	v_bfe_u32 v31, v28, 16, 1
	v_lshrrev_b32_e32 v9, 16, v9
	v_add3_u32 v30, v8, v30, s16
	v_cndmask_b32_e32 v5, v14, v22, vcc
	v_cmp_o_f32_e32 vcc, v24, v24
	v_mul_f32_e32 v33, v10, v8
	v_add3_u32 v31, v28, v31, s16
	v_lshrrev_b32_e32 v30, 16, v30
	v_cndmask_b32_e32 v9, v15, v9, vcc
	v_cmp_o_f32_e32 vcc, v8, v8
	v_bfe_u32 v34, v33, 16, 1
	v_and_b32_e32 v22, 0xffff0000, v31
	v_cndmask_b32_e32 v8, v15, v30, vcc
	v_cmp_o_f32_e32 vcc, v28, v28
	v_lshlrev_b32_e32 v27, 16, v6
	v_add3_u32 v31, v33, v34, s16
	v_or_b32_e32 v5, v9, v5
	v_cndmask_b32_e32 v22, v14, v22, vcc
	v_and_b32_e32 v28, 0xffff0000, v31
	v_or3_b32 v9, 0, v8, v26
	v_or3_b32 v8, v5, 0, 0
	v_mul_f32_e32 v5, v22, v27
	v_cmp_o_f32_e32 vcc, v33, v33
	v_cndmask_b32_e32 v22, v14, v28, vcc
	global_store_dwordx2 v[20:21], v[8:9], off
	v_bfe_u32 v8, v5, 16, 1
	v_mul_f32_e32 v9, v22, v25
	v_add3_u32 v8, v5, v8, s16
	v_bfe_u32 v20, v9, 16, 1
	v_and_b32_e32 v8, 0xffff0000, v8
	v_cmp_o_f32_e32 vcc, v5, v5
	v_add3_u32 v20, v9, v20, s16
	v_cndmask_b32_e32 v5, v14, v8, vcc
	v_and_b32_e32 v8, 0xffff0000, v20
	v_mul_f32_e32 v5, v2, v5
	v_cmp_o_f32_e32 vcc, v9, v9
	v_cndmask_b32_e32 v8, v14, v8, vcc
	v_rndne_f32_e32 v5, v5
	v_mul_f32_e32 v8, v2, v8
	v_cmp_nlt_f32_e32 vcc, s17, v5
	v_cndmask_b32_e32 v9, v16, v5, vcc
	v_rndne_f32_e32 v8, v8
	v_cmp_ngt_f32_e32 vcc, s18, v5
	v_cndmask_b32_e32 v5, v17, v9, vcc
	v_cmp_nlt_f32_e32 vcc, s17, v8
	v_cndmask_b32_e32 v9, v16, v8, vcc
	v_cmp_ngt_f32_e32 vcc, s18, v8
	v_cndmask_b32_e32 v8, v17, v9, vcc
	v_mul_f32_e32 v20, v10, v23
	v_cvt_i32_f32_e32 v25, v8
	v_bfe_u32 v8, v20, 16, 1
	v_add3_u32 v8, v20, v8, s16
	v_and_b32_e32 v22, 0xffff0000, v8
	v_lshlrev_b64 v[8:9], 2, v[0:1]
	v_bfe_u32 v32, v29, 16, 1
	v_mov_b32_e32 v0, s14
	v_add_co_u32_e32 v8, vcc, s12, v8
	v_add3_u32 v32, v29, v32, s16
	v_addc_co_u32_e32 v9, vcc, v0, v9, vcc
	v_and_b32_e32 v24, 0xffff0000, v32
	v_cmp_o_f32_e32 vcc, v29, v29
	v_cndmask_b32_e32 v21, v14, v24, vcc
	v_cmp_o_f32_e32 vcc, v20, v20
	v_cndmask_b32_e32 v20, v14, v22, vcc
	v_and_b32_e32 v23, 0xffff0000, v6
	v_and_b32_e32 v22, 0xffff0000, v7
	v_pk_mul_f32 v[6:7], v[20:21], v[22:23]
	v_bfe_u32 v20, v7, 16, 1
	v_bfe_u32 v0, v6, 16, 1
	v_add3_u32 v20, v7, v20, s16
	v_add3_u32 v0, v6, v0, s16
	v_and_b32_e32 v20, 0xffff0000, v20
	v_cmp_o_f32_e32 vcc, v7, v7
	v_and_b32_e32 v0, 0xffff0000, v0
	v_cndmask_b32_e32 v7, v14, v20, vcc
	v_cmp_o_f32_e32 vcc, v6, v6
	v_cndmask_b32_e32 v6, v14, v0, vcc
	v_pk_mul_f32 v[6:7], v[2:3], v[6:7]
	v_rndne_f32_e32 v6, v6
	v_rndne_f32_e32 v0, v7
	v_cmp_nlt_f32_e32 vcc, s17, v6
	v_cndmask_b32_e32 v7, v16, v6, vcc
	v_cmp_nlt_f32_e32 vcc, s17, v0
	v_cndmask_b32_e32 v20, v16, v0, vcc
	v_cmp_ngt_f32_e32 vcc, s18, v0
	v_cndmask_b32_e32 v0, v17, v20, vcc
	v_cmp_ngt_f32_e32 vcc, s18, v6
	v_cndmask_b32_e32 v6, v17, v7, vcc
	v_cvt_i32_f32_e32 v5, v5
	v_cvt_i32_f32_e32 v0, v0
	;; [unrolled: 1-line block ×3, first 2 shown]
	v_and_b32_e32 v7, 0xff, v25
	v_lshlrev_b32_e32 v7, 16, v7
	v_lshlrev_b32_sdwa v0, v19, v0 dst_sel:DWORD dst_unused:UNUSED_PAD src0_sel:DWORD src1_sel:BYTE_0
	v_lshl_or_b32 v6, v6, 24, v7
	v_and_b32_e32 v5, 0xff, v5
	v_or3_b32 v0, v6, v0, v5
	global_store_dword v[8:9], v0, off
	v_add_u32_e32 v0, s19, v4
	v_cmp_le_u32_e32 vcc, s51, v0
	s_orn2_b64 s[10:11], vcc, exec
	s_branch .LBB14_68
.LBB14_75:
	s_endpgm
	.section	.rodata,"a",@progbits
	.p2align	6, 0x0
	.amdhsa_kernel _ZN4vllm39rms_norm_dynamic_per_token_quant_kernelIN3c108BFloat16EaLb1EEEvPT0_PfPKT_S8_PKffiiPS6_
		.amdhsa_group_segment_fixed_size 272
		.amdhsa_private_segment_fixed_size 0
		.amdhsa_kernarg_size 320
		.amdhsa_user_sgpr_count 6
		.amdhsa_user_sgpr_private_segment_buffer 1
		.amdhsa_user_sgpr_dispatch_ptr 0
		.amdhsa_user_sgpr_queue_ptr 0
		.amdhsa_user_sgpr_kernarg_segment_ptr 1
		.amdhsa_user_sgpr_dispatch_id 0
		.amdhsa_user_sgpr_flat_scratch_init 0
		.amdhsa_user_sgpr_kernarg_preload_length 0
		.amdhsa_user_sgpr_kernarg_preload_offset 0
		.amdhsa_user_sgpr_private_segment_size 0
		.amdhsa_uses_dynamic_stack 0
		.amdhsa_system_sgpr_private_segment_wavefront_offset 0
		.amdhsa_system_sgpr_workgroup_id_x 1
		.amdhsa_system_sgpr_workgroup_id_y 0
		.amdhsa_system_sgpr_workgroup_id_z 0
		.amdhsa_system_sgpr_workgroup_info 0
		.amdhsa_system_vgpr_workitem_id 0
		.amdhsa_next_free_vgpr 37
		.amdhsa_next_free_sgpr 57
		.amdhsa_accum_offset 40
		.amdhsa_reserve_vcc 1
		.amdhsa_reserve_flat_scratch 0
		.amdhsa_float_round_mode_32 0
		.amdhsa_float_round_mode_16_64 0
		.amdhsa_float_denorm_mode_32 3
		.amdhsa_float_denorm_mode_16_64 3
		.amdhsa_dx10_clamp 1
		.amdhsa_ieee_mode 1
		.amdhsa_fp16_overflow 0
		.amdhsa_tg_split 0
		.amdhsa_exception_fp_ieee_invalid_op 0
		.amdhsa_exception_fp_denorm_src 0
		.amdhsa_exception_fp_ieee_div_zero 0
		.amdhsa_exception_fp_ieee_overflow 0
		.amdhsa_exception_fp_ieee_underflow 0
		.amdhsa_exception_fp_ieee_inexact 0
		.amdhsa_exception_int_div_zero 0
	.end_amdhsa_kernel
	.section	.text._ZN4vllm39rms_norm_dynamic_per_token_quant_kernelIN3c108BFloat16EaLb1EEEvPT0_PfPKT_S8_PKffiiPS6_,"axG",@progbits,_ZN4vllm39rms_norm_dynamic_per_token_quant_kernelIN3c108BFloat16EaLb1EEEvPT0_PfPKT_S8_PKffiiPS6_,comdat
.Lfunc_end14:
	.size	_ZN4vllm39rms_norm_dynamic_per_token_quant_kernelIN3c108BFloat16EaLb1EEEvPT0_PfPKT_S8_PKffiiPS6_, .Lfunc_end14-_ZN4vllm39rms_norm_dynamic_per_token_quant_kernelIN3c108BFloat16EaLb1EEEvPT0_PfPKT_S8_PKffiiPS6_
                                        ; -- End function
	.section	.AMDGPU.csdata,"",@progbits
; Kernel info:
; codeLenInByte = 11600
; NumSgprs: 61
; NumVgprs: 37
; NumAgprs: 0
; TotalNumVgprs: 37
; ScratchSize: 0
; MemoryBound: 0
; FloatMode: 240
; IeeeMode: 1
; LDSByteSize: 272 bytes/workgroup (compile time only)
; SGPRBlocks: 7
; VGPRBlocks: 4
; NumSGPRsForWavesPerEU: 61
; NumVGPRsForWavesPerEU: 37
; AccumOffset: 40
; Occupancy: 8
; WaveLimiterHint : 0
; COMPUTE_PGM_RSRC2:SCRATCH_EN: 0
; COMPUTE_PGM_RSRC2:USER_SGPR: 6
; COMPUTE_PGM_RSRC2:TRAP_HANDLER: 0
; COMPUTE_PGM_RSRC2:TGID_X_EN: 1
; COMPUTE_PGM_RSRC2:TGID_Y_EN: 0
; COMPUTE_PGM_RSRC2:TGID_Z_EN: 0
; COMPUTE_PGM_RSRC2:TIDIG_COMP_CNT: 0
; COMPUTE_PGM_RSRC3_GFX90A:ACCUM_OFFSET: 9
; COMPUTE_PGM_RSRC3_GFX90A:TG_SPLIT: 0
	.section	.text._ZN4vllm39rms_norm_dynamic_per_token_quant_kernelIN3c108BFloat16ENS1_13Float8_e4m3fnELb0EEEvPT0_PfPKT_S9_PKffiiPS7_,"axG",@progbits,_ZN4vllm39rms_norm_dynamic_per_token_quant_kernelIN3c108BFloat16ENS1_13Float8_e4m3fnELb0EEEvPT0_PfPKT_S9_PKffiiPS7_,comdat
	.protected	_ZN4vllm39rms_norm_dynamic_per_token_quant_kernelIN3c108BFloat16ENS1_13Float8_e4m3fnELb0EEEvPT0_PfPKT_S9_PKffiiPS7_ ; -- Begin function _ZN4vllm39rms_norm_dynamic_per_token_quant_kernelIN3c108BFloat16ENS1_13Float8_e4m3fnELb0EEEvPT0_PfPKT_S9_PKffiiPS7_
	.globl	_ZN4vllm39rms_norm_dynamic_per_token_quant_kernelIN3c108BFloat16ENS1_13Float8_e4m3fnELb0EEEvPT0_PfPKT_S9_PKffiiPS7_
	.p2align	8
	.type	_ZN4vllm39rms_norm_dynamic_per_token_quant_kernelIN3c108BFloat16ENS1_13Float8_e4m3fnELb0EEEvPT0_PfPKT_S9_PKffiiPS7_,@function
_ZN4vllm39rms_norm_dynamic_per_token_quant_kernelIN3c108BFloat16ENS1_13Float8_e4m3fnELb0EEEvPT0_PfPKT_S9_PKffiiPS7_: ; @_ZN4vllm39rms_norm_dynamic_per_token_quant_kernelIN3c108BFloat16ENS1_13Float8_e4m3fnELb0EEEvPT0_PfPKT_S9_PKffiiPS7_
; %bb.0:
	s_load_dwordx4 s[36:39], s[4:5], 0x28
	s_load_dwordx2 s[34:35], s[4:5], 0x20
	s_load_dwordx8 s[24:31], s[4:5], 0x0
	s_waitcnt lgkmcnt(0)
	s_or_b32 s0, s38, s37
	s_and_b32 s0, s0, 3
	s_cmp_lg_u32 s0, 0
	s_cbranch_scc0 .LBB15_37
; %bb.1:
	v_cmp_gt_u32_e64 s[0:1], s37, v0
	v_cmp_le_u32_e64 s[2:3], s37, v0
                                        ; implicit-def: $sgpr7
                                        ; implicit-def: $sgpr10_sgpr11
	s_and_saveexec_b64 s[8:9], s[2:3]
	s_xor_b64 s[8:9], exec, s[8:9]
; %bb.2:
	s_add_u32 s10, s4, 64
	s_addc_u32 s11, s5, 0
	s_mov_b32 s7, 0
; %bb.3:
	s_or_saveexec_b64 s[8:9], s[8:9]
	v_mov_b32_e32 v4, s7
	v_pk_mov_b32 v[2:3], s[10:11], s[10:11] op_sel:[0,1]
	v_mov_b32_e32 v1, s6
	s_xor_b64 exec, exec, s[8:9]
	s_cbranch_execz .LBB15_7
; %bb.4:
	s_ashr_i32 s7, s38, 31
	s_mul_hi_u32 s10, s38, s6
	s_mul_i32 s7, s7, s6
	s_add_i32 s11, s10, s7
	s_mul_i32 s10, s38, s6
	s_load_dword s12, s[4:5], 0x4c
	s_lshl_b64 s[10:11], s[10:11], 1
	s_add_u32 s7, s28, s10
	s_addc_u32 s15, s29, s11
	s_add_u32 s10, s4, 64
	s_addc_u32 s11, s5, 0
	s_waitcnt lgkmcnt(0)
	s_and_b32 s14, s12, 0xffff
	s_mov_b64 s[12:13], 0
	v_mov_b32_e32 v3, 0
	v_mov_b32_e32 v1, s15
	;; [unrolled: 1-line block ×4, first 2 shown]
.LBB15_5:                               ; =>This Inner Loop Header: Depth=1
	v_lshlrev_b64 v[6:7], 1, v[2:3]
	v_add_co_u32_e32 v6, vcc, s7, v6
	v_addc_co_u32_e32 v7, vcc, v1, v7, vcc
	global_load_ushort v5, v[6:7], off
	v_add_u32_e32 v2, s14, v2
	v_cmp_le_u32_e32 vcc, s37, v2
	s_or_b64 s[12:13], vcc, s[12:13]
	s_waitcnt vmcnt(0)
	v_lshlrev_b32_e32 v5, 16, v5
	v_fmac_f32_e32 v4, v5, v5
	s_andn2_b64 exec, exec, s[12:13]
	s_cbranch_execnz .LBB15_5
; %bb.6:
	s_or_b64 exec, exec, s[12:13]
	v_pk_mov_b32 v[2:3], s[10:11], s[10:11] op_sel:[0,1]
	v_mov_b32_e32 v1, s6
.LBB15_7:
	s_or_b64 exec, exec, s[8:9]
	global_load_dword v5, v[2:3], off
	s_waitcnt vmcnt(0)
	v_cmp_lt_u32_e32 vcc, v1, v5
	v_cndmask_b32_e64 v1, 18, 12, vcc
	v_add_co_u32_e32 v2, vcc, v2, v1
	v_addc_co_u32_e32 v3, vcc, 0, v3, vcc
	global_load_ushort v2, v[2:3], off
	v_mbcnt_lo_u32_b32 v1, -1, 0
	v_mbcnt_hi_u32_b32 v1, -1, v1
	v_and_b32_e32 v3, 63, v1
	v_cmp_ne_u32_e32 vcc, 63, v3
	v_addc_co_u32_e32 v6, vcc, 0, v1, vcc
	v_lshlrev_b32_e32 v14, 2, v6
	ds_bpermute_b32 v6, v14, v4
	v_cmp_gt_u32_e32 vcc, 62, v3
	v_cndmask_b32_e64 v12, 0, 1, vcc
	v_and_b32_e32 v5, 0x3c0, v0
	v_lshlrev_b32_e32 v12, 1, v12
	v_add_u32_e32 v7, 1, v1
	v_add_lshl_u32 v13, v12, v1, 2
	s_waitcnt lgkmcnt(0)
	v_add_f32_e32 v6, v4, v6
	v_add_u32_e32 v8, 2, v1
	v_add_u32_e32 v10, 4, v1
	;; [unrolled: 1-line block ×5, first 2 shown]
	v_cmp_eq_u32_e64 s[8:9], 0, v1
	s_waitcnt vmcnt(0)
	v_sub_u32_e64 v12, v2, v5 clamp
	v_cmp_lt_u32_e32 vcc, v7, v12
	v_cndmask_b32_e32 v4, v4, v6, vcc
	ds_bpermute_b32 v6, v13, v4
	v_cmp_gt_u32_e32 vcc, 60, v3
	v_cndmask_b32_e64 v15, 0, 1, vcc
	v_lshlrev_b32_e32 v15, 2, v15
	v_cmp_lt_u32_e32 vcc, v8, v12
	s_waitcnt lgkmcnt(0)
	v_add_f32_e32 v6, v4, v6
	v_add_lshl_u32 v15, v15, v1, 2
	v_cndmask_b32_e32 v4, v4, v6, vcc
	ds_bpermute_b32 v6, v15, v4
	v_cmp_gt_u32_e32 vcc, 56, v3
	v_cndmask_b32_e64 v16, 0, 1, vcc
	v_lshlrev_b32_e32 v16, 3, v16
	v_cmp_lt_u32_e32 vcc, v10, v12
	s_waitcnt lgkmcnt(0)
	v_add_f32_e32 v6, v4, v6
	v_add_lshl_u32 v16, v16, v1, 2
	;; [unrolled: 9-line block ×3, first 2 shown]
	v_cndmask_b32_e32 v4, v4, v6, vcc
	ds_bpermute_b32 v6, v18, v4
	v_cmp_gt_u32_e32 vcc, 32, v3
	v_cndmask_b32_e64 v3, 0, 1, vcc
	v_lshlrev_b32_e32 v3, 5, v3
	v_add_lshl_u32 v17, v3, v1, 2
	s_waitcnt lgkmcnt(0)
	v_add_f32_e32 v3, v4, v6
	v_cmp_lt_u32_e32 vcc, v9, v12
	v_cndmask_b32_e32 v3, v4, v3, vcc
	ds_bpermute_b32 v4, v17, v3
	v_cmp_lt_u32_e32 vcc, v19, v12
	s_waitcnt lgkmcnt(0)
	v_add_f32_e32 v4, v3, v4
	v_cndmask_b32_e32 v3, v3, v4, vcc
	s_and_saveexec_b64 s[10:11], s[8:9]
	s_cbranch_execz .LBB15_9
; %bb.8:
	v_lshrrev_b32_e32 v4, 4, v0
	v_and_b32_e32 v4, 60, v4
	ds_write_b32 v4, v3 offset:128
.LBB15_9:
	s_or_b64 exec, exec, s[10:11]
	v_cmp_gt_u32_e64 s[10:11], 16, v0
	v_lshlrev_b32_e32 v12, 2, v1
	v_and_b32_e32 v6, 15, v1
	s_waitcnt lgkmcnt(0)
	s_barrier
	s_and_saveexec_b64 s[14:15], s[10:11]
	s_cbranch_execz .LBB15_11
; %bb.10:
	ds_read_b32 v3, v12 offset:128
	v_cmp_ne_u32_e32 vcc, 15, v6
	v_addc_co_u32_e32 v4, vcc, 0, v1, vcc
	v_lshlrev_b32_e32 v4, 2, v4
	s_waitcnt lgkmcnt(0)
	ds_bpermute_b32 v4, v4, v3
	v_add_u32_e32 v2, 63, v2
	v_add_u32_e32 v20, 1, v6
	v_lshrrev_b32_e32 v2, 6, v2
	v_cmp_gt_u32_e64 s[12:13], 14, v6
	v_cmp_lt_u32_e32 vcc, v20, v2
	v_cndmask_b32_e64 v20, 0, 1, s[12:13]
	s_waitcnt lgkmcnt(0)
	v_add_f32_e32 v4, v3, v4
	v_lshlrev_b32_e32 v20, 1, v20
	v_cndmask_b32_e32 v4, v3, v4, vcc
	v_add_lshl_u32 v20, v20, v1, 2
	ds_bpermute_b32 v20, v20, v4
	v_add_u32_e32 v21, 2, v6
	v_cmp_lt_u32_e64 s[12:13], v21, v2
	v_add_u32_e32 v21, 4, v6
	s_waitcnt lgkmcnt(0)
	v_add_f32_e32 v20, v4, v20
	v_cndmask_b32_e64 v4, v4, v20, s[12:13]
	v_cmp_gt_u32_e64 s[12:13], 12, v6
	v_cndmask_b32_e64 v20, 0, 1, s[12:13]
	v_lshlrev_b32_e32 v20, 2, v20
	v_add_lshl_u32 v20, v20, v1, 2
	ds_bpermute_b32 v20, v20, v4
	v_cmp_lt_u32_e64 s[12:13], v21, v2
	v_add_u32_e32 v21, 8, v6
	s_waitcnt lgkmcnt(0)
	v_add_f32_e32 v20, v4, v20
	v_cndmask_b32_e64 v4, v4, v20, s[12:13]
	v_cmp_gt_u32_e64 s[12:13], 8, v6
	v_cndmask_b32_e64 v20, 0, 1, s[12:13]
	v_lshlrev_b32_e32 v20, 3, v20
	v_add_lshl_u32 v20, v20, v1, 2
	ds_bpermute_b32 v20, v20, v4
	v_cmp_lt_u32_e64 s[12:13], v21, v2
	s_waitcnt lgkmcnt(0)
	v_add_f32_e32 v20, v4, v20
	v_cndmask_b32_e64 v2, v4, v20, s[12:13]
	v_cndmask_b32_e32 v3, v3, v2, vcc
.LBB15_11:
	s_or_b64 exec, exec, s[14:15]
	s_mov_b32 s7, 0
	v_cmp_eq_u32_e64 s[12:13], 0, v0
	s_and_saveexec_b64 s[14:15], s[12:13]
	s_cbranch_execz .LBB15_13
; %bb.12:
	v_cvt_f32_i32_e32 v2, s37
	v_div_scale_f32 v4, s[16:17], v2, v2, v3
	v_rcp_f32_e32 v20, v4
	v_div_scale_f32 v21, vcc, v3, v2, v3
	s_mov_b32 s16, 0x800000
	v_fma_f32 v22, -v4, v20, 1.0
	v_fmac_f32_e32 v20, v22, v20
	v_mul_f32_e32 v22, v21, v20
	v_fma_f32 v23, -v4, v22, v21
	v_fmac_f32_e32 v22, v23, v20
	v_fma_f32 v4, -v4, v22, v21
	v_div_fmas_f32 v4, v4, v20, v22
	v_div_fixup_f32 v2, v4, v2, v3
	v_add_f32_e32 v2, s36, v2
	v_mul_f32_e32 v3, 0x4b800000, v2
	v_cmp_gt_f32_e32 vcc, s16, v2
	v_cndmask_b32_e32 v2, v2, v3, vcc
	v_rsq_f32_e32 v2, v2
	v_mul_f32_e32 v3, 0x45800000, v2
	v_cndmask_b32_e32 v2, v2, v3, vcc
	v_mov_b32_e32 v3, 0
	ds_write_b32 v3, v2 offset:264
.LBB15_13:
	s_or_b64 exec, exec, s[14:15]
	v_mov_b32_e32 v2, 0
	s_waitcnt lgkmcnt(0)
	s_barrier
	ds_read_b32 v4, v2 offset:264
	s_waitcnt lgkmcnt(0)
	s_barrier
	s_waitcnt lgkmcnt(0)
                                        ; implicit-def: $sgpr16
                                        ; implicit-def: $sgpr14_sgpr15
	s_and_saveexec_b64 s[18:19], s[2:3]
	s_xor_b64 s[2:3], exec, s[18:19]
; %bb.14:
	s_add_u32 s14, s4, 64
	s_addc_u32 s15, s5, 0
	s_mov_b32 s16, 0
; %bb.15:
	s_or_saveexec_b64 s[2:3], s[2:3]
	v_mov_b32_e32 v20, s16
	v_pk_mov_b32 v[2:3], s[14:15], s[14:15] op_sel:[0,1]
	s_mul_hi_u32 s33, s38, s6
	s_mul_i32 s22, s38, s6
	s_xor_b64 exec, exec, s[2:3]
	s_cbranch_execz .LBB15_19
; %bb.16:
	s_ashr_i32 s14, s38, 31
	s_mul_i32 s14, s14, s6
	s_add_i32 s23, s33, s14
	s_load_dword s16, s[4:5], 0x4c
	s_lshl_b64 s[14:15], s[22:23], 1
	s_add_u32 s18, s28, s14
	s_addc_u32 s20, s29, s15
	s_add_u32 s14, s4, 64
	s_addc_u32 s15, s5, 0
	s_waitcnt lgkmcnt(0)
	s_and_b32 s19, s16, 0xffff
	s_mov_b64 s[16:17], 0
	v_mov_b32_e32 v3, 0
	v_mov_b32_e32 v21, s20
	s_movk_i32 s20, 0x7fff
	v_mov_b32_e32 v22, s31
	v_mov_b32_e32 v23, 0x7fc00000
	v_mov_b32_e32 v20, 0
	v_mov_b32_e32 v2, v0
.LBB15_17:                              ; =>This Inner Loop Header: Depth=1
	v_lshlrev_b64 v[24:25], 1, v[2:3]
	v_add_co_u32_e32 v26, vcc, s18, v24
	v_addc_co_u32_e32 v27, vcc, v21, v25, vcc
	v_add_co_u32_e32 v24, vcc, s30, v24
	v_addc_co_u32_e32 v25, vcc, v22, v25, vcc
	global_load_ushort v28, v[26:27], off
	global_load_ushort v29, v[24:25], off
	v_add_u32_e32 v2, s19, v2
	v_cmp_le_u32_e32 vcc, s37, v2
	s_or_b64 s[16:17], vcc, s[16:17]
	v_max_f32_e32 v20, v20, v20
	s_waitcnt vmcnt(1)
	v_lshlrev_b32_e32 v24, 16, v28
	v_mul_f32_e32 v24, v4, v24
	v_bfe_u32 v26, v24, 16, 1
	v_add3_u32 v26, v24, v26, s20
	v_and_b32_e32 v26, 0xffff0000, v26
	v_cmp_o_f32_e32 vcc, v24, v24
	s_waitcnt vmcnt(0)
	v_lshlrev_b32_e32 v25, 16, v29
	v_cndmask_b32_e32 v24, v23, v26, vcc
	v_mul_f32_e32 v24, v24, v25
	v_bfe_u32 v25, v24, 16, 1
	v_add3_u32 v25, v24, v25, s20
	v_and_b32_e32 v25, 0xffff0000, v25
	v_cmp_o_f32_e32 vcc, v24, v24
	v_cndmask_b32_e64 v24, v23, |v25|, vcc
	v_max_f32_e32 v24, v24, v24
	v_max_f32_e32 v20, v20, v24
	s_andn2_b64 exec, exec, s[16:17]
	s_cbranch_execnz .LBB15_17
; %bb.18:
	s_or_b64 exec, exec, s[16:17]
	v_pk_mov_b32 v[2:3], s[14:15], s[14:15] op_sel:[0,1]
.LBB15_19:
	s_or_b64 exec, exec, s[2:3]
	global_load_dword v21, v[2:3], off
	s_waitcnt vmcnt(0)
	v_cmp_lt_u32_e32 vcc, s6, v21
	v_cndmask_b32_e64 v21, 18, 12, vcc
	v_add_co_u32_e32 v2, vcc, v2, v21
	v_addc_co_u32_e32 v3, vcc, 0, v3, vcc
	global_load_ushort v2, v[2:3], off
	ds_bpermute_b32 v3, v14, v20
	s_waitcnt lgkmcnt(0)
	v_cmp_lt_f32_e32 vcc, v20, v3
	v_cndmask_b32_e32 v3, v20, v3, vcc
	s_waitcnt vmcnt(0)
	v_sub_u32_e64 v5, v2, v5 clamp
	v_cmp_lt_u32_e32 vcc, v7, v5
	v_cndmask_b32_e32 v3, v20, v3, vcc
	ds_bpermute_b32 v7, v13, v3
	v_cmp_lt_u32_e64 s[18:19], v19, v5
	s_waitcnt lgkmcnt(0)
	v_cmp_lt_f32_e64 s[2:3], v3, v7
	v_cndmask_b32_e64 v7, v3, v7, s[2:3]
	v_cmp_lt_u32_e64 s[2:3], v8, v5
	v_cndmask_b32_e64 v3, v3, v7, s[2:3]
	ds_bpermute_b32 v7, v15, v3
	s_or_b64 s[2:3], vcc, s[2:3]
	s_waitcnt lgkmcnt(0)
	v_cmp_lt_f32_e64 s[14:15], v3, v7
	v_cndmask_b32_e64 v7, v3, v7, s[14:15]
	v_cmp_lt_u32_e64 s[14:15], v10, v5
	v_cndmask_b32_e64 v3, v3, v7, s[14:15]
	ds_bpermute_b32 v7, v16, v3
	s_or_b64 s[2:3], s[14:15], s[2:3]
	s_waitcnt lgkmcnt(0)
	v_cmp_lt_f32_e64 s[16:17], v3, v7
	v_cndmask_b32_e64 v7, v3, v7, s[16:17]
	v_cmp_lt_u32_e64 s[16:17], v11, v5
	v_cndmask_b32_e64 v3, v3, v7, s[16:17]
	ds_bpermute_b32 v7, v18, v3
	s_or_b64 s[2:3], s[16:17], s[2:3]
	;; [unrolled: 7-line block ×3, first 2 shown]
	s_waitcnt lgkmcnt(0)
	v_cmp_lt_f32_e32 vcc, v3, v5
	s_and_b64 vcc, s[18:19], vcc
	v_cndmask_b32_e32 v3, v3, v5, vcc
	s_or_b64 vcc, s[18:19], s[2:3]
	v_cndmask_b32_e32 v3, v20, v3, vcc
	s_and_saveexec_b64 s[2:3], s[8:9]
	s_cbranch_execz .LBB15_21
; %bb.20:
	v_lshrrev_b32_e32 v5, 4, v0
	v_and_b32_e32 v5, 60, v5
	ds_write_b32 v5, v3 offset:192
.LBB15_21:
	s_or_b64 exec, exec, s[2:3]
	s_waitcnt lgkmcnt(0)
	s_barrier
	s_and_saveexec_b64 s[14:15], s[10:11]
	s_cbranch_execz .LBB15_23
; %bb.22:
	ds_read_b32 v3, v12 offset:192
	v_cmp_ne_u32_e32 vcc, 15, v6
	v_addc_co_u32_e32 v5, vcc, 0, v1, vcc
	v_lshlrev_b32_e32 v5, 2, v5
	s_waitcnt lgkmcnt(0)
	ds_bpermute_b32 v5, v5, v3
	v_add_u32_e32 v2, 63, v2
	v_add_u32_e32 v7, 1, v6
	v_lshrrev_b32_e32 v2, 6, v2
	v_cmp_gt_u32_e64 s[2:3], 14, v6
	s_waitcnt lgkmcnt(0)
	v_cmp_lt_f32_e32 vcc, v3, v5
	v_cndmask_b32_e32 v5, v3, v5, vcc
	v_cmp_lt_u32_e32 vcc, v7, v2
	v_cndmask_b32_e64 v7, 0, 1, s[2:3]
	v_lshlrev_b32_e32 v7, 1, v7
	v_cndmask_b32_e32 v5, v3, v5, vcc
	v_add_lshl_u32 v7, v7, v1, 2
	ds_bpermute_b32 v7, v7, v5
	v_add_u32_e32 v8, 2, v6
	s_waitcnt lgkmcnt(0)
	v_cmp_lt_f32_e64 s[2:3], v5, v7
	v_cndmask_b32_e64 v7, v5, v7, s[2:3]
	v_cmp_lt_u32_e64 s[2:3], v8, v2
	v_cndmask_b32_e64 v5, v5, v7, s[2:3]
	v_cmp_gt_u32_e64 s[2:3], 12, v6
	v_cndmask_b32_e64 v7, 0, 1, s[2:3]
	v_lshlrev_b32_e32 v7, 2, v7
	v_add_lshl_u32 v7, v7, v1, 2
	ds_bpermute_b32 v7, v7, v5
	v_add_u32_e32 v8, 4, v6
	s_waitcnt lgkmcnt(0)
	v_cmp_lt_f32_e64 s[2:3], v5, v7
	v_cndmask_b32_e64 v7, v5, v7, s[2:3]
	v_cmp_lt_u32_e64 s[2:3], v8, v2
	v_cndmask_b32_e64 v5, v5, v7, s[2:3]
	v_cmp_gt_u32_e64 s[2:3], 8, v6
	v_cndmask_b32_e64 v7, 0, 1, s[2:3]
	v_lshlrev_b32_e32 v7, 3, v7
	v_add_lshl_u32 v1, v7, v1, 2
	ds_bpermute_b32 v1, v1, v5
	v_add_u32_e32 v6, 8, v6
	v_cmp_lt_u32_e64 s[2:3], v6, v2
	s_waitcnt lgkmcnt(0)
	v_cmp_lt_f32_e64 s[8:9], v5, v1
	s_and_b64 s[2:3], s[2:3], s[8:9]
	v_cndmask_b32_e64 v1, v5, v1, s[2:3]
	v_cndmask_b32_e32 v3, v3, v1, vcc
.LBB15_23:
	s_or_b64 exec, exec, s[14:15]
	s_and_saveexec_b64 s[2:3], s[12:13]
	s_cbranch_execz .LBB15_27
; %bb.24:
	s_cmp_eq_u64 s[34:35], 0
	s_cbranch_scc1 .LBB15_26
; %bb.25:
	s_load_dword s8, s[34:35], 0x0
	v_max_f32_e32 v1, v3, v3
	s_waitcnt lgkmcnt(0)
	v_max_f32_e64 v2, s8, s8
	v_min_f32_e32 v3, v1, v2
.LBB15_26:
	s_mov_b32 s10, 0x43e00000
	v_div_scale_f32 v1, s[8:9], s10, s10, v3
	v_rcp_f32_e32 v2, v1
	v_div_scale_f32 v5, vcc, v3, s10, v3
	s_lshl_b64 s[8:9], s[6:7], 2
	v_fma_f32 v6, -v1, v2, 1.0
	v_fmac_f32_e32 v2, v6, v2
	v_mul_f32_e32 v6, v5, v2
	v_fma_f32 v7, -v1, v6, v5
	v_fmac_f32_e32 v6, v7, v2
	v_fma_f32 v1, -v1, v6, v5
	v_div_fmas_f32 v1, v1, v2, v6
	v_div_fixup_f32 v1, v1, s10, v3
	s_add_u32 s8, s26, s8
	v_max_f32_e32 v1, 0x36924925, v1
	v_mov_b32_e32 v2, 0
	s_addc_u32 s9, s27, s9
	ds_write_b32 v2, v1 offset:268
	global_store_dword v2, v1, s[8:9]
.LBB15_27:
	s_or_b64 exec, exec, s[2:3]
	s_waitcnt lgkmcnt(0)
	s_barrier
	s_and_saveexec_b64 s[2:3], s[0:1]
	s_cbranch_execz .LBB15_36
; %bb.28:
	s_ashr_i32 s0, s37, 31
	s_mul_hi_u32 s1, s37, s6
	s_mul_i32 s0, s0, s6
	s_add_i32 s8, s1, s0
	s_ashr_i32 s0, s38, 31
	s_mul_i32 s0, s0, s6
	s_add_i32 s23, s33, s0
	v_mov_b32_e32 v3, 0
	s_lshl_b64 s[0:1], s[22:23], 1
	s_load_dword s10, s[4:5], 0x4c
	ds_read_b32 v1, v3 offset:268
	s_add_u32 s7, s28, s0
	s_mul_i32 s9, s37, s6
	s_addc_u32 s11, s29, s1
	s_add_u32 s12, s24, s9
	s_addc_u32 s8, s25, s8
	s_waitcnt lgkmcnt(0)
	s_and_b32 s13, s10, 0xffff
	s_mov_b64 s[0:1], 0
	v_mov_b32_e32 v5, s11
	s_movk_i32 s14, 0x7fff
	v_mov_b32_e32 v6, s31
	v_mov_b32_e32 v7, 0x7fc00000
	s_mov_b32 s15, 0x43f00000
	s_mov_b32 s16, 0x3c7fffff
	;; [unrolled: 1-line block ×4, first 2 shown]
	s_movk_i32 s19, 0x80
	v_mov_b32_e32 v8, s8
	v_mov_b32_e32 v2, v0
	s_branch .LBB15_31
.LBB15_29:                              ;   in Loop: Header=BB15_31 Depth=1
	s_or_b64 exec, exec, s[10:11]
.LBB15_30:                              ;   in Loop: Header=BB15_31 Depth=1
	s_or_b64 exec, exec, s[8:9]
	v_lshrrev_b32_e32 v9, 24, v9
	v_and_or_b32 v9, v9, s19, v10
	v_add_co_u32_e32 v10, vcc, s12, v2
	v_addc_co_u32_e32 v11, vcc, 0, v8, vcc
	v_add_u32_e32 v2, s13, v2
	v_cmp_le_u32_e32 vcc, s37, v2
	s_or_b64 s[0:1], vcc, s[0:1]
	global_store_byte v[10:11], v9, off
	s_andn2_b64 exec, exec, s[0:1]
	s_cbranch_execz .LBB15_36
.LBB15_31:                              ; =>This Inner Loop Header: Depth=1
	v_lshlrev_b64 v[10:11], 1, v[2:3]
	v_add_co_u32_e32 v12, vcc, s7, v10
	v_addc_co_u32_e32 v13, vcc, v5, v11, vcc
	global_load_ushort v9, v[12:13], off
	v_add_co_u32_e32 v10, vcc, s30, v10
	v_addc_co_u32_e32 v11, vcc, v6, v11, vcc
	global_load_ushort v10, v[10:11], off
	s_waitcnt vmcnt(1)
	v_lshlrev_b32_e32 v9, 16, v9
	v_mul_f32_e32 v9, v4, v9
	v_bfe_u32 v11, v9, 16, 1
	v_add3_u32 v11, v9, v11, s14
	v_and_b32_e32 v11, 0xffff0000, v11
	v_cmp_o_f32_e32 vcc, v9, v9
	s_waitcnt vmcnt(0)
	v_lshlrev_b32_e32 v10, 16, v10
	v_cndmask_b32_e32 v9, v7, v11, vcc
	v_mul_f32_e32 v9, v9, v10
	v_bfe_u32 v10, v9, 16, 1
	v_add3_u32 v10, v9, v10, s14
	v_and_b32_e32 v10, 0xffff0000, v10
	v_cmp_o_f32_e32 vcc, v9, v9
	v_cndmask_b32_e32 v9, v7, v10, vcc
	v_div_scale_f32 v10, s[8:9], v1, v1, v9
	v_rcp_f32_e32 v11, v10
	v_div_scale_f32 v12, vcc, v9, v1, v9
	v_fma_f32 v13, -v10, v11, 1.0
	v_fmac_f32_e32 v11, v13, v11
	v_mul_f32_e32 v13, v12, v11
	v_fma_f32 v14, -v10, v13, v12
	v_fmac_f32_e32 v13, v14, v11
	v_fma_f32 v10, -v10, v13, v12
	v_div_fmas_f32 v10, v10, v11, v13
	v_div_fixup_f32 v9, v10, v1, v9
	v_min_f32_e32 v9, 0x43e00000, v9
	v_max_f32_e32 v9, 0xc3e00000, v9
	v_and_b32_e32 v11, 0x7fffffff, v9
	v_cmp_gt_u32_e32 vcc, s15, v11
	v_mov_b32_e32 v10, 0x7f
	s_and_saveexec_b64 s[8:9], vcc
	s_cbranch_execz .LBB15_30
; %bb.32:                               ;   in Loop: Header=BB15_31 Depth=1
	v_cmp_lt_u32_e32 vcc, s16, v11
                                        ; implicit-def: $vgpr10
	s_and_saveexec_b64 s[10:11], vcc
	s_xor_b64 s[10:11], exec, s[10:11]
; %bb.33:                               ;   in Loop: Header=BB15_31 Depth=1
	v_bfe_u32 v10, v9, 20, 1
	v_add3_u32 v10, v9, v10, s17
	v_lshrrev_b32_e32 v10, 20, v10
; %bb.34:                               ;   in Loop: Header=BB15_31 Depth=1
	s_andn2_saveexec_b64 s[10:11], s[10:11]
	s_cbranch_execz .LBB15_29
; %bb.35:                               ;   in Loop: Header=BB15_31 Depth=1
	v_add_f32_e64 v10, |v9|, s18
	s_branch .LBB15_29
.LBB15_36:
	s_or_b64 exec, exec, s[2:3]
	s_branch .LBB15_177
.LBB15_37:
	s_cbranch_execz .LBB15_177
; %bb.38:
	s_ashr_i32 s0, s38, 31
	s_mul_hi_u32 s1, s38, s6
	s_mul_i32 s0, s0, s6
	s_add_i32 s1, s1, s0
	s_mul_i32 s0, s38, s6
	s_lshl_b64 s[0:1], s[0:1], 1
	s_load_dword s18, s[4:5], 0x40
	s_add_u32 s33, s28, s0
	s_addc_u32 s48, s29, s1
	s_ashr_i32 s49, s37, 2
	s_add_u32 s19, s4, 64
	s_mov_b32 s7, 0
	v_cmp_gt_u32_e64 s[0:1], s49, v0
	s_addc_u32 s20, s5, 0
	v_mov_b32_e32 v10, 0
	s_and_saveexec_b64 s[2:3], s[0:1]
	s_cbranch_execz .LBB15_48
; %bb.39:
	s_waitcnt lgkmcnt(0)
	s_cmp_lt_u32 s6, s18
	s_cselect_b32 s4, 12, 18
	s_add_u32 s4, s19, s4
	s_addc_u32 s5, s20, 0
	v_mov_b32_e32 v3, 0
	global_load_ushort v1, v3, s[4:5]
	s_mov_b64 s[4:5], 0
	v_mov_b32_e32 v8, s48
	v_mov_b32_e32 v2, v0
	;; [unrolled: 1-line block ×3, first 2 shown]
                                        ; implicit-def: $sgpr8_sgpr9
	s_waitcnt vmcnt(0)
	v_add_u32_e32 v4, v1, v1
	v_mul_lo_u32 v9, v1, 3
	v_lshlrev_b32_e32 v11, 1, v1
	v_add_u32_e32 v12, v4, v1
	s_branch .LBB15_43
.LBB15_40:                              ;   in Loop: Header=BB15_43 Depth=1
	s_or_b64 exec, exec, s[14:15]
	s_orn2_b64 s[14:15], s[16:17], exec
.LBB15_41:                              ;   in Loop: Header=BB15_43 Depth=1
	s_or_b64 exec, exec, s[12:13]
	s_andn2_b64 s[8:9], s[8:9], exec
	s_and_b64 s[12:13], s[14:15], exec
	s_or_b64 s[8:9], s[8:9], s[12:13]
.LBB15_42:                              ;   in Loop: Header=BB15_43 Depth=1
	s_or_b64 exec, exec, s[10:11]
	s_and_b64 s[10:11], exec, s[8:9]
	s_or_b64 s[4:5], s[10:11], s[4:5]
	s_andn2_b64 exec, exec, s[4:5]
	s_cbranch_execz .LBB15_47
.LBB15_43:                              ; =>This Inner Loop Header: Depth=1
	v_lshlrev_b64 v[4:5], 3, v[2:3]
	v_add_co_u32_e32 v4, vcc, s33, v4
	v_addc_co_u32_e32 v5, vcc, v8, v5, vcc
	global_load_dwordx2 v[6:7], v[4:5], off
	v_add_u32_e32 v4, v2, v1
	v_cmp_gt_u32_e32 vcc, s49, v4
	s_or_b64 s[8:9], s[8:9], exec
	s_waitcnt vmcnt(0)
	v_lshlrev_b32_e32 v13, 16, v6
	v_and_b32_e32 v5, 0xffff0000, v6
	v_alignbit_b32 v6, v7, v6, 16
	v_fmac_f32_e32 v10, v13, v13
	v_and_b32_e32 v6, 0xffff0000, v6
	v_fmac_f32_e32 v10, v5, v5
	v_and_b32_e32 v7, 0xffff0000, v7
	v_fmac_f32_e32 v10, v6, v6
	v_fmac_f32_e32 v10, v7, v7
	s_and_saveexec_b64 s[10:11], vcc
	s_cbranch_execz .LBB15_42
; %bb.44:                               ;   in Loop: Header=BB15_43 Depth=1
	v_mov_b32_e32 v5, v3
	v_lshlrev_b64 v[6:7], 3, v[4:5]
	v_add_co_u32_e32 v6, vcc, s33, v6
	v_addc_co_u32_e32 v7, vcc, v8, v7, vcc
	global_load_dwordx2 v[14:15], v[6:7], off
	v_add_u32_e32 v6, v11, v2
	v_cmp_gt_u32_e32 vcc, s49, v6
	s_mov_b64 s[14:15], -1
	s_waitcnt vmcnt(0)
	v_lshlrev_b32_e32 v7, 16, v14
	v_and_b32_e32 v5, 0xffff0000, v14
	v_alignbit_b32 v13, v15, v14, 16
	v_fmac_f32_e32 v10, v7, v7
	v_and_b32_e32 v13, 0xffff0000, v13
	v_fmac_f32_e32 v10, v5, v5
	v_and_b32_e32 v14, 0xffff0000, v15
	v_fmac_f32_e32 v10, v13, v13
	v_fmac_f32_e32 v10, v14, v14
	s_and_saveexec_b64 s[12:13], vcc
	s_cbranch_execz .LBB15_41
; %bb.45:                               ;   in Loop: Header=BB15_43 Depth=1
	v_mov_b32_e32 v7, v3
	v_lshlrev_b64 v[6:7], 3, v[6:7]
	v_add_co_u32_e32 v6, vcc, s33, v6
	v_addc_co_u32_e32 v7, vcc, v8, v7, vcc
	global_load_dwordx2 v[6:7], v[6:7], off
	v_add_u32_e32 v2, v9, v2
	v_cmp_gt_u32_e32 vcc, s49, v2
	s_mov_b64 s[16:17], -1
	s_waitcnt vmcnt(0)
	v_lshlrev_b32_e32 v13, 16, v6
	v_and_b32_e32 v5, 0xffff0000, v6
	v_alignbit_b32 v6, v7, v6, 16
	v_fmac_f32_e32 v10, v13, v13
	v_and_b32_e32 v6, 0xffff0000, v6
	v_fmac_f32_e32 v10, v5, v5
	v_and_b32_e32 v7, 0xffff0000, v7
	v_fmac_f32_e32 v10, v6, v6
	v_fmac_f32_e32 v10, v7, v7
	s_and_saveexec_b64 s[14:15], vcc
	s_xor_b64 s[14:15], exec, s[14:15]
	s_cbranch_execz .LBB15_40
; %bb.46:                               ;   in Loop: Header=BB15_43 Depth=1
	v_lshlrev_b64 v[6:7], 3, v[2:3]
	v_add_co_u32_e32 v6, vcc, s33, v6
	v_addc_co_u32_e32 v7, vcc, v8, v7, vcc
	global_load_dwordx2 v[6:7], v[6:7], off
	v_add_u32_e32 v2, v12, v4
	v_cmp_le_u32_e32 vcc, s49, v2
	s_orn2_b64 s[16:17], vcc, exec
	s_waitcnt vmcnt(0)
	v_lshlrev_b32_e32 v5, 16, v6
	v_and_b32_e32 v4, 0xffff0000, v6
	v_alignbit_b32 v6, v7, v6, 16
	v_fmac_f32_e32 v10, v5, v5
	v_and_b32_e32 v6, 0xffff0000, v6
	v_fmac_f32_e32 v10, v4, v4
	v_and_b32_e32 v7, 0xffff0000, v7
	v_fmac_f32_e32 v10, v6, v6
	v_fmac_f32_e32 v10, v7, v7
	s_branch .LBB15_40
.LBB15_47:
	s_or_b64 exec, exec, s[4:5]
.LBB15_48:
	s_or_b64 exec, exec, s[2:3]
	s_waitcnt lgkmcnt(0)
	s_cmp_lt_u32 s6, s18
	s_cselect_b32 s2, 12, 18
	s_add_u32 s2, s19, s2
	s_addc_u32 s3, s20, 0
	v_mov_b32_e32 v1, 0
	global_load_ushort v2, v1, s[2:3]
	v_mbcnt_lo_u32_b32 v1, -1, 0
	v_mbcnt_hi_u32_b32 v1, -1, v1
	v_and_b32_e32 v4, 63, v1
	v_cmp_ne_u32_e32 vcc, 63, v4
	v_addc_co_u32_e32 v8, vcc, 0, v1, vcc
	v_lshlrev_b32_e32 v8, 2, v8
	ds_bpermute_b32 v11, v8, v10
	v_and_b32_e32 v3, 0x3c0, v0
	v_cmp_gt_u32_e32 vcc, 62, v4
	v_add_u32_e32 v5, 1, v1
	v_cndmask_b32_e64 v9, 0, 1, vcc
	v_lshlrev_b32_e32 v9, 1, v9
	s_waitcnt lgkmcnt(0)
	v_add_f32_e32 v11, v10, v11
	v_add_lshl_u32 v9, v9, v1, 2
	v_cmp_gt_u32_e32 vcc, 60, v4
	v_add_u32_e32 v6, 2, v1
	v_add_u32_e32 v7, 4, v1
	;; [unrolled: 1-line block ×4, first 2 shown]
	v_cmp_eq_u32_e64 s[14:15], 0, v1
	s_waitcnt vmcnt(0)
	v_sub_u32_e64 v3, v2, v3 clamp
	v_cmp_lt_u32_e64 s[2:3], v5, v3
	v_cndmask_b32_e64 v5, v10, v11, s[2:3]
	ds_bpermute_b32 v10, v9, v5
	v_cndmask_b32_e64 v11, 0, 1, vcc
	v_lshlrev_b32_e32 v11, 2, v11
	v_cmp_lt_u32_e64 s[4:5], v6, v3
	v_add_lshl_u32 v11, v11, v1, 2
	s_waitcnt lgkmcnt(0)
	v_add_f32_e32 v10, v5, v10
	v_cndmask_b32_e64 v5, v5, v10, s[4:5]
	ds_bpermute_b32 v6, v11, v5
	v_cmp_gt_u32_e32 vcc, 56, v4
	v_cndmask_b32_e64 v10, 0, 1, vcc
	v_lshlrev_b32_e32 v10, 3, v10
	v_cmp_lt_u32_e64 s[8:9], v7, v3
	s_waitcnt lgkmcnt(0)
	v_add_f32_e32 v6, v5, v6
	v_add_lshl_u32 v12, v10, v1, 2
	v_cndmask_b32_e64 v5, v5, v6, s[8:9]
	ds_bpermute_b32 v6, v12, v5
	v_cmp_gt_u32_e32 vcc, 48, v4
	v_cndmask_b32_e64 v7, 0, 1, vcc
	v_lshlrev_b32_e32 v7, 4, v7
	v_cmp_lt_u32_e64 s[10:11], v14, v3
	s_waitcnt lgkmcnt(0)
	v_add_f32_e32 v6, v5, v6
	v_add_lshl_u32 v13, v7, v1, 2
	v_cndmask_b32_e64 v5, v5, v6, s[10:11]
	ds_bpermute_b32 v6, v13, v5
	v_cmp_gt_u32_e32 vcc, 32, v4
	v_cndmask_b32_e64 v4, 0, 1, vcc
	v_lshlrev_b32_e32 v4, 5, v4
	v_add_lshl_u32 v14, v4, v1, 2
	s_waitcnt lgkmcnt(0)
	v_add_f32_e32 v4, v5, v6
	v_cmp_lt_u32_e64 s[12:13], v15, v3
	v_cndmask_b32_e64 v4, v5, v4, s[12:13]
	ds_bpermute_b32 v5, v14, v4
	v_add_u32_e32 v6, 32, v1
	v_readfirstlane_b32 s50, v2
	v_cmp_lt_u32_e64 s[20:21], v6, v3
	s_waitcnt lgkmcnt(0)
	v_add_f32_e32 v2, v4, v5
	v_cndmask_b32_e64 v2, v4, v2, s[20:21]
	s_and_saveexec_b64 s[16:17], s[14:15]
	s_cbranch_execz .LBB15_50
; %bb.49:
	v_lshrrev_b32_e32 v3, 4, v0
	v_and_b32_e32 v3, 60, v3
	ds_write_b32 v3, v2
.LBB15_50:
	s_or_b64 exec, exec, s[16:17]
	v_cmp_gt_u32_e64 s[16:17], 16, v0
	s_waitcnt lgkmcnt(0)
	s_barrier
	s_and_saveexec_b64 s[22:23], s[16:17]
	s_cbranch_execz .LBB15_52
; %bb.51:
	v_lshlrev_b32_e32 v2, 2, v1
	ds_read_b32 v2, v2
	v_and_b32_e32 v3, 15, v1
	v_cmp_ne_u32_e32 vcc, 15, v3
	v_addc_co_u32_e32 v4, vcc, 0, v1, vcc
	v_lshlrev_b32_e32 v4, 2, v4
	s_waitcnt lgkmcnt(0)
	ds_bpermute_b32 v4, v4, v2
	s_add_i32 s18, s50, 63
	s_lshr_b32 s28, s18, 6
	v_add_u32_e32 v5, 1, v3
	v_cmp_gt_u32_e64 s[18:19], 14, v3
	v_cmp_gt_u32_e32 vcc, s28, v5
	v_cndmask_b32_e64 v5, 0, 1, s[18:19]
	s_waitcnt lgkmcnt(0)
	v_add_f32_e32 v4, v2, v4
	v_lshlrev_b32_e32 v5, 1, v5
	v_cndmask_b32_e32 v4, v2, v4, vcc
	v_add_lshl_u32 v5, v5, v1, 2
	ds_bpermute_b32 v5, v5, v4
	v_add_u32_e32 v6, 2, v3
	v_cmp_gt_u32_e64 s[18:19], s28, v6
	v_add_u32_e32 v6, 4, v3
	s_waitcnt lgkmcnt(0)
	v_add_f32_e32 v5, v4, v5
	v_cndmask_b32_e64 v4, v4, v5, s[18:19]
	v_cmp_gt_u32_e64 s[18:19], 12, v3
	v_cndmask_b32_e64 v5, 0, 1, s[18:19]
	v_lshlrev_b32_e32 v5, 2, v5
	v_add_lshl_u32 v5, v5, v1, 2
	ds_bpermute_b32 v5, v5, v4
	v_cmp_gt_u32_e64 s[18:19], s28, v6
	s_waitcnt lgkmcnt(0)
	v_add_f32_e32 v5, v4, v5
	v_cndmask_b32_e64 v4, v4, v5, s[18:19]
	v_cmp_gt_u32_e64 s[18:19], 8, v3
	v_cndmask_b32_e64 v5, 0, 1, s[18:19]
	v_lshlrev_b32_e32 v5, 3, v5
	v_add_lshl_u32 v5, v5, v1, 2
	ds_bpermute_b32 v5, v5, v4
	v_add_u32_e32 v3, 8, v3
	v_cmp_gt_u32_e64 s[18:19], s28, v3
	s_waitcnt lgkmcnt(0)
	v_add_f32_e32 v5, v4, v5
	v_cndmask_b32_e64 v3, v4, v5, s[18:19]
	v_cndmask_b32_e32 v2, v2, v3, vcc
.LBB15_52:
	s_or_b64 exec, exec, s[22:23]
	v_cmp_eq_u32_e64 s[18:19], 0, v0
	s_and_saveexec_b64 s[22:23], s[18:19]
	s_cbranch_execz .LBB15_54
; %bb.53:
	v_cvt_f32_i32_e32 v3, s37
	v_div_scale_f32 v4, s[28:29], v3, v3, v2
	v_rcp_f32_e32 v5, v4
	v_div_scale_f32 v6, vcc, v2, v3, v2
	s_mov_b32 s28, 0x800000
	v_fma_f32 v7, -v4, v5, 1.0
	v_fmac_f32_e32 v5, v7, v5
	v_mul_f32_e32 v7, v6, v5
	v_fma_f32 v10, -v4, v7, v6
	v_fmac_f32_e32 v7, v10, v5
	v_fma_f32 v4, -v4, v7, v6
	v_div_fmas_f32 v4, v4, v5, v7
	v_div_fixup_f32 v2, v4, v3, v2
	v_add_f32_e32 v2, s36, v2
	v_mul_f32_e32 v3, 0x4b800000, v2
	v_cmp_gt_f32_e32 vcc, s28, v2
	v_cndmask_b32_e32 v2, v2, v3, vcc
	v_rsq_f32_e32 v2, v2
	v_mul_f32_e32 v3, 0x45800000, v2
	v_cndmask_b32_e32 v2, v2, v3, vcc
	v_mov_b32_e32 v3, 0
	ds_write_b32 v3, v2 offset:256
.LBB15_54:
	s_or_b64 exec, exec, s[22:23]
	v_mov_b32_e32 v15, 0
	s_waitcnt lgkmcnt(0)
	s_barrier
	ds_read_b32 v10, v15 offset:256
	s_and_saveexec_b64 s[28:29], s[0:1]
	s_cbranch_execz .LBB15_64
; %bb.55:
	s_add_i32 s53, s50, s50
	s_mul_i32 s36, s50, 3
	s_lshl_b32 s51, s50, 1
	s_mov_b64 s[38:39], 0
	v_mov_b32_e32 v3, 0
	v_mov_b32_e32 v16, s48
	;; [unrolled: 1-line block ×3, first 2 shown]
	s_movk_i32 s52, 0x7fff
	v_mov_b32_e32 v18, 0x7fc00000
	s_add_i32 s53, s53, s50
	v_mov_b32_e32 v15, 0
	v_mov_b32_e32 v2, v0
                                        ; implicit-def: $sgpr40_sgpr41
	s_branch .LBB15_59
.LBB15_56:                              ;   in Loop: Header=BB15_59 Depth=1
	s_or_b64 exec, exec, s[46:47]
	s_orn2_b64 s[22:23], s[22:23], exec
.LBB15_57:                              ;   in Loop: Header=BB15_59 Depth=1
	s_or_b64 exec, exec, s[44:45]
	s_andn2_b64 s[40:41], s[40:41], exec
	s_and_b64 s[22:23], s[22:23], exec
	s_or_b64 s[40:41], s[40:41], s[22:23]
.LBB15_58:                              ;   in Loop: Header=BB15_59 Depth=1
	s_or_b64 exec, exec, s[42:43]
	s_and_b64 s[22:23], exec, s[40:41]
	s_or_b64 s[38:39], s[22:23], s[38:39]
	s_andn2_b64 exec, exec, s[38:39]
	s_cbranch_execz .LBB15_63
.LBB15_59:                              ; =>This Inner Loop Header: Depth=1
	v_lshlrev_b64 v[4:5], 3, v[2:3]
	v_add_co_u32_e32 v6, vcc, s33, v4
	v_addc_co_u32_e32 v7, vcc, v16, v5, vcc
	global_load_dwordx2 v[6:7], v[6:7], off
	v_add_co_u32_e32 v4, vcc, s30, v4
	v_addc_co_u32_e32 v5, vcc, v17, v5, vcc
	global_load_dwordx2 v[20:21], v[4:5], off
	v_add_u32_e32 v4, s50, v2
	v_cmp_gt_u32_e32 vcc, s49, v4
	s_or_b64 s[40:41], s[40:41], exec
	s_waitcnt vmcnt(1)
	v_lshlrev_b32_e32 v22, 16, v6
	v_and_b32_e32 v5, 0xffff0000, v6
	s_waitcnt lgkmcnt(0)
	v_mul_f32_e32 v22, v10, v22
	v_alignbit_b32 v6, v7, v6, 16
	v_and_b32_e32 v7, 0xffff0000, v7
	v_mul_f32_e32 v5, v10, v5
	v_bfe_u32 v24, v22, 16, 1
	v_and_b32_e32 v6, 0xffff0000, v6
	v_mul_f32_e32 v7, v10, v7
	v_bfe_u32 v25, v5, 16, 1
	v_add3_u32 v24, v22, v24, s52
	v_mul_f32_e32 v6, v10, v6
	v_bfe_u32 v26, v7, 16, 1
	v_add3_u32 v25, v5, v25, s52
	v_and_b32_e32 v24, 0xffff0000, v24
	v_cmp_o_f32_e64 s[22:23], v22, v22
	s_waitcnt vmcnt(0)
	v_lshlrev_b32_e32 v23, 16, v20
	v_bfe_u32 v27, v6, 16, 1
	v_add3_u32 v26, v7, v26, s52
	v_and_b32_e32 v25, 0xffff0000, v25
	v_cndmask_b32_e64 v22, v18, v24, s[22:23]
	v_cmp_o_f32_e64 s[22:23], v5, v5
	v_and_b32_e32 v19, 0xffff0000, v20
	v_add3_u32 v27, v6, v27, s52
	v_and_b32_e32 v26, 0xffff0000, v26
	v_cndmask_b32_e64 v5, v18, v25, s[22:23]
	v_cmp_o_f32_e64 s[22:23], v7, v7
	v_mul_f32_e32 v22, v22, v23
	v_alignbit_b32 v20, v21, v20, 16
	v_and_b32_e32 v21, 0xffff0000, v21
	v_and_b32_e32 v24, 0xffff0000, v27
	v_cndmask_b32_e64 v7, v18, v26, s[22:23]
	v_mul_f32_e32 v5, v5, v19
	v_cmp_o_f32_e64 s[22:23], v6, v6
	v_bfe_u32 v19, v22, 16, 1
	v_and_b32_e32 v20, 0xffff0000, v20
	v_cndmask_b32_e64 v6, v18, v24, s[22:23]
	v_mul_f32_e32 v7, v7, v21
	v_bfe_u32 v21, v5, 16, 1
	v_add3_u32 v19, v22, v19, s52
	v_mul_f32_e32 v6, v6, v20
	v_bfe_u32 v20, v7, 16, 1
	v_add3_u32 v21, v5, v21, s52
	v_and_b32_e32 v19, 0xffff0000, v19
	v_cmp_o_f32_e64 s[22:23], v22, v22
	v_bfe_u32 v23, v6, 16, 1
	v_add3_u32 v20, v7, v20, s52
	v_and_b32_e32 v21, 0xffff0000, v21
	v_cndmask_b32_e64 v19, v18, |v19|, s[22:23]
	v_cmp_o_f32_e64 s[22:23], v5, v5
	v_add3_u32 v23, v6, v23, s52
	v_and_b32_e32 v20, 0xffff0000, v20
	v_cndmask_b32_e64 v5, v18, |v21|, s[22:23]
	v_cmp_o_f32_e64 s[22:23], v7, v7
	v_and_b32_e32 v21, 0xffff0000, v23
	v_cndmask_b32_e64 v7, v18, |v20|, s[22:23]
	v_cmp_o_f32_e64 s[22:23], v6, v6
	v_max3_f32 v5, v15, v19, v5
	v_cndmask_b32_e64 v6, v18, |v21|, s[22:23]
	v_max3_f32 v15, v5, v6, v7
	s_and_saveexec_b64 s[42:43], vcc
	s_cbranch_execz .LBB15_58
; %bb.60:                               ;   in Loop: Header=BB15_59 Depth=1
	v_mov_b32_e32 v5, v3
	v_lshlrev_b64 v[6:7], 3, v[4:5]
	v_add_co_u32_e32 v20, vcc, s33, v6
	v_addc_co_u32_e32 v21, vcc, v16, v7, vcc
	global_load_dwordx2 v[20:21], v[20:21], off
	v_add_co_u32_e32 v6, vcc, s30, v6
	v_addc_co_u32_e32 v7, vcc, v17, v7, vcc
	global_load_dwordx2 v[22:23], v[6:7], off
	v_add_u32_e32 v6, s51, v2
	v_cmp_gt_u32_e32 vcc, s49, v6
	s_waitcnt vmcnt(1)
	v_lshlrev_b32_e32 v19, 16, v20
	v_and_b32_e32 v5, 0xffff0000, v20
	v_mul_f32_e32 v19, v10, v19
	v_alignbit_b32 v20, v21, v20, 16
	v_and_b32_e32 v21, 0xffff0000, v21
	v_mul_f32_e32 v5, v10, v5
	v_bfe_u32 v25, v19, 16, 1
	v_mul_f32_e32 v21, v10, v21
	v_bfe_u32 v26, v5, 16, 1
	v_add3_u32 v25, v19, v25, s52
	v_and_b32_e32 v20, 0xffff0000, v20
	v_bfe_u32 v27, v21, 16, 1
	v_add3_u32 v26, v5, v26, s52
	v_and_b32_e32 v25, 0xffff0000, v25
	v_cmp_o_f32_e64 s[22:23], v19, v19
	v_mul_f32_e32 v20, v10, v20
	v_add3_u32 v27, v21, v27, s52
	v_and_b32_e32 v26, 0xffff0000, v26
	v_cndmask_b32_e64 v19, v18, v25, s[22:23]
	v_cmp_o_f32_e64 s[22:23], v5, v5
	s_waitcnt vmcnt(0)
	v_lshlrev_b32_e32 v24, 16, v22
	v_bfe_u32 v28, v20, 16, 1
	v_and_b32_e32 v27, 0xffff0000, v27
	v_cndmask_b32_e64 v5, v18, v26, s[22:23]
	v_cmp_o_f32_e64 s[22:23], v21, v21
	v_and_b32_e32 v7, 0xffff0000, v22
	v_alignbit_b32 v22, v23, v22, 16
	v_and_b32_e32 v23, 0xffff0000, v23
	v_add3_u32 v28, v20, v28, s52
	v_cndmask_b32_e64 v21, v18, v27, s[22:23]
	v_mul_f32_e32 v19, v19, v24
	v_and_b32_e32 v25, 0xffff0000, v28
	v_mul_f32_e32 v5, v5, v7
	v_cmp_o_f32_e64 s[22:23], v20, v20
	v_mul_f32_e32 v20, v21, v23
	v_bfe_u32 v21, v19, 16, 1
	v_and_b32_e32 v22, 0xffff0000, v22
	v_cndmask_b32_e64 v7, v18, v25, s[22:23]
	v_bfe_u32 v23, v5, 16, 1
	v_add3_u32 v21, v19, v21, s52
	v_mul_f32_e32 v7, v7, v22
	v_bfe_u32 v22, v20, 16, 1
	v_add3_u32 v23, v5, v23, s52
	v_and_b32_e32 v21, 0xffff0000, v21
	v_cmp_o_f32_e64 s[22:23], v19, v19
	v_bfe_u32 v24, v7, 16, 1
	v_add3_u32 v22, v20, v22, s52
	v_and_b32_e32 v23, 0xffff0000, v23
	v_cndmask_b32_e64 v19, v18, |v21|, s[22:23]
	v_cmp_o_f32_e64 s[22:23], v5, v5
	v_add3_u32 v24, v7, v24, s52
	v_and_b32_e32 v22, 0xffff0000, v22
	v_cndmask_b32_e64 v5, v18, |v23|, s[22:23]
	v_cmp_o_f32_e64 s[22:23], v20, v20
	v_and_b32_e32 v21, 0xffff0000, v24
	v_cndmask_b32_e64 v20, v18, |v22|, s[22:23]
	v_cmp_o_f32_e64 s[22:23], v7, v7
	v_max3_f32 v5, v15, v19, v5
	v_cndmask_b32_e64 v7, v18, |v21|, s[22:23]
	v_max3_f32 v15, v5, v7, v20
	s_mov_b64 s[22:23], -1
	s_and_saveexec_b64 s[44:45], vcc
	s_cbranch_execz .LBB15_57
; %bb.61:                               ;   in Loop: Header=BB15_59 Depth=1
	v_mov_b32_e32 v7, v3
	v_lshlrev_b64 v[6:7], 3, v[6:7]
	v_add_co_u32_e32 v20, vcc, s33, v6
	v_addc_co_u32_e32 v21, vcc, v16, v7, vcc
	global_load_dwordx2 v[20:21], v[20:21], off
	v_add_co_u32_e32 v6, vcc, s30, v6
	v_addc_co_u32_e32 v7, vcc, v17, v7, vcc
	global_load_dwordx2 v[6:7], v[6:7], off
	v_add_u32_e32 v2, s36, v2
	v_cmp_gt_u32_e32 vcc, s49, v2
	s_waitcnt vmcnt(1)
	v_lshlrev_b32_e32 v22, 16, v20
	v_and_b32_e32 v5, 0xffff0000, v20
	v_mul_f32_e32 v22, v10, v22
	v_alignbit_b32 v20, v21, v20, 16
	v_and_b32_e32 v21, 0xffff0000, v21
	v_mul_f32_e32 v5, v10, v5
	v_bfe_u32 v24, v22, 16, 1
	v_and_b32_e32 v20, 0xffff0000, v20
	v_mul_f32_e32 v21, v10, v21
	v_bfe_u32 v25, v5, 16, 1
	v_add3_u32 v24, v22, v24, s52
	v_mul_f32_e32 v20, v10, v20
	v_bfe_u32 v26, v21, 16, 1
	v_add3_u32 v25, v5, v25, s52
	v_and_b32_e32 v24, 0xffff0000, v24
	v_cmp_o_f32_e64 s[22:23], v22, v22
	s_waitcnt vmcnt(0)
	v_lshlrev_b32_e32 v23, 16, v6
	v_bfe_u32 v27, v20, 16, 1
	v_add3_u32 v26, v21, v26, s52
	v_and_b32_e32 v25, 0xffff0000, v25
	v_cndmask_b32_e64 v22, v18, v24, s[22:23]
	v_cmp_o_f32_e64 s[22:23], v5, v5
	v_and_b32_e32 v19, 0xffff0000, v6
	v_add3_u32 v27, v20, v27, s52
	v_and_b32_e32 v26, 0xffff0000, v26
	v_cndmask_b32_e64 v5, v18, v25, s[22:23]
	v_cmp_o_f32_e64 s[22:23], v21, v21
	v_mul_f32_e32 v22, v22, v23
	v_alignbit_b32 v6, v7, v6, 16
	v_and_b32_e32 v7, 0xffff0000, v7
	v_and_b32_e32 v24, 0xffff0000, v27
	v_cndmask_b32_e64 v21, v18, v26, s[22:23]
	v_mul_f32_e32 v5, v5, v19
	v_cmp_o_f32_e64 s[22:23], v20, v20
	v_bfe_u32 v20, v22, 16, 1
	v_and_b32_e32 v6, 0xffff0000, v6
	v_cndmask_b32_e64 v19, v18, v24, s[22:23]
	v_mul_f32_e32 v7, v21, v7
	v_bfe_u32 v21, v5, 16, 1
	v_add3_u32 v20, v22, v20, s52
	v_mul_f32_e32 v6, v19, v6
	v_bfe_u32 v19, v7, 16, 1
	v_add3_u32 v21, v5, v21, s52
	v_and_b32_e32 v20, 0xffff0000, v20
	v_cmp_o_f32_e64 s[22:23], v22, v22
	v_bfe_u32 v23, v6, 16, 1
	v_add3_u32 v19, v7, v19, s52
	v_and_b32_e32 v21, 0xffff0000, v21
	v_cndmask_b32_e64 v20, v18, |v20|, s[22:23]
	v_cmp_o_f32_e64 s[22:23], v5, v5
	v_add3_u32 v23, v6, v23, s52
	v_and_b32_e32 v19, 0xffff0000, v19
	v_cndmask_b32_e64 v5, v18, |v21|, s[22:23]
	v_cmp_o_f32_e64 s[22:23], v7, v7
	v_and_b32_e32 v21, 0xffff0000, v23
	v_cndmask_b32_e64 v7, v18, |v19|, s[22:23]
	v_cmp_o_f32_e64 s[22:23], v6, v6
	v_max3_f32 v5, v15, v20, v5
	v_cndmask_b32_e64 v6, v18, |v21|, s[22:23]
	v_max3_f32 v15, v5, v6, v7
	s_mov_b64 s[22:23], -1
	s_and_saveexec_b64 s[46:47], vcc
	s_xor_b64 s[46:47], exec, s[46:47]
	s_cbranch_execz .LBB15_56
; %bb.62:                               ;   in Loop: Header=BB15_59 Depth=1
	v_lshlrev_b64 v[6:7], 3, v[2:3]
	v_mov_b32_e32 v2, s48
	v_add_co_u32_e32 v20, vcc, s33, v6
	v_addc_co_u32_e32 v21, vcc, v2, v7, vcc
	global_load_dwordx2 v[20:21], v[20:21], off
	v_mov_b32_e32 v2, s31
	v_add_co_u32_e32 v6, vcc, s30, v6
	v_addc_co_u32_e32 v7, vcc, v2, v7, vcc
	global_load_dwordx2 v[6:7], v[6:7], off
	v_add_u32_e32 v2, s53, v4
	v_cmp_le_u32_e32 vcc, s49, v2
	s_waitcnt vmcnt(1)
	v_lshlrev_b32_e32 v19, 16, v20
	v_and_b32_e32 v4, 0xffff0000, v20
	v_mul_f32_e32 v19, v10, v19
	v_alignbit_b32 v20, v21, v20, 16
	v_and_b32_e32 v21, 0xffff0000, v21
	v_mul_f32_e32 v4, v10, v4
	v_bfe_u32 v23, v19, 16, 1
	v_and_b32_e32 v20, 0xffff0000, v20
	v_mul_f32_e32 v21, v10, v21
	v_bfe_u32 v24, v4, 16, 1
	v_add3_u32 v23, v19, v23, s52
	v_mul_f32_e32 v20, v10, v20
	v_bfe_u32 v25, v21, 16, 1
	v_add3_u32 v24, v4, v24, s52
	v_and_b32_e32 v23, 0xffff0000, v23
	v_cmp_o_f32_e64 s[22:23], v19, v19
	s_waitcnt vmcnt(0)
	v_lshlrev_b32_e32 v22, 16, v6
	v_bfe_u32 v26, v20, 16, 1
	v_add3_u32 v25, v21, v25, s52
	v_and_b32_e32 v24, 0xffff0000, v24
	v_cndmask_b32_e64 v19, v18, v23, s[22:23]
	v_cmp_o_f32_e64 s[22:23], v4, v4
	v_and_b32_e32 v5, 0xffff0000, v6
	v_add3_u32 v26, v20, v26, s52
	v_and_b32_e32 v25, 0xffff0000, v25
	v_cndmask_b32_e64 v4, v18, v24, s[22:23]
	v_cmp_o_f32_e64 s[22:23], v21, v21
	v_mul_f32_e32 v19, v19, v22
	v_alignbit_b32 v6, v7, v6, 16
	v_and_b32_e32 v7, 0xffff0000, v7
	v_and_b32_e32 v23, 0xffff0000, v26
	v_cndmask_b32_e64 v21, v18, v25, s[22:23]
	v_mul_f32_e32 v4, v4, v5
	v_cmp_o_f32_e64 s[22:23], v20, v20
	v_bfe_u32 v20, v19, 16, 1
	v_and_b32_e32 v6, 0xffff0000, v6
	v_cndmask_b32_e64 v5, v18, v23, s[22:23]
	v_mul_f32_e32 v7, v21, v7
	v_bfe_u32 v21, v4, 16, 1
	v_add3_u32 v20, v19, v20, s52
	v_mul_f32_e32 v5, v5, v6
	v_bfe_u32 v6, v7, 16, 1
	v_add3_u32 v21, v4, v21, s52
	v_and_b32_e32 v20, 0xffff0000, v20
	v_cmp_o_f32_e64 s[22:23], v19, v19
	v_bfe_u32 v22, v5, 16, 1
	v_add3_u32 v6, v7, v6, s52
	v_and_b32_e32 v21, 0xffff0000, v21
	v_cndmask_b32_e64 v19, v18, |v20|, s[22:23]
	v_cmp_o_f32_e64 s[22:23], v4, v4
	v_add3_u32 v22, v5, v22, s52
	v_and_b32_e32 v6, 0xffff0000, v6
	v_cndmask_b32_e64 v4, v18, |v21|, s[22:23]
	v_cmp_o_f32_e64 s[22:23], v7, v7
	v_and_b32_e32 v20, 0xffff0000, v22
	v_cndmask_b32_e64 v6, v18, |v6|, s[22:23]
	v_cmp_o_f32_e64 s[22:23], v5, v5
	v_max3_f32 v4, v15, v19, v4
	v_cndmask_b32_e64 v5, v18, |v20|, s[22:23]
	v_max3_f32 v15, v4, v5, v6
	s_orn2_b64 s[22:23], vcc, exec
	s_branch .LBB15_56
.LBB15_63:
	s_or_b64 exec, exec, s[38:39]
.LBB15_64:
	s_or_b64 exec, exec, s[28:29]
	ds_bpermute_b32 v2, v8, v15
	s_waitcnt lgkmcnt(0)
	v_cmp_lt_f32_e32 vcc, v15, v2
	v_cndmask_b32_e32 v2, v15, v2, vcc
	v_cndmask_b32_e64 v2, v15, v2, s[2:3]
	ds_bpermute_b32 v3, v9, v2
	s_or_b64 s[2:3], s[2:3], s[4:5]
	s_or_b64 s[2:3], s[8:9], s[2:3]
	;; [unrolled: 1-line block ×4, first 2 shown]
	s_waitcnt lgkmcnt(0)
	v_cmp_lt_f32_e32 vcc, v2, v3
	v_cndmask_b32_e32 v3, v2, v3, vcc
	v_cndmask_b32_e64 v2, v2, v3, s[4:5]
	ds_bpermute_b32 v3, v11, v2
	s_waitcnt lgkmcnt(0)
	v_cmp_lt_f32_e32 vcc, v2, v3
	v_cndmask_b32_e32 v3, v2, v3, vcc
	v_cndmask_b32_e64 v2, v2, v3, s[8:9]
	ds_bpermute_b32 v3, v12, v2
	;; [unrolled: 5-line block ×4, first 2 shown]
	s_waitcnt lgkmcnt(0)
	v_cmp_lt_f32_e32 vcc, v2, v3
	s_and_b64 vcc, s[20:21], vcc
	v_cndmask_b32_e32 v2, v2, v3, vcc
	s_or_b64 vcc, s[20:21], s[2:3]
	v_cndmask_b32_e32 v2, v15, v2, vcc
	s_and_saveexec_b64 s[2:3], s[14:15]
	s_cbranch_execz .LBB15_66
; %bb.65:
	v_lshrrev_b32_e32 v3, 4, v0
	v_and_b32_e32 v3, 60, v3
	ds_write_b32 v3, v2 offset:64
.LBB15_66:
	s_or_b64 exec, exec, s[2:3]
	s_waitcnt lgkmcnt(0)
	s_barrier
	s_and_saveexec_b64 s[8:9], s[16:17]
	s_cbranch_execz .LBB15_68
; %bb.67:
	v_lshlrev_b32_e32 v2, 2, v1
	ds_read_b32 v2, v2 offset:64
	v_and_b32_e32 v3, 15, v1
	v_cmp_ne_u32_e32 vcc, 15, v3
	v_addc_co_u32_e32 v4, vcc, 0, v1, vcc
	v_lshlrev_b32_e32 v4, 2, v4
	s_waitcnt lgkmcnt(0)
	ds_bpermute_b32 v4, v4, v2
	s_add_i32 s2, s50, 63
	s_lshr_b32 s4, s2, 6
	v_add_u32_e32 v5, 1, v3
	v_cmp_gt_u32_e64 s[2:3], 14, v3
	s_waitcnt lgkmcnt(0)
	v_cmp_lt_f32_e32 vcc, v2, v4
	v_cndmask_b32_e32 v4, v2, v4, vcc
	v_cmp_gt_u32_e32 vcc, s4, v5
	v_cndmask_b32_e64 v5, 0, 1, s[2:3]
	v_lshlrev_b32_e32 v5, 1, v5
	v_cndmask_b32_e32 v4, v2, v4, vcc
	v_add_lshl_u32 v5, v5, v1, 2
	ds_bpermute_b32 v5, v5, v4
	v_add_u32_e32 v6, 2, v3
	s_waitcnt lgkmcnt(0)
	v_cmp_lt_f32_e64 s[2:3], v4, v5
	v_cndmask_b32_e64 v5, v4, v5, s[2:3]
	v_cmp_gt_u32_e64 s[2:3], s4, v6
	v_cndmask_b32_e64 v4, v4, v5, s[2:3]
	v_cmp_gt_u32_e64 s[2:3], 12, v3
	v_cndmask_b32_e64 v5, 0, 1, s[2:3]
	v_lshlrev_b32_e32 v5, 2, v5
	v_add_lshl_u32 v5, v5, v1, 2
	ds_bpermute_b32 v5, v5, v4
	v_add_u32_e32 v6, 4, v3
	s_waitcnt lgkmcnt(0)
	v_cmp_lt_f32_e64 s[2:3], v4, v5
	v_cndmask_b32_e64 v5, v4, v5, s[2:3]
	v_cmp_gt_u32_e64 s[2:3], s4, v6
	v_cndmask_b32_e64 v4, v4, v5, s[2:3]
	v_cmp_gt_u32_e64 s[2:3], 8, v3
	v_cndmask_b32_e64 v5, 0, 1, s[2:3]
	v_lshlrev_b32_e32 v5, 3, v5
	v_add_lshl_u32 v1, v5, v1, 2
	ds_bpermute_b32 v1, v1, v4
	v_add_u32_e32 v3, 8, v3
	v_cmp_gt_u32_e64 s[2:3], s4, v3
	s_waitcnt lgkmcnt(0)
	v_cmp_lt_f32_e64 s[4:5], v4, v1
	s_and_b64 s[2:3], s[2:3], s[4:5]
	v_cndmask_b32_e64 v1, v4, v1, s[2:3]
	v_cndmask_b32_e32 v2, v2, v1, vcc
.LBB15_68:
	s_or_b64 exec, exec, s[8:9]
	s_and_saveexec_b64 s[2:3], s[18:19]
	s_cbranch_execz .LBB15_72
; %bb.69:
	s_cmp_eq_u64 s[34:35], 0
	s_cbranch_scc1 .LBB15_71
; %bb.70:
	s_load_dword s4, s[34:35], 0x0
	v_max_f32_e32 v1, v2, v2
	s_waitcnt lgkmcnt(0)
	v_max_f32_e64 v2, s4, s4
	v_min_f32_e32 v2, v1, v2
.LBB15_71:
	s_mov_b32 s8, 0x43e00000
	v_div_scale_f32 v1, s[4:5], s8, s8, v2
	v_rcp_f32_e32 v3, v1
	v_div_scale_f32 v4, vcc, v2, s8, v2
	s_lshl_b64 s[4:5], s[6:7], 2
	v_fma_f32 v5, -v1, v3, 1.0
	v_fmac_f32_e32 v3, v5, v3
	v_mul_f32_e32 v5, v4, v3
	v_fma_f32 v6, -v1, v5, v4
	v_fmac_f32_e32 v5, v6, v3
	v_fma_f32 v1, -v1, v5, v4
	v_div_fmas_f32 v1, v1, v3, v5
	v_div_fixup_f32 v1, v1, s8, v2
	s_add_u32 s4, s26, s4
	v_max_f32_e32 v1, 0x36924925, v1
	v_mov_b32_e32 v2, 0
	s_addc_u32 s5, s27, s5
	ds_write_b32 v2, v1 offset:260
	global_store_dword v2, v1, s[4:5]
.LBB15_72:
	s_or_b64 exec, exec, s[2:3]
	s_waitcnt lgkmcnt(0)
	s_barrier
	s_and_saveexec_b64 s[2:3], s[0:1]
	s_cbranch_execz .LBB15_177
; %bb.73:
	v_mov_b32_e32 v1, 0
	ds_read_b32 v11, v1 offset:260
	s_ashr_i32 s0, s37, 31
	s_mul_hi_u32 s1, s37, s6
	s_mul_i32 s0, s0, s6
	s_add_i32 s1, s1, s0
	s_mul_i32 s0, s37, s6
	s_add_u32 s12, s24, s0
	s_addc_u32 s13, s25, s1
	s_mul_i32 s14, s50, 3
	s_lshl_b32 s15, s50, 1
	s_mov_b64 s[0:1], 0
	v_mov_b32_e32 v12, s48
	v_mov_b32_e32 v13, s31
	s_movk_i32 s16, 0x7fff
	v_mov_b32_e32 v14, 0x7fc00000
	s_mov_b32 s17, 0x43f00000
	s_mov_b32 s18, 0x3c7fffff
	;; [unrolled: 1-line block ×4, first 2 shown]
	s_movk_i32 s21, 0x80
	s_movk_i32 s22, 0xff
	s_branch .LBB15_79
.LBB15_74:                              ;   in Loop: Header=BB15_79 Depth=1
	s_or_b64 exec, exec, s[10:11]
.LBB15_75:                              ;   in Loop: Header=BB15_79 Depth=1
	s_or_b64 exec, exec, s[8:9]
	v_and_b32_sdwa v7, v16, s21 dst_sel:DWORD dst_unused:UNUSED_PAD src0_sel:BYTE_3 src1_sel:DWORD
	v_lshlrev_b64 v[16:17], 2, v[0:1]
	v_mov_b32_e32 v0, s13
	v_add_co_u32_e32 v16, vcc, s12, v16
	v_and_or_b32 v4, v4, s22, v7
	v_and_b32_sdwa v15, v15, s21 dst_sel:DWORD dst_unused:UNUSED_PAD src0_sel:BYTE_3 src1_sel:DWORD
	v_addc_co_u32_e32 v17, vcc, v0, v17, vcc
	v_lshlrev_b32_e32 v0, 24, v6
	v_and_b32_e32 v5, 0x80000000, v5
	v_lshlrev_b32_e32 v4, 16, v4
	v_lshrrev_b32_e32 v9, 24, v9
	v_or3_b32 v0, v5, v0, v4
	v_and_or_b32 v3, v3, s22, v15
	v_and_b32_e32 v4, 0xff, v8
	v_lshlrev_b32_e32 v3, 8, v3
	v_and_or_b32 v4, v9, s21, v4
	s_add_i32 s8, s50, s50
	v_or3_b32 v0, v0, v3, v4
	s_add_i32 s8, s8, s50
	global_store_dword v[16:17], v0, off
	v_add_u32_e32 v0, s8, v2
	v_cmp_le_u32_e32 vcc, s49, v0
	s_orn2_b64 s[8:9], vcc, exec
.LBB15_76:                              ;   in Loop: Header=BB15_79 Depth=1
	s_or_b64 exec, exec, s[6:7]
	s_orn2_b64 s[6:7], s[8:9], exec
.LBB15_77:                              ;   in Loop: Header=BB15_79 Depth=1
	s_or_b64 exec, exec, s[4:5]
	s_orn2_b64 s[4:5], s[6:7], exec
.LBB15_78:                              ;   in Loop: Header=BB15_79 Depth=1
	s_or_b64 exec, exec, s[2:3]
	s_and_b64 s[2:3], exec, s[4:5]
	s_or_b64 s[0:1], s[2:3], s[0:1]
	s_andn2_b64 exec, exec, s[0:1]
	s_cbranch_execz .LBB15_177
.LBB15_79:                              ; =>This Inner Loop Header: Depth=1
	v_lshlrev_b64 v[2:3], 3, v[0:1]
	v_add_co_u32_e32 v4, vcc, s33, v2
	v_addc_co_u32_e32 v5, vcc, v12, v3, vcc
	global_load_dwordx2 v[4:5], v[4:5], off
	v_add_co_u32_e32 v2, vcc, s30, v2
	v_addc_co_u32_e32 v3, vcc, v13, v3, vcc
	global_load_dwordx2 v[2:3], v[2:3], off
	s_waitcnt vmcnt(1)
	v_lshlrev_b32_e32 v6, 16, v4
	v_mul_f32_e32 v6, v10, v6
	v_bfe_u32 v8, v6, 16, 1
	v_add3_u32 v8, v6, v8, s16
	v_and_b32_e32 v8, 0xffff0000, v8
	v_cmp_o_f32_e32 vcc, v6, v6
	s_waitcnt vmcnt(0)
	v_lshlrev_b32_e32 v7, 16, v2
	v_cndmask_b32_e32 v6, v14, v8, vcc
	v_mul_f32_e32 v6, v6, v7
	v_bfe_u32 v7, v6, 16, 1
	v_add3_u32 v7, v6, v7, s16
	v_and_b32_e32 v7, 0xffff0000, v7
	v_cmp_o_f32_e32 vcc, v6, v6
	v_cndmask_b32_e32 v7, v14, v7, vcc
	s_waitcnt lgkmcnt(0)
	v_div_scale_f32 v8, s[2:3], v11, v11, v7
	v_rcp_f32_e32 v9, v8
	v_div_scale_f32 v15, vcc, v7, v11, v7
	v_mov_b32_e32 v6, 0x7f
	v_fma_f32 v16, -v8, v9, 1.0
	v_fmac_f32_e32 v9, v16, v9
	v_mul_f32_e32 v16, v15, v9
	v_fma_f32 v17, -v8, v16, v15
	v_fmac_f32_e32 v16, v17, v9
	v_fma_f32 v8, -v8, v16, v15
	v_div_fmas_f32 v8, v8, v9, v16
	v_div_fixup_f32 v7, v8, v11, v7
	v_min_f32_e32 v7, 0x43e00000, v7
	v_max_f32_e32 v8, 0xc3e00000, v7
	v_and_b32_e32 v9, 0x7fffffff, v8
	v_cmp_gt_u32_e32 vcc, s17, v9
	v_mov_b32_e32 v7, 0x7f
	s_and_saveexec_b64 s[2:3], vcc
	s_cbranch_execz .LBB15_85
; %bb.80:                               ;   in Loop: Header=BB15_79 Depth=1
	v_cmp_lt_u32_e32 vcc, s18, v9
                                        ; implicit-def: $vgpr7
	s_and_saveexec_b64 s[4:5], vcc
	s_xor_b64 s[4:5], exec, s[4:5]
; %bb.81:                               ;   in Loop: Header=BB15_79 Depth=1
	v_bfe_u32 v7, v8, 20, 1
	v_add3_u32 v7, v8, v7, s19
	v_lshrrev_b32_e32 v7, 20, v7
; %bb.82:                               ;   in Loop: Header=BB15_79 Depth=1
	s_andn2_saveexec_b64 s[4:5], s[4:5]
; %bb.83:                               ;   in Loop: Header=BB15_79 Depth=1
	v_add_f32_e64 v7, |v8|, s20
; %bb.84:                               ;   in Loop: Header=BB15_79 Depth=1
	s_or_b64 exec, exec, s[4:5]
.LBB15_85:                              ;   in Loop: Header=BB15_79 Depth=1
	s_or_b64 exec, exec, s[2:3]
	v_and_b32_e32 v9, 0xffff0000, v4
	v_mul_f32_e32 v9, v10, v9
	v_bfe_u32 v16, v9, 16, 1
	v_add3_u32 v16, v9, v16, s16
	v_and_b32_e32 v16, 0xffff0000, v16
	v_cmp_o_f32_e32 vcc, v9, v9
	v_and_b32_e32 v15, 0xffff0000, v2
	v_cndmask_b32_e32 v9, v14, v16, vcc
	v_mul_f32_e32 v9, v9, v15
	v_bfe_u32 v15, v9, 16, 1
	v_add3_u32 v15, v9, v15, s16
	v_and_b32_e32 v15, 0xffff0000, v15
	v_cmp_o_f32_e32 vcc, v9, v9
	v_cndmask_b32_e32 v9, v14, v15, vcc
	v_div_scale_f32 v15, s[2:3], v11, v11, v9
	v_rcp_f32_e32 v16, v15
	v_fma_f32 v17, -v15, v16, 1.0
	v_fmac_f32_e32 v16, v17, v16
	v_div_scale_f32 v17, vcc, v9, v11, v9
	v_mul_f32_e32 v18, v17, v16
	v_fma_f32 v19, -v15, v18, v17
	v_fmac_f32_e32 v18, v19, v16
	v_fma_f32 v15, -v15, v18, v17
	v_div_fmas_f32 v15, v15, v16, v18
	v_div_fixup_f32 v9, v15, v11, v9
	v_min_f32_e32 v9, 0x43e00000, v9
	v_max_f32_e32 v9, 0xc3e00000, v9
	v_and_b32_e32 v15, 0x7fffffff, v9
	v_cmp_gt_u32_e32 vcc, s17, v15
	s_and_saveexec_b64 s[2:3], vcc
	s_cbranch_execz .LBB15_91
; %bb.86:                               ;   in Loop: Header=BB15_79 Depth=1
	v_cmp_lt_u32_e32 vcc, s18, v15
                                        ; implicit-def: $vgpr6
	s_and_saveexec_b64 s[4:5], vcc
	s_xor_b64 s[4:5], exec, s[4:5]
; %bb.87:                               ;   in Loop: Header=BB15_79 Depth=1
	v_bfe_u32 v6, v9, 20, 1
	v_add3_u32 v6, v9, v6, s19
	v_lshrrev_b32_e32 v6, 20, v6
; %bb.88:                               ;   in Loop: Header=BB15_79 Depth=1
	s_andn2_saveexec_b64 s[4:5], s[4:5]
; %bb.89:                               ;   in Loop: Header=BB15_79 Depth=1
	v_add_f32_e64 v6, |v9|, s20
; %bb.90:                               ;   in Loop: Header=BB15_79 Depth=1
	s_or_b64 exec, exec, s[4:5]
.LBB15_91:                              ;   in Loop: Header=BB15_79 Depth=1
	s_or_b64 exec, exec, s[2:3]
	v_alignbit_b32 v4, v5, v4, 16
	v_and_b32_e32 v4, 0xffff0000, v4
	v_mul_f32_e32 v4, v10, v4
	v_bfe_u32 v15, v4, 16, 1
	v_add3_u32 v15, v4, v15, s16
	v_and_b32_e32 v15, 0xffff0000, v15
	v_cmp_o_f32_e32 vcc, v4, v4
	v_alignbit_b32 v2, v3, v2, 16
	v_cndmask_b32_e32 v4, v14, v15, vcc
	v_and_b32_e32 v2, 0xffff0000, v2
	v_mul_f32_e32 v2, v4, v2
	v_bfe_u32 v4, v2, 16, 1
	v_add3_u32 v4, v2, v4, s16
	v_and_b32_e32 v4, 0xffff0000, v4
	v_cmp_o_f32_e32 vcc, v2, v2
	v_cndmask_b32_e32 v2, v14, v4, vcc
	v_div_scale_f32 v4, s[2:3], v11, v11, v2
	v_rcp_f32_e32 v15, v4
	v_fma_f32 v16, -v4, v15, 1.0
	v_fmac_f32_e32 v15, v16, v15
	v_div_scale_f32 v16, vcc, v2, v11, v2
	v_mul_f32_e32 v17, v16, v15
	v_fma_f32 v18, -v4, v17, v16
	v_fmac_f32_e32 v17, v18, v15
	v_fma_f32 v4, -v4, v17, v16
	v_div_fmas_f32 v4, v4, v15, v17
	v_div_fixup_f32 v2, v4, v11, v2
	v_min_f32_e32 v2, 0x43e00000, v2
	v_max_f32_e32 v15, 0xc3e00000, v2
	v_and_b32_e32 v16, 0x7fffffff, v15
	v_cmp_gt_u32_e32 vcc, s17, v16
	v_mov_b32_e32 v4, 0x7f
	v_mov_b32_e32 v2, 0x7f
	s_and_saveexec_b64 s[2:3], vcc
	s_cbranch_execz .LBB15_97
; %bb.92:                               ;   in Loop: Header=BB15_79 Depth=1
	v_cmp_lt_u32_e32 vcc, s18, v16
                                        ; implicit-def: $vgpr2
	s_and_saveexec_b64 s[4:5], vcc
	s_xor_b64 s[4:5], exec, s[4:5]
; %bb.93:                               ;   in Loop: Header=BB15_79 Depth=1
	v_bfe_u32 v2, v15, 20, 1
	v_add3_u32 v2, v15, v2, s19
	v_lshrrev_b32_e32 v2, 20, v2
; %bb.94:                               ;   in Loop: Header=BB15_79 Depth=1
	s_andn2_saveexec_b64 s[4:5], s[4:5]
; %bb.95:                               ;   in Loop: Header=BB15_79 Depth=1
	v_add_f32_e64 v2, |v15|, s20
; %bb.96:                               ;   in Loop: Header=BB15_79 Depth=1
	s_or_b64 exec, exec, s[4:5]
.LBB15_97:                              ;   in Loop: Header=BB15_79 Depth=1
	s_or_b64 exec, exec, s[2:3]
	v_and_b32_e32 v5, 0xffff0000, v5
	v_mul_f32_e32 v5, v10, v5
	v_bfe_u32 v16, v5, 16, 1
	v_add3_u32 v16, v5, v16, s16
	v_and_b32_e32 v16, 0xffff0000, v16
	v_cmp_o_f32_e32 vcc, v5, v5
	v_cndmask_b32_e32 v5, v14, v16, vcc
	v_and_b32_e32 v3, 0xffff0000, v3
	v_mul_f32_e32 v3, v5, v3
	v_bfe_u32 v5, v3, 16, 1
	v_add3_u32 v5, v3, v5, s16
	v_and_b32_e32 v5, 0xffff0000, v5
	v_cmp_o_f32_e32 vcc, v3, v3
	v_cndmask_b32_e32 v3, v14, v5, vcc
	v_div_scale_f32 v5, s[2:3], v11, v11, v3
	v_rcp_f32_e32 v16, v5
	v_fma_f32 v17, -v5, v16, 1.0
	v_fmac_f32_e32 v16, v17, v16
	v_div_scale_f32 v17, vcc, v3, v11, v3
	v_mul_f32_e32 v18, v17, v16
	v_fma_f32 v19, -v5, v18, v17
	v_fmac_f32_e32 v18, v19, v16
	v_fma_f32 v5, -v5, v18, v17
	v_div_fmas_f32 v5, v5, v16, v18
	v_div_fixup_f32 v3, v5, v11, v3
	v_min_f32_e32 v3, 0x43e00000, v3
	v_max_f32_e32 v3, 0xc3e00000, v3
	v_and_b32_e32 v5, 0x7fffffff, v3
	v_cmp_gt_u32_e32 vcc, s17, v5
	s_and_saveexec_b64 s[2:3], vcc
	s_cbranch_execz .LBB15_103
; %bb.98:                               ;   in Loop: Header=BB15_79 Depth=1
	v_cmp_lt_u32_e32 vcc, s18, v5
                                        ; implicit-def: $vgpr4
	s_and_saveexec_b64 s[4:5], vcc
	s_xor_b64 s[4:5], exec, s[4:5]
; %bb.99:                               ;   in Loop: Header=BB15_79 Depth=1
	v_bfe_u32 v4, v3, 20, 1
	v_add3_u32 v4, v3, v4, s19
	v_lshrrev_b32_e32 v4, 20, v4
; %bb.100:                              ;   in Loop: Header=BB15_79 Depth=1
	s_andn2_saveexec_b64 s[4:5], s[4:5]
; %bb.101:                              ;   in Loop: Header=BB15_79 Depth=1
	v_add_f32_e64 v4, |v3|, s20
; %bb.102:                              ;   in Loop: Header=BB15_79 Depth=1
	s_or_b64 exec, exec, s[4:5]
.LBB15_103:                             ;   in Loop: Header=BB15_79 Depth=1
	s_or_b64 exec, exec, s[2:3]
	v_and_b32_sdwa v5, v15, s21 dst_sel:DWORD dst_unused:UNUSED_PAD src0_sel:BYTE_3 src1_sel:DWORD
	v_and_or_b32 v2, v2, s22, v5
	v_and_b32_sdwa v15, v9, s21 dst_sel:DWORD dst_unused:UNUSED_PAD src0_sel:BYTE_3 src1_sel:DWORD
	v_lshlrev_b32_e32 v4, 24, v4
	v_and_b32_e32 v3, 0x80000000, v3
	v_lshlrev_b32_e32 v2, 16, v2
	v_lshrrev_b32_e32 v16, 24, v8
	v_lshlrev_b64 v[8:9], 2, v[0:1]
	v_or3_b32 v2, v3, v4, v2
	v_and_or_b32 v3, v6, s22, v15
	v_and_b32_e32 v4, 0xff, v7
	v_mov_b32_e32 v17, s13
	v_add_co_u32_e32 v8, vcc, s12, v8
	v_lshlrev_b32_e32 v3, 8, v3
	v_and_or_b32 v4, v16, s21, v4
	v_addc_co_u32_e32 v9, vcc, v17, v9, vcc
	v_or3_b32 v2, v2, v3, v4
	global_store_dword v[8:9], v2, off
	v_add_u32_e32 v2, s50, v0
	v_cmp_gt_u32_e32 vcc, s49, v2
	s_mov_b64 s[4:5], -1
	s_and_saveexec_b64 s[2:3], vcc
	s_cbranch_execz .LBB15_78
; %bb.104:                              ;   in Loop: Header=BB15_79 Depth=1
	v_mov_b32_e32 v3, v1
	v_lshlrev_b64 v[6:7], 3, v[2:3]
	v_mov_b32_e32 v5, s48
	v_add_co_u32_e32 v4, vcc, s33, v6
	v_addc_co_u32_e32 v5, vcc, v5, v7, vcc
	global_load_dwordx2 v[4:5], v[4:5], off
	v_mov_b32_e32 v8, s31
	v_add_co_u32_e32 v6, vcc, s30, v6
	v_addc_co_u32_e32 v7, vcc, v8, v7, vcc
	global_load_dwordx2 v[6:7], v[6:7], off
	s_waitcnt vmcnt(1)
	v_lshlrev_b32_e32 v8, 16, v4
	v_mul_f32_e32 v8, v10, v8
	v_bfe_u32 v15, v8, 16, 1
	v_add3_u32 v15, v8, v15, s16
	v_and_b32_e32 v15, 0xffff0000, v15
	v_cmp_o_f32_e32 vcc, v8, v8
	s_waitcnt vmcnt(0)
	v_lshlrev_b32_e32 v9, 16, v6
	v_cndmask_b32_e32 v8, v14, v15, vcc
	v_mul_f32_e32 v8, v8, v9
	v_bfe_u32 v9, v8, 16, 1
	v_add3_u32 v9, v8, v9, s16
	v_and_b32_e32 v9, 0xffff0000, v9
	v_cmp_o_f32_e32 vcc, v8, v8
	v_cndmask_b32_e32 v9, v14, v9, vcc
	v_div_scale_f32 v15, s[4:5], v11, v11, v9
	v_rcp_f32_e32 v16, v15
	v_div_scale_f32 v17, vcc, v9, v11, v9
	v_mov_b32_e32 v8, 0x7f
	v_fma_f32 v18, -v15, v16, 1.0
	v_fmac_f32_e32 v16, v18, v16
	v_mul_f32_e32 v18, v17, v16
	v_fma_f32 v19, -v15, v18, v17
	v_fmac_f32_e32 v18, v19, v16
	v_fma_f32 v15, -v15, v18, v17
	v_div_fmas_f32 v15, v15, v16, v18
	v_div_fixup_f32 v9, v15, v11, v9
	v_min_f32_e32 v9, 0x43e00000, v9
	v_max_f32_e32 v15, 0xc3e00000, v9
	v_and_b32_e32 v16, 0x7fffffff, v15
	v_cmp_gt_u32_e32 vcc, s17, v16
	v_mov_b32_e32 v9, 0x7f
	s_and_saveexec_b64 s[4:5], vcc
	s_cbranch_execz .LBB15_110
; %bb.105:                              ;   in Loop: Header=BB15_79 Depth=1
	v_cmp_lt_u32_e32 vcc, s18, v16
                                        ; implicit-def: $vgpr9
	s_and_saveexec_b64 s[6:7], vcc
	s_xor_b64 s[6:7], exec, s[6:7]
; %bb.106:                              ;   in Loop: Header=BB15_79 Depth=1
	v_bfe_u32 v9, v15, 20, 1
	v_add3_u32 v9, v15, v9, s19
	v_lshrrev_b32_e32 v9, 20, v9
; %bb.107:                              ;   in Loop: Header=BB15_79 Depth=1
	s_andn2_saveexec_b64 s[6:7], s[6:7]
; %bb.108:                              ;   in Loop: Header=BB15_79 Depth=1
	v_add_f32_e64 v9, |v15|, s20
; %bb.109:                              ;   in Loop: Header=BB15_79 Depth=1
	s_or_b64 exec, exec, s[6:7]
.LBB15_110:                             ;   in Loop: Header=BB15_79 Depth=1
	s_or_b64 exec, exec, s[4:5]
	v_and_b32_e32 v16, 0xffff0000, v4
	v_mul_f32_e32 v16, v10, v16
	v_bfe_u32 v18, v16, 16, 1
	v_add3_u32 v18, v16, v18, s16
	v_and_b32_e32 v18, 0xffff0000, v18
	v_cmp_o_f32_e32 vcc, v16, v16
	v_and_b32_e32 v17, 0xffff0000, v6
	v_cndmask_b32_e32 v16, v14, v18, vcc
	v_mul_f32_e32 v16, v16, v17
	v_bfe_u32 v17, v16, 16, 1
	v_add3_u32 v17, v16, v17, s16
	v_and_b32_e32 v17, 0xffff0000, v17
	v_cmp_o_f32_e32 vcc, v16, v16
	v_cndmask_b32_e32 v16, v14, v17, vcc
	v_div_scale_f32 v17, s[4:5], v11, v11, v16
	v_rcp_f32_e32 v18, v17
	v_fma_f32 v19, -v17, v18, 1.0
	v_fmac_f32_e32 v18, v19, v18
	v_div_scale_f32 v19, vcc, v16, v11, v16
	v_mul_f32_e32 v20, v19, v18
	v_fma_f32 v21, -v17, v20, v19
	v_fmac_f32_e32 v20, v21, v18
	v_fma_f32 v17, -v17, v20, v19
	v_div_fmas_f32 v17, v17, v18, v20
	v_div_fixup_f32 v16, v17, v11, v16
	v_min_f32_e32 v16, 0x43e00000, v16
	v_max_f32_e32 v16, 0xc3e00000, v16
	v_and_b32_e32 v17, 0x7fffffff, v16
	v_cmp_gt_u32_e32 vcc, s17, v17
	s_and_saveexec_b64 s[4:5], vcc
	s_cbranch_execz .LBB15_116
; %bb.111:                              ;   in Loop: Header=BB15_79 Depth=1
	v_cmp_lt_u32_e32 vcc, s18, v17
                                        ; implicit-def: $vgpr8
	s_and_saveexec_b64 s[6:7], vcc
	s_xor_b64 s[6:7], exec, s[6:7]
; %bb.112:                              ;   in Loop: Header=BB15_79 Depth=1
	v_bfe_u32 v8, v16, 20, 1
	v_add3_u32 v8, v16, v8, s19
	v_lshrrev_b32_e32 v8, 20, v8
; %bb.113:                              ;   in Loop: Header=BB15_79 Depth=1
	s_andn2_saveexec_b64 s[6:7], s[6:7]
; %bb.114:                              ;   in Loop: Header=BB15_79 Depth=1
	v_add_f32_e64 v8, |v16|, s20
; %bb.115:                              ;   in Loop: Header=BB15_79 Depth=1
	s_or_b64 exec, exec, s[6:7]
.LBB15_116:                             ;   in Loop: Header=BB15_79 Depth=1
	s_or_b64 exec, exec, s[4:5]
	v_alignbit_b32 v4, v5, v4, 16
	v_and_b32_e32 v4, 0xffff0000, v4
	v_mul_f32_e32 v4, v10, v4
	v_bfe_u32 v17, v4, 16, 1
	v_add3_u32 v17, v4, v17, s16
	v_and_b32_e32 v17, 0xffff0000, v17
	v_cmp_o_f32_e32 vcc, v4, v4
	v_alignbit_b32 v6, v7, v6, 16
	v_cndmask_b32_e32 v4, v14, v17, vcc
	v_and_b32_e32 v6, 0xffff0000, v6
	v_mul_f32_e32 v4, v4, v6
	v_bfe_u32 v6, v4, 16, 1
	v_add3_u32 v6, v4, v6, s16
	v_and_b32_e32 v6, 0xffff0000, v6
	v_cmp_o_f32_e32 vcc, v4, v4
	v_cndmask_b32_e32 v4, v14, v6, vcc
	v_div_scale_f32 v6, s[4:5], v11, v11, v4
	v_rcp_f32_e32 v17, v6
	v_fma_f32 v18, -v6, v17, 1.0
	v_fmac_f32_e32 v17, v18, v17
	v_div_scale_f32 v18, vcc, v4, v11, v4
	v_mul_f32_e32 v19, v18, v17
	v_fma_f32 v20, -v6, v19, v18
	v_fmac_f32_e32 v19, v20, v17
	v_fma_f32 v6, -v6, v19, v18
	v_div_fmas_f32 v6, v6, v17, v19
	v_div_fixup_f32 v4, v6, v11, v4
	v_min_f32_e32 v4, 0x43e00000, v4
	v_max_f32_e32 v17, 0xc3e00000, v4
	v_and_b32_e32 v18, 0x7fffffff, v17
	v_cmp_gt_u32_e32 vcc, s17, v18
	v_mov_b32_e32 v6, 0x7f
	v_mov_b32_e32 v4, 0x7f
	s_and_saveexec_b64 s[4:5], vcc
	s_cbranch_execz .LBB15_122
; %bb.117:                              ;   in Loop: Header=BB15_79 Depth=1
	v_cmp_lt_u32_e32 vcc, s18, v18
                                        ; implicit-def: $vgpr4
	s_and_saveexec_b64 s[6:7], vcc
	s_xor_b64 s[6:7], exec, s[6:7]
; %bb.118:                              ;   in Loop: Header=BB15_79 Depth=1
	v_bfe_u32 v4, v17, 20, 1
	v_add3_u32 v4, v17, v4, s19
	v_lshrrev_b32_e32 v4, 20, v4
; %bb.119:                              ;   in Loop: Header=BB15_79 Depth=1
	s_andn2_saveexec_b64 s[6:7], s[6:7]
; %bb.120:                              ;   in Loop: Header=BB15_79 Depth=1
	v_add_f32_e64 v4, |v17|, s20
; %bb.121:                              ;   in Loop: Header=BB15_79 Depth=1
	s_or_b64 exec, exec, s[6:7]
.LBB15_122:                             ;   in Loop: Header=BB15_79 Depth=1
	s_or_b64 exec, exec, s[4:5]
	v_and_b32_e32 v5, 0xffff0000, v5
	v_mul_f32_e32 v5, v10, v5
	v_bfe_u32 v18, v5, 16, 1
	v_add3_u32 v18, v5, v18, s16
	v_and_b32_e32 v18, 0xffff0000, v18
	v_cmp_o_f32_e32 vcc, v5, v5
	v_cndmask_b32_e32 v5, v14, v18, vcc
	v_and_b32_e32 v7, 0xffff0000, v7
	v_mul_f32_e32 v5, v5, v7
	v_bfe_u32 v7, v5, 16, 1
	v_add3_u32 v7, v5, v7, s16
	v_and_b32_e32 v7, 0xffff0000, v7
	v_cmp_o_f32_e32 vcc, v5, v5
	v_cndmask_b32_e32 v5, v14, v7, vcc
	v_div_scale_f32 v7, s[4:5], v11, v11, v5
	v_rcp_f32_e32 v18, v7
	v_fma_f32 v19, -v7, v18, 1.0
	v_fmac_f32_e32 v18, v19, v18
	v_div_scale_f32 v19, vcc, v5, v11, v5
	v_mul_f32_e32 v20, v19, v18
	v_fma_f32 v21, -v7, v20, v19
	v_fmac_f32_e32 v20, v21, v18
	v_fma_f32 v7, -v7, v20, v19
	v_div_fmas_f32 v7, v7, v18, v20
	v_div_fixup_f32 v5, v7, v11, v5
	v_min_f32_e32 v5, 0x43e00000, v5
	v_max_f32_e32 v5, 0xc3e00000, v5
	v_and_b32_e32 v7, 0x7fffffff, v5
	v_cmp_gt_u32_e32 vcc, s17, v7
	s_and_saveexec_b64 s[4:5], vcc
	s_cbranch_execz .LBB15_128
; %bb.123:                              ;   in Loop: Header=BB15_79 Depth=1
	v_cmp_lt_u32_e32 vcc, s18, v7
                                        ; implicit-def: $vgpr6
	s_and_saveexec_b64 s[6:7], vcc
	s_xor_b64 s[6:7], exec, s[6:7]
; %bb.124:                              ;   in Loop: Header=BB15_79 Depth=1
	v_bfe_u32 v6, v5, 20, 1
	v_add3_u32 v6, v5, v6, s19
	v_lshrrev_b32_e32 v6, 20, v6
; %bb.125:                              ;   in Loop: Header=BB15_79 Depth=1
	s_andn2_saveexec_b64 s[6:7], s[6:7]
; %bb.126:                              ;   in Loop: Header=BB15_79 Depth=1
	v_add_f32_e64 v6, |v5|, s20
; %bb.127:                              ;   in Loop: Header=BB15_79 Depth=1
	s_or_b64 exec, exec, s[6:7]
.LBB15_128:                             ;   in Loop: Header=BB15_79 Depth=1
	s_or_b64 exec, exec, s[4:5]
	v_and_b32_sdwa v7, v17, s21 dst_sel:DWORD dst_unused:UNUSED_PAD src0_sel:BYTE_3 src1_sel:DWORD
	v_and_b32_sdwa v18, v16, s21 dst_sel:DWORD dst_unused:UNUSED_PAD src0_sel:BYTE_3 src1_sel:DWORD
	v_lshlrev_b64 v[16:17], 2, v[2:3]
	v_mov_b32_e32 v3, s13
	v_add_co_u32_e32 v16, vcc, s12, v16
	v_and_or_b32 v4, v4, s22, v7
	v_addc_co_u32_e32 v17, vcc, v3, v17, vcc
	v_lshlrev_b32_e32 v3, 24, v6
	v_and_b32_e32 v5, 0x80000000, v5
	v_lshlrev_b32_e32 v4, 16, v4
	v_lshrrev_b32_e32 v15, 24, v15
	v_or3_b32 v3, v5, v3, v4
	v_and_or_b32 v4, v8, s22, v18
	v_and_b32_e32 v5, 0xff, v9
	v_lshlrev_b32_e32 v4, 8, v4
	v_and_or_b32 v5, v15, s21, v5
	v_or3_b32 v3, v3, v4, v5
	v_add_u32_e32 v4, s15, v0
	v_cmp_gt_u32_e32 vcc, s49, v4
	s_mov_b64 s[6:7], -1
	global_store_dword v[16:17], v3, off
	s_and_saveexec_b64 s[4:5], vcc
	s_cbranch_execz .LBB15_77
; %bb.129:                              ;   in Loop: Header=BB15_79 Depth=1
	v_mov_b32_e32 v5, v1
	v_lshlrev_b64 v[8:9], 3, v[4:5]
	v_mov_b32_e32 v3, s48
	v_add_co_u32_e32 v6, vcc, s33, v8
	v_addc_co_u32_e32 v7, vcc, v3, v9, vcc
	global_load_dwordx2 v[6:7], v[6:7], off
	v_mov_b32_e32 v3, s31
	v_add_co_u32_e32 v8, vcc, s30, v8
	v_addc_co_u32_e32 v9, vcc, v3, v9, vcc
	global_load_dwordx2 v[8:9], v[8:9], off
	s_waitcnt vmcnt(1)
	v_lshlrev_b32_e32 v3, 16, v6
	v_mul_f32_e32 v3, v10, v3
	v_bfe_u32 v16, v3, 16, 1
	v_add3_u32 v16, v3, v16, s16
	v_and_b32_e32 v16, 0xffff0000, v16
	v_cmp_o_f32_e32 vcc, v3, v3
	s_waitcnt vmcnt(0)
	v_lshlrev_b32_e32 v15, 16, v8
	v_cndmask_b32_e32 v3, v14, v16, vcc
	v_mul_f32_e32 v3, v3, v15
	v_bfe_u32 v15, v3, 16, 1
	v_add3_u32 v15, v3, v15, s16
	v_and_b32_e32 v15, 0xffff0000, v15
	v_cmp_o_f32_e32 vcc, v3, v3
	v_cndmask_b32_e32 v15, v14, v15, vcc
	v_div_scale_f32 v16, s[6:7], v11, v11, v15
	v_rcp_f32_e32 v17, v16
	v_div_scale_f32 v18, vcc, v15, v11, v15
	v_mov_b32_e32 v3, 0x7f
	v_fma_f32 v19, -v16, v17, 1.0
	v_fmac_f32_e32 v17, v19, v17
	v_mul_f32_e32 v19, v18, v17
	v_fma_f32 v20, -v16, v19, v18
	v_fmac_f32_e32 v19, v20, v17
	v_fma_f32 v16, -v16, v19, v18
	v_div_fmas_f32 v16, v16, v17, v19
	v_div_fixup_f32 v15, v16, v11, v15
	v_min_f32_e32 v15, 0x43e00000, v15
	v_max_f32_e32 v16, 0xc3e00000, v15
	v_and_b32_e32 v17, 0x7fffffff, v16
	v_cmp_gt_u32_e32 vcc, s17, v17
	v_mov_b32_e32 v15, 0x7f
	s_and_saveexec_b64 s[6:7], vcc
	s_cbranch_execz .LBB15_135
; %bb.130:                              ;   in Loop: Header=BB15_79 Depth=1
	v_cmp_lt_u32_e32 vcc, s18, v17
                                        ; implicit-def: $vgpr15
	s_and_saveexec_b64 s[8:9], vcc
	s_xor_b64 s[8:9], exec, s[8:9]
; %bb.131:                              ;   in Loop: Header=BB15_79 Depth=1
	v_bfe_u32 v15, v16, 20, 1
	v_add3_u32 v15, v16, v15, s19
	v_lshrrev_b32_e32 v15, 20, v15
; %bb.132:                              ;   in Loop: Header=BB15_79 Depth=1
	s_andn2_saveexec_b64 s[8:9], s[8:9]
; %bb.133:                              ;   in Loop: Header=BB15_79 Depth=1
	v_add_f32_e64 v15, |v16|, s20
; %bb.134:                              ;   in Loop: Header=BB15_79 Depth=1
	s_or_b64 exec, exec, s[8:9]
.LBB15_135:                             ;   in Loop: Header=BB15_79 Depth=1
	s_or_b64 exec, exec, s[6:7]
	v_and_b32_e32 v17, 0xffff0000, v6
	v_mul_f32_e32 v17, v10, v17
	v_bfe_u32 v19, v17, 16, 1
	v_add3_u32 v19, v17, v19, s16
	v_and_b32_e32 v19, 0xffff0000, v19
	v_cmp_o_f32_e32 vcc, v17, v17
	v_and_b32_e32 v18, 0xffff0000, v8
	v_cndmask_b32_e32 v17, v14, v19, vcc
	v_mul_f32_e32 v17, v17, v18
	v_bfe_u32 v18, v17, 16, 1
	v_add3_u32 v18, v17, v18, s16
	v_and_b32_e32 v18, 0xffff0000, v18
	v_cmp_o_f32_e32 vcc, v17, v17
	v_cndmask_b32_e32 v17, v14, v18, vcc
	v_div_scale_f32 v18, s[6:7], v11, v11, v17
	v_rcp_f32_e32 v19, v18
	v_fma_f32 v20, -v18, v19, 1.0
	v_fmac_f32_e32 v19, v20, v19
	v_div_scale_f32 v20, vcc, v17, v11, v17
	v_mul_f32_e32 v21, v20, v19
	v_fma_f32 v22, -v18, v21, v20
	v_fmac_f32_e32 v21, v22, v19
	v_fma_f32 v18, -v18, v21, v20
	v_div_fmas_f32 v18, v18, v19, v21
	v_div_fixup_f32 v17, v18, v11, v17
	v_min_f32_e32 v17, 0x43e00000, v17
	v_max_f32_e32 v17, 0xc3e00000, v17
	v_and_b32_e32 v18, 0x7fffffff, v17
	v_cmp_gt_u32_e32 vcc, s17, v18
	s_and_saveexec_b64 s[6:7], vcc
	s_cbranch_execz .LBB15_141
; %bb.136:                              ;   in Loop: Header=BB15_79 Depth=1
	v_cmp_lt_u32_e32 vcc, s18, v18
                                        ; implicit-def: $vgpr3
	s_and_saveexec_b64 s[8:9], vcc
	s_xor_b64 s[8:9], exec, s[8:9]
; %bb.137:                              ;   in Loop: Header=BB15_79 Depth=1
	v_bfe_u32 v3, v17, 20, 1
	v_add3_u32 v3, v17, v3, s19
	v_lshrrev_b32_e32 v3, 20, v3
; %bb.138:                              ;   in Loop: Header=BB15_79 Depth=1
	s_andn2_saveexec_b64 s[8:9], s[8:9]
; %bb.139:                              ;   in Loop: Header=BB15_79 Depth=1
	v_add_f32_e64 v3, |v17|, s20
; %bb.140:                              ;   in Loop: Header=BB15_79 Depth=1
	s_or_b64 exec, exec, s[8:9]
.LBB15_141:                             ;   in Loop: Header=BB15_79 Depth=1
	s_or_b64 exec, exec, s[6:7]
	v_alignbit_b32 v6, v7, v6, 16
	v_and_b32_e32 v6, 0xffff0000, v6
	v_mul_f32_e32 v6, v10, v6
	v_bfe_u32 v18, v6, 16, 1
	v_add3_u32 v18, v6, v18, s16
	v_and_b32_e32 v18, 0xffff0000, v18
	v_cmp_o_f32_e32 vcc, v6, v6
	v_alignbit_b32 v8, v9, v8, 16
	v_cndmask_b32_e32 v6, v14, v18, vcc
	v_and_b32_e32 v8, 0xffff0000, v8
	v_mul_f32_e32 v6, v6, v8
	v_bfe_u32 v8, v6, 16, 1
	v_add3_u32 v8, v6, v8, s16
	v_and_b32_e32 v8, 0xffff0000, v8
	v_cmp_o_f32_e32 vcc, v6, v6
	v_cndmask_b32_e32 v6, v14, v8, vcc
	v_div_scale_f32 v8, s[6:7], v11, v11, v6
	v_rcp_f32_e32 v18, v8
	v_fma_f32 v19, -v8, v18, 1.0
	v_fmac_f32_e32 v18, v19, v18
	v_div_scale_f32 v19, vcc, v6, v11, v6
	v_mul_f32_e32 v20, v19, v18
	v_fma_f32 v21, -v8, v20, v19
	v_fmac_f32_e32 v20, v21, v18
	v_fma_f32 v8, -v8, v20, v19
	v_div_fmas_f32 v8, v8, v18, v20
	v_div_fixup_f32 v6, v8, v11, v6
	v_min_f32_e32 v6, 0x43e00000, v6
	v_max_f32_e32 v18, 0xc3e00000, v6
	v_and_b32_e32 v19, 0x7fffffff, v18
	v_cmp_gt_u32_e32 vcc, s17, v19
	v_mov_b32_e32 v8, 0x7f
	v_mov_b32_e32 v6, 0x7f
	s_and_saveexec_b64 s[6:7], vcc
	s_cbranch_execz .LBB15_147
; %bb.142:                              ;   in Loop: Header=BB15_79 Depth=1
	v_cmp_lt_u32_e32 vcc, s18, v19
                                        ; implicit-def: $vgpr6
	s_and_saveexec_b64 s[8:9], vcc
	s_xor_b64 s[8:9], exec, s[8:9]
; %bb.143:                              ;   in Loop: Header=BB15_79 Depth=1
	v_bfe_u32 v6, v18, 20, 1
	v_add3_u32 v6, v18, v6, s19
	v_lshrrev_b32_e32 v6, 20, v6
; %bb.144:                              ;   in Loop: Header=BB15_79 Depth=1
	s_andn2_saveexec_b64 s[8:9], s[8:9]
; %bb.145:                              ;   in Loop: Header=BB15_79 Depth=1
	v_add_f32_e64 v6, |v18|, s20
; %bb.146:                              ;   in Loop: Header=BB15_79 Depth=1
	s_or_b64 exec, exec, s[8:9]
.LBB15_147:                             ;   in Loop: Header=BB15_79 Depth=1
	s_or_b64 exec, exec, s[6:7]
	v_and_b32_e32 v7, 0xffff0000, v7
	v_mul_f32_e32 v7, v10, v7
	v_bfe_u32 v19, v7, 16, 1
	v_add3_u32 v19, v7, v19, s16
	v_and_b32_e32 v19, 0xffff0000, v19
	v_cmp_o_f32_e32 vcc, v7, v7
	v_cndmask_b32_e32 v7, v14, v19, vcc
	v_and_b32_e32 v9, 0xffff0000, v9
	v_mul_f32_e32 v7, v7, v9
	v_bfe_u32 v9, v7, 16, 1
	v_add3_u32 v9, v7, v9, s16
	v_and_b32_e32 v9, 0xffff0000, v9
	v_cmp_o_f32_e32 vcc, v7, v7
	v_cndmask_b32_e32 v7, v14, v9, vcc
	v_div_scale_f32 v9, s[6:7], v11, v11, v7
	v_rcp_f32_e32 v19, v9
	v_fma_f32 v20, -v9, v19, 1.0
	v_fmac_f32_e32 v19, v20, v19
	v_div_scale_f32 v20, vcc, v7, v11, v7
	v_mul_f32_e32 v21, v20, v19
	v_fma_f32 v22, -v9, v21, v20
	v_fmac_f32_e32 v21, v22, v19
	v_fma_f32 v9, -v9, v21, v20
	v_div_fmas_f32 v9, v9, v19, v21
	v_div_fixup_f32 v7, v9, v11, v7
	v_min_f32_e32 v7, 0x43e00000, v7
	v_max_f32_e32 v7, 0xc3e00000, v7
	v_and_b32_e32 v9, 0x7fffffff, v7
	v_cmp_gt_u32_e32 vcc, s17, v9
	s_and_saveexec_b64 s[6:7], vcc
	s_cbranch_execz .LBB15_153
; %bb.148:                              ;   in Loop: Header=BB15_79 Depth=1
	v_cmp_lt_u32_e32 vcc, s18, v9
                                        ; implicit-def: $vgpr8
	s_and_saveexec_b64 s[8:9], vcc
	s_xor_b64 s[8:9], exec, s[8:9]
; %bb.149:                              ;   in Loop: Header=BB15_79 Depth=1
	v_bfe_u32 v8, v7, 20, 1
	v_add3_u32 v8, v7, v8, s19
	v_lshrrev_b32_e32 v8, 20, v8
; %bb.150:                              ;   in Loop: Header=BB15_79 Depth=1
	s_andn2_saveexec_b64 s[8:9], s[8:9]
; %bb.151:                              ;   in Loop: Header=BB15_79 Depth=1
	v_add_f32_e64 v8, |v7|, s20
; %bb.152:                              ;   in Loop: Header=BB15_79 Depth=1
	s_or_b64 exec, exec, s[8:9]
.LBB15_153:                             ;   in Loop: Header=BB15_79 Depth=1
	s_or_b64 exec, exec, s[6:7]
	v_and_b32_sdwa v9, v18, s21 dst_sel:DWORD dst_unused:UNUSED_PAD src0_sel:BYTE_3 src1_sel:DWORD
	v_and_or_b32 v6, v6, s22, v9
	v_and_b32_sdwa v17, v17, s21 dst_sel:DWORD dst_unused:UNUSED_PAD src0_sel:BYTE_3 src1_sel:DWORD
	v_lshlrev_b64 v[4:5], 2, v[4:5]
	v_lshlrev_b32_e32 v8, 24, v8
	v_and_b32_e32 v7, 0x80000000, v7
	v_lshlrev_b32_e32 v6, 16, v6
	v_lshrrev_b32_e32 v16, 24, v16
	v_mov_b32_e32 v18, s13
	v_add_co_u32_e32 v4, vcc, s12, v4
	v_or3_b32 v6, v7, v8, v6
	v_and_or_b32 v3, v3, s22, v17
	v_and_b32_e32 v7, 0xff, v15
	v_addc_co_u32_e32 v5, vcc, v18, v5, vcc
	v_lshlrev_b32_e32 v3, 8, v3
	v_and_or_b32 v7, v16, s21, v7
	v_add_u32_e32 v0, s14, v0
	v_or3_b32 v3, v6, v3, v7
	v_cmp_gt_u32_e32 vcc, s49, v0
	s_mov_b64 s[8:9], -1
	global_store_dword v[4:5], v3, off
	s_and_saveexec_b64 s[6:7], vcc
	s_cbranch_execz .LBB15_76
; %bb.154:                              ;   in Loop: Header=BB15_79 Depth=1
	v_lshlrev_b64 v[6:7], 3, v[0:1]
	v_mov_b32_e32 v3, s48
	v_add_co_u32_e32 v4, vcc, s33, v6
	v_addc_co_u32_e32 v5, vcc, v3, v7, vcc
	global_load_dwordx2 v[4:5], v[4:5], off
	v_mov_b32_e32 v3, s31
	v_add_co_u32_e32 v6, vcc, s30, v6
	v_addc_co_u32_e32 v7, vcc, v3, v7, vcc
	global_load_dwordx2 v[6:7], v[6:7], off
	s_waitcnt vmcnt(1)
	v_lshlrev_b32_e32 v3, 16, v4
	v_mul_f32_e32 v3, v10, v3
	v_bfe_u32 v9, v3, 16, 1
	v_add3_u32 v9, v3, v9, s16
	v_and_b32_e32 v9, 0xffff0000, v9
	v_cmp_o_f32_e32 vcc, v3, v3
	s_waitcnt vmcnt(0)
	v_lshlrev_b32_e32 v8, 16, v6
	v_cndmask_b32_e32 v3, v14, v9, vcc
	v_mul_f32_e32 v3, v3, v8
	v_bfe_u32 v8, v3, 16, 1
	v_add3_u32 v8, v3, v8, s16
	v_and_b32_e32 v8, 0xffff0000, v8
	v_cmp_o_f32_e32 vcc, v3, v3
	v_cndmask_b32_e32 v8, v14, v8, vcc
	v_div_scale_f32 v9, s[8:9], v11, v11, v8
	v_rcp_f32_e32 v15, v9
	v_div_scale_f32 v16, vcc, v8, v11, v8
	v_mov_b32_e32 v3, 0x7f
	v_fma_f32 v17, -v9, v15, 1.0
	v_fmac_f32_e32 v15, v17, v15
	v_mul_f32_e32 v17, v16, v15
	v_fma_f32 v18, -v9, v17, v16
	v_fmac_f32_e32 v17, v18, v15
	v_fma_f32 v9, -v9, v17, v16
	v_div_fmas_f32 v9, v9, v15, v17
	v_div_fixup_f32 v8, v9, v11, v8
	v_min_f32_e32 v8, 0x43e00000, v8
	v_max_f32_e32 v9, 0xc3e00000, v8
	v_and_b32_e32 v15, 0x7fffffff, v9
	v_cmp_gt_u32_e32 vcc, s17, v15
	v_mov_b32_e32 v8, 0x7f
	s_and_saveexec_b64 s[8:9], vcc
	s_cbranch_execz .LBB15_160
; %bb.155:                              ;   in Loop: Header=BB15_79 Depth=1
	v_cmp_lt_u32_e32 vcc, s18, v15
                                        ; implicit-def: $vgpr8
	s_and_saveexec_b64 s[10:11], vcc
	s_xor_b64 s[10:11], exec, s[10:11]
; %bb.156:                              ;   in Loop: Header=BB15_79 Depth=1
	v_bfe_u32 v8, v9, 20, 1
	v_add3_u32 v8, v9, v8, s19
	v_lshrrev_b32_e32 v8, 20, v8
; %bb.157:                              ;   in Loop: Header=BB15_79 Depth=1
	s_andn2_saveexec_b64 s[10:11], s[10:11]
; %bb.158:                              ;   in Loop: Header=BB15_79 Depth=1
	v_add_f32_e64 v8, |v9|, s20
; %bb.159:                              ;   in Loop: Header=BB15_79 Depth=1
	s_or_b64 exec, exec, s[10:11]
.LBB15_160:                             ;   in Loop: Header=BB15_79 Depth=1
	s_or_b64 exec, exec, s[8:9]
	v_and_b32_e32 v15, 0xffff0000, v4
	v_mul_f32_e32 v15, v10, v15
	v_bfe_u32 v17, v15, 16, 1
	v_add3_u32 v17, v15, v17, s16
	v_and_b32_e32 v17, 0xffff0000, v17
	v_cmp_o_f32_e32 vcc, v15, v15
	v_and_b32_e32 v16, 0xffff0000, v6
	v_cndmask_b32_e32 v15, v14, v17, vcc
	v_mul_f32_e32 v15, v15, v16
	v_bfe_u32 v16, v15, 16, 1
	v_add3_u32 v16, v15, v16, s16
	v_and_b32_e32 v16, 0xffff0000, v16
	v_cmp_o_f32_e32 vcc, v15, v15
	v_cndmask_b32_e32 v15, v14, v16, vcc
	v_div_scale_f32 v16, s[8:9], v11, v11, v15
	v_rcp_f32_e32 v17, v16
	v_fma_f32 v18, -v16, v17, 1.0
	v_fmac_f32_e32 v17, v18, v17
	v_div_scale_f32 v18, vcc, v15, v11, v15
	v_mul_f32_e32 v19, v18, v17
	v_fma_f32 v20, -v16, v19, v18
	v_fmac_f32_e32 v19, v20, v17
	v_fma_f32 v16, -v16, v19, v18
	v_div_fmas_f32 v16, v16, v17, v19
	v_div_fixup_f32 v15, v16, v11, v15
	v_min_f32_e32 v15, 0x43e00000, v15
	v_max_f32_e32 v15, 0xc3e00000, v15
	v_and_b32_e32 v16, 0x7fffffff, v15
	v_cmp_gt_u32_e32 vcc, s17, v16
	s_and_saveexec_b64 s[8:9], vcc
	s_cbranch_execz .LBB15_166
; %bb.161:                              ;   in Loop: Header=BB15_79 Depth=1
	v_cmp_lt_u32_e32 vcc, s18, v16
                                        ; implicit-def: $vgpr3
	s_and_saveexec_b64 s[10:11], vcc
	s_xor_b64 s[10:11], exec, s[10:11]
; %bb.162:                              ;   in Loop: Header=BB15_79 Depth=1
	v_bfe_u32 v3, v15, 20, 1
	v_add3_u32 v3, v15, v3, s19
	v_lshrrev_b32_e32 v3, 20, v3
; %bb.163:                              ;   in Loop: Header=BB15_79 Depth=1
	s_andn2_saveexec_b64 s[10:11], s[10:11]
; %bb.164:                              ;   in Loop: Header=BB15_79 Depth=1
	v_add_f32_e64 v3, |v15|, s20
; %bb.165:                              ;   in Loop: Header=BB15_79 Depth=1
	s_or_b64 exec, exec, s[10:11]
.LBB15_166:                             ;   in Loop: Header=BB15_79 Depth=1
	s_or_b64 exec, exec, s[8:9]
	v_alignbit_b32 v4, v5, v4, 16
	v_and_b32_e32 v4, 0xffff0000, v4
	v_mul_f32_e32 v4, v10, v4
	v_bfe_u32 v16, v4, 16, 1
	v_add3_u32 v16, v4, v16, s16
	v_and_b32_e32 v16, 0xffff0000, v16
	v_cmp_o_f32_e32 vcc, v4, v4
	v_alignbit_b32 v6, v7, v6, 16
	v_cndmask_b32_e32 v4, v14, v16, vcc
	v_and_b32_e32 v6, 0xffff0000, v6
	v_mul_f32_e32 v4, v4, v6
	v_bfe_u32 v6, v4, 16, 1
	v_add3_u32 v6, v4, v6, s16
	v_and_b32_e32 v6, 0xffff0000, v6
	v_cmp_o_f32_e32 vcc, v4, v4
	v_cndmask_b32_e32 v4, v14, v6, vcc
	v_div_scale_f32 v6, s[8:9], v11, v11, v4
	v_rcp_f32_e32 v16, v6
	v_fma_f32 v17, -v6, v16, 1.0
	v_fmac_f32_e32 v16, v17, v16
	v_div_scale_f32 v17, vcc, v4, v11, v4
	v_mul_f32_e32 v18, v17, v16
	v_fma_f32 v19, -v6, v18, v17
	v_fmac_f32_e32 v18, v19, v16
	v_fma_f32 v6, -v6, v18, v17
	v_div_fmas_f32 v6, v6, v16, v18
	v_div_fixup_f32 v4, v6, v11, v4
	v_min_f32_e32 v4, 0x43e00000, v4
	v_max_f32_e32 v16, 0xc3e00000, v4
	v_and_b32_e32 v17, 0x7fffffff, v16
	v_cmp_gt_u32_e32 vcc, s17, v17
	v_mov_b32_e32 v6, 0x7f
	v_mov_b32_e32 v4, 0x7f
	s_and_saveexec_b64 s[8:9], vcc
	s_cbranch_execz .LBB15_172
; %bb.167:                              ;   in Loop: Header=BB15_79 Depth=1
	v_cmp_lt_u32_e32 vcc, s18, v17
                                        ; implicit-def: $vgpr4
	s_and_saveexec_b64 s[10:11], vcc
	s_xor_b64 s[10:11], exec, s[10:11]
; %bb.168:                              ;   in Loop: Header=BB15_79 Depth=1
	v_bfe_u32 v4, v16, 20, 1
	v_add3_u32 v4, v16, v4, s19
	v_lshrrev_b32_e32 v4, 20, v4
; %bb.169:                              ;   in Loop: Header=BB15_79 Depth=1
	s_andn2_saveexec_b64 s[10:11], s[10:11]
; %bb.170:                              ;   in Loop: Header=BB15_79 Depth=1
	v_add_f32_e64 v4, |v16|, s20
; %bb.171:                              ;   in Loop: Header=BB15_79 Depth=1
	s_or_b64 exec, exec, s[10:11]
.LBB15_172:                             ;   in Loop: Header=BB15_79 Depth=1
	s_or_b64 exec, exec, s[8:9]
	v_and_b32_e32 v5, 0xffff0000, v5
	v_mul_f32_e32 v5, v10, v5
	v_bfe_u32 v17, v5, 16, 1
	v_add3_u32 v17, v5, v17, s16
	v_and_b32_e32 v17, 0xffff0000, v17
	v_cmp_o_f32_e32 vcc, v5, v5
	v_cndmask_b32_e32 v5, v14, v17, vcc
	v_and_b32_e32 v7, 0xffff0000, v7
	v_mul_f32_e32 v5, v5, v7
	v_bfe_u32 v7, v5, 16, 1
	v_add3_u32 v7, v5, v7, s16
	v_and_b32_e32 v7, 0xffff0000, v7
	v_cmp_o_f32_e32 vcc, v5, v5
	v_cndmask_b32_e32 v5, v14, v7, vcc
	v_div_scale_f32 v7, s[8:9], v11, v11, v5
	v_rcp_f32_e32 v17, v7
	v_fma_f32 v18, -v7, v17, 1.0
	v_fmac_f32_e32 v17, v18, v17
	v_div_scale_f32 v18, vcc, v5, v11, v5
	v_mul_f32_e32 v19, v18, v17
	v_fma_f32 v20, -v7, v19, v18
	v_fmac_f32_e32 v19, v20, v17
	v_fma_f32 v7, -v7, v19, v18
	v_div_fmas_f32 v7, v7, v17, v19
	v_div_fixup_f32 v5, v7, v11, v5
	v_min_f32_e32 v5, 0x43e00000, v5
	v_max_f32_e32 v5, 0xc3e00000, v5
	v_and_b32_e32 v7, 0x7fffffff, v5
	v_cmp_gt_u32_e32 vcc, s17, v7
	s_and_saveexec_b64 s[8:9], vcc
	s_cbranch_execz .LBB15_75
; %bb.173:                              ;   in Loop: Header=BB15_79 Depth=1
	v_cmp_lt_u32_e32 vcc, s18, v7
                                        ; implicit-def: $vgpr6
	s_and_saveexec_b64 s[10:11], vcc
	s_xor_b64 s[10:11], exec, s[10:11]
; %bb.174:                              ;   in Loop: Header=BB15_79 Depth=1
	v_bfe_u32 v6, v5, 20, 1
	v_add3_u32 v6, v5, v6, s19
	v_lshrrev_b32_e32 v6, 20, v6
; %bb.175:                              ;   in Loop: Header=BB15_79 Depth=1
	s_andn2_saveexec_b64 s[10:11], s[10:11]
	s_cbranch_execz .LBB15_74
; %bb.176:                              ;   in Loop: Header=BB15_79 Depth=1
	v_add_f32_e64 v6, |v5|, s20
	s_branch .LBB15_74
.LBB15_177:
	s_endpgm
	.section	.rodata,"a",@progbits
	.p2align	6, 0x0
	.amdhsa_kernel _ZN4vllm39rms_norm_dynamic_per_token_quant_kernelIN3c108BFloat16ENS1_13Float8_e4m3fnELb0EEEvPT0_PfPKT_S9_PKffiiPS7_
		.amdhsa_group_segment_fixed_size 272
		.amdhsa_private_segment_fixed_size 0
		.amdhsa_kernarg_size 320
		.amdhsa_user_sgpr_count 6
		.amdhsa_user_sgpr_private_segment_buffer 1
		.amdhsa_user_sgpr_dispatch_ptr 0
		.amdhsa_user_sgpr_queue_ptr 0
		.amdhsa_user_sgpr_kernarg_segment_ptr 1
		.amdhsa_user_sgpr_dispatch_id 0
		.amdhsa_user_sgpr_flat_scratch_init 0
		.amdhsa_user_sgpr_kernarg_preload_length 0
		.amdhsa_user_sgpr_kernarg_preload_offset 0
		.amdhsa_user_sgpr_private_segment_size 0
		.amdhsa_uses_dynamic_stack 0
		.amdhsa_system_sgpr_private_segment_wavefront_offset 0
		.amdhsa_system_sgpr_workgroup_id_x 1
		.amdhsa_system_sgpr_workgroup_id_y 0
		.amdhsa_system_sgpr_workgroup_id_z 0
		.amdhsa_system_sgpr_workgroup_info 0
		.amdhsa_system_vgpr_workitem_id 0
		.amdhsa_next_free_vgpr 30
		.amdhsa_next_free_sgpr 54
		.amdhsa_accum_offset 32
		.amdhsa_reserve_vcc 1
		.amdhsa_reserve_flat_scratch 0
		.amdhsa_float_round_mode_32 0
		.amdhsa_float_round_mode_16_64 0
		.amdhsa_float_denorm_mode_32 3
		.amdhsa_float_denorm_mode_16_64 3
		.amdhsa_dx10_clamp 1
		.amdhsa_ieee_mode 1
		.amdhsa_fp16_overflow 0
		.amdhsa_tg_split 0
		.amdhsa_exception_fp_ieee_invalid_op 0
		.amdhsa_exception_fp_denorm_src 0
		.amdhsa_exception_fp_ieee_div_zero 0
		.amdhsa_exception_fp_ieee_overflow 0
		.amdhsa_exception_fp_ieee_underflow 0
		.amdhsa_exception_fp_ieee_inexact 0
		.amdhsa_exception_int_div_zero 0
	.end_amdhsa_kernel
	.section	.text._ZN4vllm39rms_norm_dynamic_per_token_quant_kernelIN3c108BFloat16ENS1_13Float8_e4m3fnELb0EEEvPT0_PfPKT_S9_PKffiiPS7_,"axG",@progbits,_ZN4vllm39rms_norm_dynamic_per_token_quant_kernelIN3c108BFloat16ENS1_13Float8_e4m3fnELb0EEEvPT0_PfPKT_S9_PKffiiPS7_,comdat
.Lfunc_end15:
	.size	_ZN4vllm39rms_norm_dynamic_per_token_quant_kernelIN3c108BFloat16ENS1_13Float8_e4m3fnELb0EEEvPT0_PfPKT_S9_PKffiiPS7_, .Lfunc_end15-_ZN4vllm39rms_norm_dynamic_per_token_quant_kernelIN3c108BFloat16ENS1_13Float8_e4m3fnELb0EEEvPT0_PfPKT_S9_PKffiiPS7_
                                        ; -- End function
	.section	.AMDGPU.csdata,"",@progbits
; Kernel info:
; codeLenInByte = 12324
; NumSgprs: 58
; NumVgprs: 30
; NumAgprs: 0
; TotalNumVgprs: 30
; ScratchSize: 0
; MemoryBound: 0
; FloatMode: 240
; IeeeMode: 1
; LDSByteSize: 272 bytes/workgroup (compile time only)
; SGPRBlocks: 7
; VGPRBlocks: 3
; NumSGPRsForWavesPerEU: 58
; NumVGPRsForWavesPerEU: 30
; AccumOffset: 32
; Occupancy: 8
; WaveLimiterHint : 0
; COMPUTE_PGM_RSRC2:SCRATCH_EN: 0
; COMPUTE_PGM_RSRC2:USER_SGPR: 6
; COMPUTE_PGM_RSRC2:TRAP_HANDLER: 0
; COMPUTE_PGM_RSRC2:TGID_X_EN: 1
; COMPUTE_PGM_RSRC2:TGID_Y_EN: 0
; COMPUTE_PGM_RSRC2:TGID_Z_EN: 0
; COMPUTE_PGM_RSRC2:TIDIG_COMP_CNT: 0
; COMPUTE_PGM_RSRC3_GFX90A:ACCUM_OFFSET: 7
; COMPUTE_PGM_RSRC3_GFX90A:TG_SPLIT: 0
	.section	.text._ZN4vllm39rms_norm_dynamic_per_token_quant_kernelIN3c108BFloat16ENS1_15Float8_e4m3fnuzELb0EEEvPT0_PfPKT_S9_PKffiiPS7_,"axG",@progbits,_ZN4vllm39rms_norm_dynamic_per_token_quant_kernelIN3c108BFloat16ENS1_15Float8_e4m3fnuzELb0EEEvPT0_PfPKT_S9_PKffiiPS7_,comdat
	.protected	_ZN4vllm39rms_norm_dynamic_per_token_quant_kernelIN3c108BFloat16ENS1_15Float8_e4m3fnuzELb0EEEvPT0_PfPKT_S9_PKffiiPS7_ ; -- Begin function _ZN4vllm39rms_norm_dynamic_per_token_quant_kernelIN3c108BFloat16ENS1_15Float8_e4m3fnuzELb0EEEvPT0_PfPKT_S9_PKffiiPS7_
	.globl	_ZN4vllm39rms_norm_dynamic_per_token_quant_kernelIN3c108BFloat16ENS1_15Float8_e4m3fnuzELb0EEEvPT0_PfPKT_S9_PKffiiPS7_
	.p2align	8
	.type	_ZN4vllm39rms_norm_dynamic_per_token_quant_kernelIN3c108BFloat16ENS1_15Float8_e4m3fnuzELb0EEEvPT0_PfPKT_S9_PKffiiPS7_,@function
_ZN4vllm39rms_norm_dynamic_per_token_quant_kernelIN3c108BFloat16ENS1_15Float8_e4m3fnuzELb0EEEvPT0_PfPKT_S9_PKffiiPS7_: ; @_ZN4vllm39rms_norm_dynamic_per_token_quant_kernelIN3c108BFloat16ENS1_15Float8_e4m3fnuzELb0EEEvPT0_PfPKT_S9_PKffiiPS7_
; %bb.0:
	s_load_dwordx4 s[36:39], s[4:5], 0x28
	s_load_dwordx2 s[34:35], s[4:5], 0x20
	s_load_dwordx8 s[24:31], s[4:5], 0x0
	s_waitcnt lgkmcnt(0)
	s_or_b32 s0, s38, s37
	s_and_b32 s0, s0, 3
	s_cmp_lg_u32 s0, 0
	s_cbranch_scc0 .LBB16_39
; %bb.1:
	v_cmp_gt_u32_e64 s[0:1], s37, v0
	v_cmp_le_u32_e64 s[2:3], s37, v0
                                        ; implicit-def: $sgpr7
                                        ; implicit-def: $sgpr10_sgpr11
	s_and_saveexec_b64 s[8:9], s[2:3]
	s_xor_b64 s[8:9], exec, s[8:9]
; %bb.2:
	s_add_u32 s10, s4, 64
	s_addc_u32 s11, s5, 0
	s_mov_b32 s7, 0
; %bb.3:
	s_or_saveexec_b64 s[8:9], s[8:9]
	v_mov_b32_e32 v6, s7
	v_pk_mov_b32 v[2:3], s[10:11], s[10:11] op_sel:[0,1]
	v_mov_b32_e32 v1, s6
	s_xor_b64 exec, exec, s[8:9]
	s_cbranch_execz .LBB16_7
; %bb.4:
	s_ashr_i32 s7, s38, 31
	s_mul_hi_u32 s10, s38, s6
	s_mul_i32 s7, s7, s6
	s_add_i32 s11, s10, s7
	s_mul_i32 s10, s38, s6
	s_load_dword s12, s[4:5], 0x4c
	s_lshl_b64 s[10:11], s[10:11], 1
	s_add_u32 s7, s28, s10
	s_addc_u32 s15, s29, s11
	s_add_u32 s10, s4, 64
	s_addc_u32 s11, s5, 0
	s_waitcnt lgkmcnt(0)
	s_and_b32 s14, s12, 0xffff
	s_mov_b64 s[12:13], 0
	v_mov_b32_e32 v3, 0
	v_mov_b32_e32 v1, s15
	;; [unrolled: 1-line block ×4, first 2 shown]
.LBB16_5:                               ; =>This Inner Loop Header: Depth=1
	v_lshlrev_b64 v[4:5], 1, v[2:3]
	v_add_co_u32_e32 v4, vcc, s7, v4
	v_addc_co_u32_e32 v5, vcc, v1, v5, vcc
	global_load_ushort v4, v[4:5], off
	v_add_u32_e32 v2, s14, v2
	v_cmp_le_u32_e32 vcc, s37, v2
	s_or_b64 s[12:13], vcc, s[12:13]
	s_waitcnt vmcnt(0)
	v_lshlrev_b32_e32 v4, 16, v4
	v_fmac_f32_e32 v6, v4, v4
	s_andn2_b64 exec, exec, s[12:13]
	s_cbranch_execnz .LBB16_5
; %bb.6:
	s_or_b64 exec, exec, s[12:13]
	v_pk_mov_b32 v[2:3], s[10:11], s[10:11] op_sel:[0,1]
	v_mov_b32_e32 v1, s6
.LBB16_7:
	s_or_b64 exec, exec, s[8:9]
	global_load_dword v4, v[2:3], off
	v_and_b32_e32 v5, 0x3c0, v0
	s_waitcnt vmcnt(0)
	v_cmp_lt_u32_e32 vcc, v1, v4
	v_cndmask_b32_e64 v1, 18, 12, vcc
	v_add_co_u32_e32 v2, vcc, v2, v1
	v_addc_co_u32_e32 v3, vcc, 0, v3, vcc
	global_load_ushort v1, v[2:3], off
	v_mbcnt_lo_u32_b32 v2, -1, 0
	v_mbcnt_hi_u32_b32 v4, -1, v2
	v_and_b32_e32 v2, 63, v4
	v_cmp_ne_u32_e32 vcc, 63, v2
	v_addc_co_u32_e32 v3, vcc, 0, v4, vcc
	v_lshlrev_b32_e32 v14, 2, v3
	ds_bpermute_b32 v3, v14, v6
	v_cmp_gt_u32_e32 vcc, 62, v2
	v_cndmask_b32_e64 v12, 0, 1, vcc
	v_lshlrev_b32_e32 v12, 1, v12
	v_add_u32_e32 v7, 1, v4
	v_add_lshl_u32 v13, v12, v4, 2
	s_waitcnt lgkmcnt(0)
	v_add_f32_e32 v3, v6, v3
	v_add_u32_e32 v8, 2, v4
	v_add_u32_e32 v10, 4, v4
	;; [unrolled: 1-line block ×5, first 2 shown]
	v_cmp_eq_u32_e64 s[8:9], 0, v4
	s_waitcnt vmcnt(0)
	v_sub_u32_e64 v12, v1, v5 clamp
	v_cmp_lt_u32_e32 vcc, v7, v12
	v_cndmask_b32_e32 v3, v6, v3, vcc
	ds_bpermute_b32 v6, v13, v3
	v_cmp_gt_u32_e32 vcc, 60, v2
	v_cndmask_b32_e64 v15, 0, 1, vcc
	v_lshlrev_b32_e32 v15, 2, v15
	v_cmp_lt_u32_e32 vcc, v8, v12
	s_waitcnt lgkmcnt(0)
	v_add_f32_e32 v6, v3, v6
	v_add_lshl_u32 v15, v15, v4, 2
	v_cndmask_b32_e32 v3, v3, v6, vcc
	ds_bpermute_b32 v6, v15, v3
	v_cmp_gt_u32_e32 vcc, 56, v2
	v_cndmask_b32_e64 v16, 0, 1, vcc
	v_lshlrev_b32_e32 v16, 3, v16
	v_cmp_lt_u32_e32 vcc, v10, v12
	s_waitcnt lgkmcnt(0)
	v_add_f32_e32 v6, v3, v6
	v_add_lshl_u32 v16, v16, v4, 2
	;; [unrolled: 9-line block ×3, first 2 shown]
	v_cndmask_b32_e32 v3, v3, v6, vcc
	ds_bpermute_b32 v6, v18, v3
	v_cmp_gt_u32_e32 vcc, 32, v2
	v_cndmask_b32_e64 v2, 0, 1, vcc
	v_lshlrev_b32_e32 v2, 5, v2
	v_add_lshl_u32 v17, v2, v4, 2
	s_waitcnt lgkmcnt(0)
	v_add_f32_e32 v2, v3, v6
	v_cmp_lt_u32_e32 vcc, v9, v12
	v_cndmask_b32_e32 v2, v3, v2, vcc
	ds_bpermute_b32 v3, v17, v2
	v_cmp_lt_u32_e32 vcc, v19, v12
	s_waitcnt lgkmcnt(0)
	v_add_f32_e32 v3, v2, v3
	v_cndmask_b32_e32 v2, v2, v3, vcc
	s_and_saveexec_b64 s[10:11], s[8:9]
	s_cbranch_execz .LBB16_9
; %bb.8:
	v_lshrrev_b32_e32 v3, 4, v0
	v_and_b32_e32 v3, 60, v3
	ds_write_b32 v3, v2 offset:128
.LBB16_9:
	s_or_b64 exec, exec, s[10:11]
	v_cmp_gt_u32_e64 s[10:11], 16, v0
	v_lshlrev_b32_e32 v12, 2, v4
	v_and_b32_e32 v6, 15, v4
	s_waitcnt lgkmcnt(0)
	s_barrier
	s_and_saveexec_b64 s[14:15], s[10:11]
	s_cbranch_execz .LBB16_11
; %bb.10:
	ds_read_b32 v2, v12 offset:128
	v_cmp_ne_u32_e32 vcc, 15, v6
	v_addc_co_u32_e32 v3, vcc, 0, v4, vcc
	v_lshlrev_b32_e32 v3, 2, v3
	s_waitcnt lgkmcnt(0)
	ds_bpermute_b32 v3, v3, v2
	v_add_u32_e32 v1, 63, v1
	v_add_u32_e32 v20, 1, v6
	v_lshrrev_b32_e32 v1, 6, v1
	v_cmp_gt_u32_e64 s[12:13], 14, v6
	v_cmp_lt_u32_e32 vcc, v20, v1
	v_cndmask_b32_e64 v20, 0, 1, s[12:13]
	s_waitcnt lgkmcnt(0)
	v_add_f32_e32 v3, v2, v3
	v_lshlrev_b32_e32 v20, 1, v20
	v_cndmask_b32_e32 v3, v2, v3, vcc
	v_add_lshl_u32 v20, v20, v4, 2
	ds_bpermute_b32 v20, v20, v3
	v_add_u32_e32 v21, 2, v6
	v_cmp_lt_u32_e64 s[12:13], v21, v1
	v_add_u32_e32 v21, 4, v6
	s_waitcnt lgkmcnt(0)
	v_add_f32_e32 v20, v3, v20
	v_cndmask_b32_e64 v3, v3, v20, s[12:13]
	v_cmp_gt_u32_e64 s[12:13], 12, v6
	v_cndmask_b32_e64 v20, 0, 1, s[12:13]
	v_lshlrev_b32_e32 v20, 2, v20
	v_add_lshl_u32 v20, v20, v4, 2
	ds_bpermute_b32 v20, v20, v3
	v_cmp_lt_u32_e64 s[12:13], v21, v1
	v_add_u32_e32 v21, 8, v6
	s_waitcnt lgkmcnt(0)
	v_add_f32_e32 v20, v3, v20
	v_cndmask_b32_e64 v3, v3, v20, s[12:13]
	v_cmp_gt_u32_e64 s[12:13], 8, v6
	v_cndmask_b32_e64 v20, 0, 1, s[12:13]
	v_lshlrev_b32_e32 v20, 3, v20
	v_add_lshl_u32 v20, v20, v4, 2
	ds_bpermute_b32 v20, v20, v3
	v_cmp_lt_u32_e64 s[12:13], v21, v1
	s_waitcnt lgkmcnt(0)
	v_add_f32_e32 v20, v3, v20
	v_cndmask_b32_e64 v1, v3, v20, s[12:13]
	v_cndmask_b32_e32 v2, v2, v1, vcc
.LBB16_11:
	s_or_b64 exec, exec, s[14:15]
	s_mov_b32 s7, 0
	v_cmp_eq_u32_e64 s[12:13], 0, v0
	s_and_saveexec_b64 s[14:15], s[12:13]
	s_cbranch_execz .LBB16_13
; %bb.12:
	v_cvt_f32_i32_e32 v1, s37
	v_div_scale_f32 v3, s[16:17], v1, v1, v2
	v_rcp_f32_e32 v20, v3
	v_div_scale_f32 v21, vcc, v2, v1, v2
	s_mov_b32 s16, 0x800000
	v_fma_f32 v22, -v3, v20, 1.0
	v_fmac_f32_e32 v20, v22, v20
	v_mul_f32_e32 v22, v21, v20
	v_fma_f32 v23, -v3, v22, v21
	v_fmac_f32_e32 v22, v23, v20
	v_fma_f32 v3, -v3, v22, v21
	v_div_fmas_f32 v3, v3, v20, v22
	v_div_fixup_f32 v1, v3, v1, v2
	v_add_f32_e32 v1, s36, v1
	v_mul_f32_e32 v2, 0x4b800000, v1
	v_cmp_gt_f32_e32 vcc, s16, v1
	v_cndmask_b32_e32 v1, v1, v2, vcc
	v_rsq_f32_e32 v1, v1
	v_mul_f32_e32 v2, 0x45800000, v1
	v_cndmask_b32_e32 v1, v1, v2, vcc
	v_mov_b32_e32 v2, 0
	ds_write_b32 v2, v1 offset:264
.LBB16_13:
	s_or_b64 exec, exec, s[14:15]
	v_mov_b32_e32 v1, 0
	s_waitcnt lgkmcnt(0)
	s_barrier
	ds_read_b32 v1, v1 offset:264
	s_waitcnt lgkmcnt(0)
	s_barrier
	s_waitcnt lgkmcnt(0)
                                        ; implicit-def: $sgpr16
                                        ; implicit-def: $sgpr14_sgpr15
	s_and_saveexec_b64 s[18:19], s[2:3]
	s_xor_b64 s[2:3], exec, s[18:19]
; %bb.14:
	s_add_u32 s14, s4, 64
	s_addc_u32 s15, s5, 0
	s_mov_b32 s16, 0
; %bb.15:
	s_or_saveexec_b64 s[2:3], s[2:3]
	v_mov_b32_e32 v20, s16
	v_pk_mov_b32 v[2:3], s[14:15], s[14:15] op_sel:[0,1]
	s_mul_hi_u32 s33, s38, s6
	s_mul_i32 s22, s38, s6
	s_xor_b64 exec, exec, s[2:3]
	s_cbranch_execz .LBB16_19
; %bb.16:
	s_ashr_i32 s14, s38, 31
	s_mul_i32 s14, s14, s6
	s_add_i32 s23, s33, s14
	s_load_dword s16, s[4:5], 0x4c
	s_lshl_b64 s[14:15], s[22:23], 1
	s_add_u32 s18, s28, s14
	s_addc_u32 s20, s29, s15
	s_add_u32 s14, s4, 64
	s_addc_u32 s15, s5, 0
	s_waitcnt lgkmcnt(0)
	s_and_b32 s19, s16, 0xffff
	s_mov_b64 s[16:17], 0
	v_mov_b32_e32 v3, 0
	v_mov_b32_e32 v21, s20
	s_movk_i32 s20, 0x7fff
	v_mov_b32_e32 v22, s31
	v_mov_b32_e32 v23, 0x7fc00000
	v_mov_b32_e32 v20, 0
	v_mov_b32_e32 v2, v0
.LBB16_17:                              ; =>This Inner Loop Header: Depth=1
	v_lshlrev_b64 v[24:25], 1, v[2:3]
	v_add_co_u32_e32 v26, vcc, s18, v24
	v_addc_co_u32_e32 v27, vcc, v21, v25, vcc
	v_add_co_u32_e32 v24, vcc, s30, v24
	v_addc_co_u32_e32 v25, vcc, v22, v25, vcc
	global_load_ushort v28, v[26:27], off
	global_load_ushort v29, v[24:25], off
	v_add_u32_e32 v2, s19, v2
	v_cmp_le_u32_e32 vcc, s37, v2
	s_or_b64 s[16:17], vcc, s[16:17]
	v_max_f32_e32 v20, v20, v20
	s_waitcnt vmcnt(1)
	v_lshlrev_b32_e32 v24, 16, v28
	v_mul_f32_e32 v24, v1, v24
	v_bfe_u32 v26, v24, 16, 1
	v_add3_u32 v26, v24, v26, s20
	v_and_b32_e32 v26, 0xffff0000, v26
	v_cmp_o_f32_e32 vcc, v24, v24
	s_waitcnt vmcnt(0)
	v_lshlrev_b32_e32 v25, 16, v29
	v_cndmask_b32_e32 v24, v23, v26, vcc
	v_mul_f32_e32 v24, v24, v25
	v_bfe_u32 v25, v24, 16, 1
	v_add3_u32 v25, v24, v25, s20
	v_and_b32_e32 v25, 0xffff0000, v25
	v_cmp_o_f32_e32 vcc, v24, v24
	v_cndmask_b32_e64 v24, v23, |v25|, vcc
	v_max_f32_e32 v24, v24, v24
	v_max_f32_e32 v20, v20, v24
	s_andn2_b64 exec, exec, s[16:17]
	s_cbranch_execnz .LBB16_17
; %bb.18:
	s_or_b64 exec, exec, s[16:17]
	v_pk_mov_b32 v[2:3], s[14:15], s[14:15] op_sel:[0,1]
.LBB16_19:
	s_or_b64 exec, exec, s[2:3]
	global_load_dword v21, v[2:3], off
	s_waitcnt vmcnt(0)
	v_cmp_lt_u32_e32 vcc, s6, v21
	v_cndmask_b32_e64 v21, 18, 12, vcc
	v_add_co_u32_e32 v2, vcc, v2, v21
	v_addc_co_u32_e32 v3, vcc, 0, v3, vcc
	global_load_ushort v2, v[2:3], off
	ds_bpermute_b32 v3, v14, v20
	s_waitcnt lgkmcnt(0)
	v_cmp_lt_f32_e32 vcc, v20, v3
	v_cndmask_b32_e32 v3, v20, v3, vcc
	s_waitcnt vmcnt(0)
	v_sub_u32_e64 v5, v2, v5 clamp
	v_cmp_lt_u32_e32 vcc, v7, v5
	v_cndmask_b32_e32 v3, v20, v3, vcc
	ds_bpermute_b32 v7, v13, v3
	v_cmp_lt_u32_e64 s[18:19], v19, v5
	s_waitcnt lgkmcnt(0)
	v_cmp_lt_f32_e64 s[2:3], v3, v7
	v_cndmask_b32_e64 v7, v3, v7, s[2:3]
	v_cmp_lt_u32_e64 s[2:3], v8, v5
	v_cndmask_b32_e64 v3, v3, v7, s[2:3]
	ds_bpermute_b32 v7, v15, v3
	s_or_b64 s[2:3], vcc, s[2:3]
	s_waitcnt lgkmcnt(0)
	v_cmp_lt_f32_e64 s[14:15], v3, v7
	v_cndmask_b32_e64 v7, v3, v7, s[14:15]
	v_cmp_lt_u32_e64 s[14:15], v10, v5
	v_cndmask_b32_e64 v3, v3, v7, s[14:15]
	ds_bpermute_b32 v7, v16, v3
	s_or_b64 s[2:3], s[14:15], s[2:3]
	s_waitcnt lgkmcnt(0)
	v_cmp_lt_f32_e64 s[16:17], v3, v7
	v_cndmask_b32_e64 v7, v3, v7, s[16:17]
	v_cmp_lt_u32_e64 s[16:17], v11, v5
	v_cndmask_b32_e64 v3, v3, v7, s[16:17]
	ds_bpermute_b32 v7, v18, v3
	s_or_b64 s[2:3], s[16:17], s[2:3]
	;; [unrolled: 7-line block ×3, first 2 shown]
	s_waitcnt lgkmcnt(0)
	v_cmp_lt_f32_e32 vcc, v3, v5
	s_and_b64 vcc, s[18:19], vcc
	v_cndmask_b32_e32 v3, v3, v5, vcc
	s_or_b64 vcc, s[18:19], s[2:3]
	v_cndmask_b32_e32 v3, v20, v3, vcc
	s_and_saveexec_b64 s[2:3], s[8:9]
	s_cbranch_execz .LBB16_21
; %bb.20:
	v_lshrrev_b32_e32 v5, 4, v0
	v_and_b32_e32 v5, 60, v5
	ds_write_b32 v5, v3 offset:192
.LBB16_21:
	s_or_b64 exec, exec, s[2:3]
	s_waitcnt lgkmcnt(0)
	s_barrier
	s_and_saveexec_b64 s[14:15], s[10:11]
	s_cbranch_execz .LBB16_23
; %bb.22:
	ds_read_b32 v3, v12 offset:192
	v_cmp_ne_u32_e32 vcc, 15, v6
	v_addc_co_u32_e32 v5, vcc, 0, v4, vcc
	v_lshlrev_b32_e32 v5, 2, v5
	s_waitcnt lgkmcnt(0)
	ds_bpermute_b32 v5, v5, v3
	v_add_u32_e32 v2, 63, v2
	v_add_u32_e32 v7, 1, v6
	v_lshrrev_b32_e32 v2, 6, v2
	v_cmp_gt_u32_e64 s[2:3], 14, v6
	s_waitcnt lgkmcnt(0)
	v_cmp_lt_f32_e32 vcc, v3, v5
	v_cndmask_b32_e32 v5, v3, v5, vcc
	v_cmp_lt_u32_e32 vcc, v7, v2
	v_cndmask_b32_e64 v7, 0, 1, s[2:3]
	v_lshlrev_b32_e32 v7, 1, v7
	v_cndmask_b32_e32 v5, v3, v5, vcc
	v_add_lshl_u32 v7, v7, v4, 2
	ds_bpermute_b32 v7, v7, v5
	v_add_u32_e32 v8, 2, v6
	s_waitcnt lgkmcnt(0)
	v_cmp_lt_f32_e64 s[2:3], v5, v7
	v_cndmask_b32_e64 v7, v5, v7, s[2:3]
	v_cmp_lt_u32_e64 s[2:3], v8, v2
	v_cndmask_b32_e64 v5, v5, v7, s[2:3]
	v_cmp_gt_u32_e64 s[2:3], 12, v6
	v_cndmask_b32_e64 v7, 0, 1, s[2:3]
	v_lshlrev_b32_e32 v7, 2, v7
	v_add_lshl_u32 v7, v7, v4, 2
	ds_bpermute_b32 v7, v7, v5
	v_add_u32_e32 v8, 4, v6
	s_waitcnt lgkmcnt(0)
	v_cmp_lt_f32_e64 s[2:3], v5, v7
	v_cndmask_b32_e64 v7, v5, v7, s[2:3]
	v_cmp_lt_u32_e64 s[2:3], v8, v2
	v_cndmask_b32_e64 v5, v5, v7, s[2:3]
	v_cmp_gt_u32_e64 s[2:3], 8, v6
	v_cndmask_b32_e64 v7, 0, 1, s[2:3]
	v_lshlrev_b32_e32 v7, 3, v7
	v_add_lshl_u32 v4, v7, v4, 2
	ds_bpermute_b32 v4, v4, v5
	v_add_u32_e32 v6, 8, v6
	v_cmp_lt_u32_e64 s[2:3], v6, v2
	s_waitcnt lgkmcnt(0)
	v_cmp_lt_f32_e64 s[8:9], v5, v4
	s_and_b64 s[2:3], s[2:3], s[8:9]
	v_cndmask_b32_e64 v2, v5, v4, s[2:3]
	v_cndmask_b32_e32 v3, v3, v2, vcc
.LBB16_23:
	s_or_b64 exec, exec, s[14:15]
	s_and_saveexec_b64 s[2:3], s[12:13]
	s_cbranch_execz .LBB16_27
; %bb.24:
	s_cmp_eq_u64 s[34:35], 0
	s_cbranch_scc1 .LBB16_26
; %bb.25:
	s_load_dword s8, s[34:35], 0x0
	v_max_f32_e32 v2, v3, v3
	s_waitcnt lgkmcnt(0)
	v_max_f32_e64 v3, s8, s8
	v_min_f32_e32 v3, v2, v3
.LBB16_26:
	s_mov_b32 s10, 0x43600000
	v_div_scale_f32 v2, s[8:9], s10, s10, v3
	v_rcp_f32_e32 v4, v2
	v_div_scale_f32 v5, vcc, v3, s10, v3
	s_lshl_b64 s[8:9], s[6:7], 2
	v_fma_f32 v6, -v2, v4, 1.0
	v_fmac_f32_e32 v4, v6, v4
	v_mul_f32_e32 v6, v5, v4
	v_fma_f32 v7, -v2, v6, v5
	v_fmac_f32_e32 v6, v7, v4
	v_fma_f32 v2, -v2, v6, v5
	v_div_fmas_f32 v2, v2, v4, v6
	v_div_fixup_f32 v2, v2, s10, v3
	s_add_u32 s8, s26, s8
	v_max_f32_e32 v2, 0x37124925, v2
	v_mov_b32_e32 v3, 0
	s_addc_u32 s9, s27, s9
	ds_write_b32 v3, v2 offset:268
	global_store_dword v3, v2, s[8:9]
.LBB16_27:
	s_or_b64 exec, exec, s[2:3]
	s_waitcnt lgkmcnt(0)
	s_barrier
	s_and_saveexec_b64 s[2:3], s[0:1]
	s_cbranch_execz .LBB16_38
; %bb.28:
	s_ashr_i32 s0, s37, 31
	s_mul_hi_u32 s1, s37, s6
	s_mul_i32 s0, s0, s6
	s_add_i32 s8, s1, s0
	s_ashr_i32 s0, s38, 31
	s_mul_i32 s0, s0, s6
	s_add_i32 s23, s33, s0
	v_mov_b32_e32 v3, 0
	s_lshl_b64 s[0:1], s[22:23], 1
	s_load_dword s10, s[4:5], 0x4c
	ds_read_b32 v4, v3 offset:268
	s_add_u32 s7, s28, s0
	s_mul_i32 s9, s37, s6
	s_addc_u32 s11, s29, s1
	s_add_u32 s14, s24, s9
	s_addc_u32 s8, s25, s8
	s_waitcnt lgkmcnt(0)
	s_and_b32 s15, s10, 0xffff
	s_mov_b64 s[0:1], 0
	v_mov_b32_e32 v5, s11
	s_movk_i32 s16, 0x7fff
	v_mov_b32_e32 v6, s31
	v_mov_b32_e32 v7, 0x7fc00000
	s_mov_b32 s17, 0x43800000
	s_mov_b32 s18, 0x3bffffff
	;; [unrolled: 1-line block ×4, first 2 shown]
	s_movk_i32 s21, 0x80
	v_mov_b32_e32 v8, s8
	v_mov_b32_e32 v2, v0
	s_branch .LBB16_31
.LBB16_29:                              ;   in Loop: Header=BB16_31 Depth=1
	s_or_b64 exec, exec, s[12:13]
.LBB16_30:                              ;   in Loop: Header=BB16_31 Depth=1
	s_or_b64 exec, exec, s[8:9]
	v_add_co_u32_e32 v12, vcc, s14, v2
	v_addc_co_u32_e32 v13, vcc, 0, v8, vcc
	v_add_u32_e32 v2, s15, v2
	v_cmp_le_u32_e32 vcc, s37, v2
	s_or_b64 s[0:1], vcc, s[0:1]
	global_store_byte v[12:13], v11, off
	s_andn2_b64 exec, exec, s[0:1]
	s_cbranch_execz .LBB16_38
.LBB16_31:                              ; =>This Inner Loop Header: Depth=1
	v_lshlrev_b64 v[10:11], 1, v[2:3]
	v_add_co_u32_e32 v12, vcc, s7, v10
	v_addc_co_u32_e32 v13, vcc, v5, v11, vcc
	global_load_ushort v9, v[12:13], off
	v_add_co_u32_e32 v10, vcc, s30, v10
	v_addc_co_u32_e32 v11, vcc, v6, v11, vcc
	global_load_ushort v10, v[10:11], off
	s_waitcnt vmcnt(1)
	v_lshlrev_b32_e32 v9, 16, v9
	v_mul_f32_e32 v9, v1, v9
	v_bfe_u32 v11, v9, 16, 1
	v_add3_u32 v11, v9, v11, s16
	v_and_b32_e32 v11, 0xffff0000, v11
	v_cmp_o_f32_e32 vcc, v9, v9
	s_waitcnt vmcnt(0)
	v_lshlrev_b32_e32 v10, 16, v10
	v_cndmask_b32_e32 v9, v7, v11, vcc
	v_mul_f32_e32 v9, v9, v10
	v_bfe_u32 v10, v9, 16, 1
	v_add3_u32 v10, v9, v10, s16
	v_and_b32_e32 v10, 0xffff0000, v10
	v_cmp_o_f32_e32 vcc, v9, v9
	v_cndmask_b32_e32 v9, v7, v10, vcc
	v_div_scale_f32 v10, s[8:9], v4, v4, v9
	v_rcp_f32_e32 v11, v10
	v_div_scale_f32 v12, vcc, v9, v4, v9
	v_fma_f32 v13, -v10, v11, 1.0
	v_fmac_f32_e32 v11, v13, v11
	v_mul_f32_e32 v13, v12, v11
	v_fma_f32 v14, -v10, v13, v12
	v_fmac_f32_e32 v13, v14, v11
	v_fma_f32 v10, -v10, v13, v12
	v_div_fmas_f32 v10, v10, v11, v13
	v_div_fixup_f32 v9, v10, v4, v9
	v_min_f32_e32 v9, 0x43600000, v9
	v_max_f32_e32 v9, 0xc3600000, v9
	v_and_b32_e32 v10, 0x7fffffff, v9
	v_cmp_gt_u32_e32 vcc, s17, v10
	v_mov_b32_e32 v11, 0x80
	s_and_saveexec_b64 s[8:9], vcc
	s_cbranch_execz .LBB16_30
; %bb.32:                               ;   in Loop: Header=BB16_31 Depth=1
	v_cmp_lt_u32_e32 vcc, s18, v10
	s_mov_b64 s[10:11], 0
                                        ; implicit-def: $vgpr10
	s_and_saveexec_b64 s[12:13], vcc
	s_xor_b64 s[12:13], exec, s[12:13]
	s_cbranch_execnz .LBB16_35
; %bb.33:                               ;   in Loop: Header=BB16_31 Depth=1
	s_or_saveexec_b64 s[12:13], s[12:13]
                                        ; implicit-def: $sgpr22
	s_xor_b64 exec, exec, s[12:13]
	s_cbranch_execnz .LBB16_36
.LBB16_34:                              ;   in Loop: Header=BB16_31 Depth=1
	s_or_b64 exec, exec, s[12:13]
	v_mov_b32_e32 v11, s22
	s_and_saveexec_b64 s[12:13], s[10:11]
	s_cbranch_execz .LBB16_29
	s_branch .LBB16_37
.LBB16_35:                              ;   in Loop: Header=BB16_31 Depth=1
	v_bfe_u32 v10, v9, 20, 1
	v_add3_u32 v10, v9, v10, s19
	s_mov_b64 s[10:11], exec
	v_lshrrev_b32_e32 v10, 20, v10
	s_or_saveexec_b64 s[12:13], s[12:13]
                                        ; implicit-def: $sgpr22
	s_xor_b64 exec, exec, s[12:13]
	s_cbranch_execz .LBB16_34
.LBB16_36:                              ;   in Loop: Header=BB16_31 Depth=1
	v_add_f32_e64 v10, |v9|, s20
	v_and_b32_e32 v10, 0xff, v10
	v_cmp_ne_u32_e32 vcc, 0, v10
	s_andn2_b64 s[10:11], s[10:11], exec
	s_and_b64 s[40:41], vcc, exec
	s_mov_b32 s22, 0
	s_or_b64 s[10:11], s[10:11], s[40:41]
	s_or_b64 exec, exec, s[12:13]
	v_mov_b32_e32 v11, s22
	s_and_saveexec_b64 s[12:13], s[10:11]
	s_cbranch_execz .LBB16_29
.LBB16_37:                              ;   in Loop: Header=BB16_31 Depth=1
	v_lshrrev_b32_e32 v9, 24, v9
	v_and_or_b32 v11, v9, s21, v10
	s_branch .LBB16_29
.LBB16_38:
	s_or_b64 exec, exec, s[2:3]
	s_branch .LBB16_211
.LBB16_39:
	s_cbranch_execz .LBB16_211
; %bb.40:
	s_ashr_i32 s0, s38, 31
	s_mul_hi_u32 s1, s38, s6
	s_mul_i32 s0, s0, s6
	s_add_i32 s1, s1, s0
	s_mul_i32 s0, s38, s6
	s_lshl_b64 s[0:1], s[0:1], 1
	s_load_dword s18, s[4:5], 0x40
	s_add_u32 s33, s28, s0
	s_addc_u32 s48, s29, s1
	s_ashr_i32 s49, s37, 2
	s_add_u32 s19, s4, 64
	s_mov_b32 s7, 0
	v_cmp_gt_u32_e64 s[0:1], s49, v0
	s_addc_u32 s20, s5, 0
	v_mov_b32_e32 v10, 0
	s_and_saveexec_b64 s[2:3], s[0:1]
	s_cbranch_execz .LBB16_50
; %bb.41:
	s_waitcnt lgkmcnt(0)
	s_cmp_lt_u32 s6, s18
	s_cselect_b32 s4, 12, 18
	s_add_u32 s4, s19, s4
	s_addc_u32 s5, s20, 0
	v_mov_b32_e32 v3, 0
	global_load_ushort v1, v3, s[4:5]
	s_mov_b64 s[4:5], 0
	v_mov_b32_e32 v8, s48
	v_mov_b32_e32 v2, v0
	;; [unrolled: 1-line block ×3, first 2 shown]
                                        ; implicit-def: $sgpr8_sgpr9
	s_waitcnt vmcnt(0)
	v_add_u32_e32 v4, v1, v1
	v_mul_lo_u32 v9, v1, 3
	v_lshlrev_b32_e32 v11, 1, v1
	v_add_u32_e32 v12, v4, v1
	s_branch .LBB16_45
.LBB16_42:                              ;   in Loop: Header=BB16_45 Depth=1
	s_or_b64 exec, exec, s[14:15]
	s_orn2_b64 s[14:15], s[16:17], exec
.LBB16_43:                              ;   in Loop: Header=BB16_45 Depth=1
	s_or_b64 exec, exec, s[12:13]
	s_andn2_b64 s[8:9], s[8:9], exec
	s_and_b64 s[12:13], s[14:15], exec
	s_or_b64 s[8:9], s[8:9], s[12:13]
.LBB16_44:                              ;   in Loop: Header=BB16_45 Depth=1
	s_or_b64 exec, exec, s[10:11]
	s_and_b64 s[10:11], exec, s[8:9]
	s_or_b64 s[4:5], s[10:11], s[4:5]
	s_andn2_b64 exec, exec, s[4:5]
	s_cbranch_execz .LBB16_49
.LBB16_45:                              ; =>This Inner Loop Header: Depth=1
	v_lshlrev_b64 v[4:5], 3, v[2:3]
	v_add_co_u32_e32 v4, vcc, s33, v4
	v_addc_co_u32_e32 v5, vcc, v8, v5, vcc
	global_load_dwordx2 v[6:7], v[4:5], off
	v_add_u32_e32 v4, v2, v1
	v_cmp_gt_u32_e32 vcc, s49, v4
	s_or_b64 s[8:9], s[8:9], exec
	s_waitcnt vmcnt(0)
	v_lshlrev_b32_e32 v13, 16, v6
	v_and_b32_e32 v5, 0xffff0000, v6
	v_alignbit_b32 v6, v7, v6, 16
	v_fmac_f32_e32 v10, v13, v13
	v_and_b32_e32 v6, 0xffff0000, v6
	v_fmac_f32_e32 v10, v5, v5
	v_and_b32_e32 v7, 0xffff0000, v7
	v_fmac_f32_e32 v10, v6, v6
	v_fmac_f32_e32 v10, v7, v7
	s_and_saveexec_b64 s[10:11], vcc
	s_cbranch_execz .LBB16_44
; %bb.46:                               ;   in Loop: Header=BB16_45 Depth=1
	v_mov_b32_e32 v5, v3
	v_lshlrev_b64 v[6:7], 3, v[4:5]
	v_add_co_u32_e32 v6, vcc, s33, v6
	v_addc_co_u32_e32 v7, vcc, v8, v7, vcc
	global_load_dwordx2 v[14:15], v[6:7], off
	v_add_u32_e32 v6, v11, v2
	v_cmp_gt_u32_e32 vcc, s49, v6
	s_mov_b64 s[14:15], -1
	s_waitcnt vmcnt(0)
	v_lshlrev_b32_e32 v7, 16, v14
	v_and_b32_e32 v5, 0xffff0000, v14
	v_alignbit_b32 v13, v15, v14, 16
	v_fmac_f32_e32 v10, v7, v7
	v_and_b32_e32 v13, 0xffff0000, v13
	v_fmac_f32_e32 v10, v5, v5
	v_and_b32_e32 v14, 0xffff0000, v15
	v_fmac_f32_e32 v10, v13, v13
	v_fmac_f32_e32 v10, v14, v14
	s_and_saveexec_b64 s[12:13], vcc
	s_cbranch_execz .LBB16_43
; %bb.47:                               ;   in Loop: Header=BB16_45 Depth=1
	v_mov_b32_e32 v7, v3
	v_lshlrev_b64 v[6:7], 3, v[6:7]
	v_add_co_u32_e32 v6, vcc, s33, v6
	v_addc_co_u32_e32 v7, vcc, v8, v7, vcc
	global_load_dwordx2 v[6:7], v[6:7], off
	v_add_u32_e32 v2, v9, v2
	v_cmp_gt_u32_e32 vcc, s49, v2
	s_mov_b64 s[16:17], -1
	s_waitcnt vmcnt(0)
	v_lshlrev_b32_e32 v13, 16, v6
	v_and_b32_e32 v5, 0xffff0000, v6
	v_alignbit_b32 v6, v7, v6, 16
	v_fmac_f32_e32 v10, v13, v13
	v_and_b32_e32 v6, 0xffff0000, v6
	v_fmac_f32_e32 v10, v5, v5
	v_and_b32_e32 v7, 0xffff0000, v7
	v_fmac_f32_e32 v10, v6, v6
	v_fmac_f32_e32 v10, v7, v7
	s_and_saveexec_b64 s[14:15], vcc
	s_xor_b64 s[14:15], exec, s[14:15]
	s_cbranch_execz .LBB16_42
; %bb.48:                               ;   in Loop: Header=BB16_45 Depth=1
	v_lshlrev_b64 v[6:7], 3, v[2:3]
	v_add_co_u32_e32 v6, vcc, s33, v6
	v_addc_co_u32_e32 v7, vcc, v8, v7, vcc
	global_load_dwordx2 v[6:7], v[6:7], off
	v_add_u32_e32 v2, v12, v4
	v_cmp_le_u32_e32 vcc, s49, v2
	s_orn2_b64 s[16:17], vcc, exec
	s_waitcnt vmcnt(0)
	v_lshlrev_b32_e32 v5, 16, v6
	v_and_b32_e32 v4, 0xffff0000, v6
	v_alignbit_b32 v6, v7, v6, 16
	v_fmac_f32_e32 v10, v5, v5
	v_and_b32_e32 v6, 0xffff0000, v6
	v_fmac_f32_e32 v10, v4, v4
	v_and_b32_e32 v7, 0xffff0000, v7
	v_fmac_f32_e32 v10, v6, v6
	v_fmac_f32_e32 v10, v7, v7
	s_branch .LBB16_42
.LBB16_49:
	s_or_b64 exec, exec, s[4:5]
.LBB16_50:
	s_or_b64 exec, exec, s[2:3]
	s_waitcnt lgkmcnt(0)
	s_cmp_lt_u32 s6, s18
	s_cselect_b32 s2, 12, 18
	s_add_u32 s2, s19, s2
	s_addc_u32 s3, s20, 0
	v_mov_b32_e32 v1, 0
	global_load_ushort v2, v1, s[2:3]
	v_mbcnt_lo_u32_b32 v1, -1, 0
	v_mbcnt_hi_u32_b32 v1, -1, v1
	v_and_b32_e32 v4, 63, v1
	v_cmp_ne_u32_e32 vcc, 63, v4
	v_addc_co_u32_e32 v8, vcc, 0, v1, vcc
	v_lshlrev_b32_e32 v8, 2, v8
	ds_bpermute_b32 v11, v8, v10
	v_and_b32_e32 v3, 0x3c0, v0
	v_cmp_gt_u32_e32 vcc, 62, v4
	v_add_u32_e32 v5, 1, v1
	v_cndmask_b32_e64 v9, 0, 1, vcc
	v_lshlrev_b32_e32 v9, 1, v9
	s_waitcnt lgkmcnt(0)
	v_add_f32_e32 v11, v10, v11
	v_add_lshl_u32 v9, v9, v1, 2
	v_cmp_gt_u32_e32 vcc, 60, v4
	v_add_u32_e32 v6, 2, v1
	v_add_u32_e32 v7, 4, v1
	;; [unrolled: 1-line block ×4, first 2 shown]
	v_cmp_eq_u32_e64 s[14:15], 0, v1
	s_waitcnt vmcnt(0)
	v_sub_u32_e64 v3, v2, v3 clamp
	v_cmp_lt_u32_e64 s[2:3], v5, v3
	v_cndmask_b32_e64 v5, v10, v11, s[2:3]
	ds_bpermute_b32 v10, v9, v5
	v_cndmask_b32_e64 v11, 0, 1, vcc
	v_lshlrev_b32_e32 v11, 2, v11
	v_cmp_lt_u32_e64 s[4:5], v6, v3
	v_add_lshl_u32 v11, v11, v1, 2
	s_waitcnt lgkmcnt(0)
	v_add_f32_e32 v10, v5, v10
	v_cndmask_b32_e64 v5, v5, v10, s[4:5]
	ds_bpermute_b32 v6, v11, v5
	v_cmp_gt_u32_e32 vcc, 56, v4
	v_cndmask_b32_e64 v10, 0, 1, vcc
	v_lshlrev_b32_e32 v10, 3, v10
	v_cmp_lt_u32_e64 s[8:9], v7, v3
	s_waitcnt lgkmcnt(0)
	v_add_f32_e32 v6, v5, v6
	v_add_lshl_u32 v12, v10, v1, 2
	v_cndmask_b32_e64 v5, v5, v6, s[8:9]
	ds_bpermute_b32 v6, v12, v5
	v_cmp_gt_u32_e32 vcc, 48, v4
	v_cndmask_b32_e64 v7, 0, 1, vcc
	v_lshlrev_b32_e32 v7, 4, v7
	v_cmp_lt_u32_e64 s[10:11], v14, v3
	s_waitcnt lgkmcnt(0)
	v_add_f32_e32 v6, v5, v6
	v_add_lshl_u32 v13, v7, v1, 2
	v_cndmask_b32_e64 v5, v5, v6, s[10:11]
	ds_bpermute_b32 v6, v13, v5
	v_cmp_gt_u32_e32 vcc, 32, v4
	v_cndmask_b32_e64 v4, 0, 1, vcc
	v_lshlrev_b32_e32 v4, 5, v4
	v_add_lshl_u32 v14, v4, v1, 2
	s_waitcnt lgkmcnt(0)
	v_add_f32_e32 v4, v5, v6
	v_cmp_lt_u32_e64 s[12:13], v15, v3
	v_cndmask_b32_e64 v4, v5, v4, s[12:13]
	ds_bpermute_b32 v5, v14, v4
	v_add_u32_e32 v6, 32, v1
	v_readfirstlane_b32 s50, v2
	v_cmp_lt_u32_e64 s[20:21], v6, v3
	s_waitcnt lgkmcnt(0)
	v_add_f32_e32 v2, v4, v5
	v_cndmask_b32_e64 v2, v4, v2, s[20:21]
	s_and_saveexec_b64 s[16:17], s[14:15]
	s_cbranch_execz .LBB16_52
; %bb.51:
	v_lshrrev_b32_e32 v3, 4, v0
	v_and_b32_e32 v3, 60, v3
	ds_write_b32 v3, v2
.LBB16_52:
	s_or_b64 exec, exec, s[16:17]
	v_cmp_gt_u32_e64 s[16:17], 16, v0
	s_waitcnt lgkmcnt(0)
	s_barrier
	s_and_saveexec_b64 s[22:23], s[16:17]
	s_cbranch_execz .LBB16_54
; %bb.53:
	v_lshlrev_b32_e32 v2, 2, v1
	ds_read_b32 v2, v2
	v_and_b32_e32 v3, 15, v1
	v_cmp_ne_u32_e32 vcc, 15, v3
	v_addc_co_u32_e32 v4, vcc, 0, v1, vcc
	v_lshlrev_b32_e32 v4, 2, v4
	s_waitcnt lgkmcnt(0)
	ds_bpermute_b32 v4, v4, v2
	s_add_i32 s18, s50, 63
	s_lshr_b32 s28, s18, 6
	v_add_u32_e32 v5, 1, v3
	v_cmp_gt_u32_e64 s[18:19], 14, v3
	v_cmp_gt_u32_e32 vcc, s28, v5
	v_cndmask_b32_e64 v5, 0, 1, s[18:19]
	s_waitcnt lgkmcnt(0)
	v_add_f32_e32 v4, v2, v4
	v_lshlrev_b32_e32 v5, 1, v5
	v_cndmask_b32_e32 v4, v2, v4, vcc
	v_add_lshl_u32 v5, v5, v1, 2
	ds_bpermute_b32 v5, v5, v4
	v_add_u32_e32 v6, 2, v3
	v_cmp_gt_u32_e64 s[18:19], s28, v6
	v_add_u32_e32 v6, 4, v3
	s_waitcnt lgkmcnt(0)
	v_add_f32_e32 v5, v4, v5
	v_cndmask_b32_e64 v4, v4, v5, s[18:19]
	v_cmp_gt_u32_e64 s[18:19], 12, v3
	v_cndmask_b32_e64 v5, 0, 1, s[18:19]
	v_lshlrev_b32_e32 v5, 2, v5
	v_add_lshl_u32 v5, v5, v1, 2
	ds_bpermute_b32 v5, v5, v4
	v_cmp_gt_u32_e64 s[18:19], s28, v6
	s_waitcnt lgkmcnt(0)
	v_add_f32_e32 v5, v4, v5
	v_cndmask_b32_e64 v4, v4, v5, s[18:19]
	v_cmp_gt_u32_e64 s[18:19], 8, v3
	v_cndmask_b32_e64 v5, 0, 1, s[18:19]
	v_lshlrev_b32_e32 v5, 3, v5
	v_add_lshl_u32 v5, v5, v1, 2
	ds_bpermute_b32 v5, v5, v4
	v_add_u32_e32 v3, 8, v3
	v_cmp_gt_u32_e64 s[18:19], s28, v3
	s_waitcnt lgkmcnt(0)
	v_add_f32_e32 v5, v4, v5
	v_cndmask_b32_e64 v3, v4, v5, s[18:19]
	v_cndmask_b32_e32 v2, v2, v3, vcc
.LBB16_54:
	s_or_b64 exec, exec, s[22:23]
	v_cmp_eq_u32_e64 s[18:19], 0, v0
	s_and_saveexec_b64 s[22:23], s[18:19]
	s_cbranch_execz .LBB16_56
; %bb.55:
	v_cvt_f32_i32_e32 v3, s37
	v_div_scale_f32 v4, s[28:29], v3, v3, v2
	v_rcp_f32_e32 v5, v4
	v_div_scale_f32 v6, vcc, v2, v3, v2
	s_mov_b32 s28, 0x800000
	v_fma_f32 v7, -v4, v5, 1.0
	v_fmac_f32_e32 v5, v7, v5
	v_mul_f32_e32 v7, v6, v5
	v_fma_f32 v10, -v4, v7, v6
	v_fmac_f32_e32 v7, v10, v5
	v_fma_f32 v4, -v4, v7, v6
	v_div_fmas_f32 v4, v4, v5, v7
	v_div_fixup_f32 v2, v4, v3, v2
	v_add_f32_e32 v2, s36, v2
	v_mul_f32_e32 v3, 0x4b800000, v2
	v_cmp_gt_f32_e32 vcc, s28, v2
	v_cndmask_b32_e32 v2, v2, v3, vcc
	v_rsq_f32_e32 v2, v2
	v_mul_f32_e32 v3, 0x45800000, v2
	v_cndmask_b32_e32 v2, v2, v3, vcc
	v_mov_b32_e32 v3, 0
	ds_write_b32 v3, v2 offset:256
.LBB16_56:
	s_or_b64 exec, exec, s[22:23]
	v_mov_b32_e32 v15, 0
	s_waitcnt lgkmcnt(0)
	s_barrier
	ds_read_b32 v10, v15 offset:256
	s_and_saveexec_b64 s[28:29], s[0:1]
	s_cbranch_execz .LBB16_66
; %bb.57:
	s_add_i32 s53, s50, s50
	s_mul_i32 s36, s50, 3
	s_lshl_b32 s51, s50, 1
	s_mov_b64 s[38:39], 0
	v_mov_b32_e32 v3, 0
	v_mov_b32_e32 v16, s48
	;; [unrolled: 1-line block ×3, first 2 shown]
	s_movk_i32 s52, 0x7fff
	v_mov_b32_e32 v18, 0x7fc00000
	s_add_i32 s53, s53, s50
	v_mov_b32_e32 v15, 0
	v_mov_b32_e32 v2, v0
                                        ; implicit-def: $sgpr40_sgpr41
	s_branch .LBB16_61
.LBB16_58:                              ;   in Loop: Header=BB16_61 Depth=1
	s_or_b64 exec, exec, s[46:47]
	s_orn2_b64 s[22:23], s[22:23], exec
.LBB16_59:                              ;   in Loop: Header=BB16_61 Depth=1
	s_or_b64 exec, exec, s[44:45]
	s_andn2_b64 s[40:41], s[40:41], exec
	s_and_b64 s[22:23], s[22:23], exec
	s_or_b64 s[40:41], s[40:41], s[22:23]
.LBB16_60:                              ;   in Loop: Header=BB16_61 Depth=1
	s_or_b64 exec, exec, s[42:43]
	s_and_b64 s[22:23], exec, s[40:41]
	s_or_b64 s[38:39], s[22:23], s[38:39]
	s_andn2_b64 exec, exec, s[38:39]
	s_cbranch_execz .LBB16_65
.LBB16_61:                              ; =>This Inner Loop Header: Depth=1
	v_lshlrev_b64 v[4:5], 3, v[2:3]
	v_add_co_u32_e32 v6, vcc, s33, v4
	v_addc_co_u32_e32 v7, vcc, v16, v5, vcc
	global_load_dwordx2 v[6:7], v[6:7], off
	v_add_co_u32_e32 v4, vcc, s30, v4
	v_addc_co_u32_e32 v5, vcc, v17, v5, vcc
	global_load_dwordx2 v[20:21], v[4:5], off
	v_add_u32_e32 v4, s50, v2
	v_cmp_gt_u32_e32 vcc, s49, v4
	s_or_b64 s[40:41], s[40:41], exec
	s_waitcnt vmcnt(1)
	v_lshlrev_b32_e32 v22, 16, v6
	v_and_b32_e32 v5, 0xffff0000, v6
	s_waitcnt lgkmcnt(0)
	v_mul_f32_e32 v22, v10, v22
	v_alignbit_b32 v6, v7, v6, 16
	v_and_b32_e32 v7, 0xffff0000, v7
	v_mul_f32_e32 v5, v10, v5
	v_bfe_u32 v24, v22, 16, 1
	v_and_b32_e32 v6, 0xffff0000, v6
	v_mul_f32_e32 v7, v10, v7
	v_bfe_u32 v25, v5, 16, 1
	v_add3_u32 v24, v22, v24, s52
	v_mul_f32_e32 v6, v10, v6
	v_bfe_u32 v26, v7, 16, 1
	v_add3_u32 v25, v5, v25, s52
	v_and_b32_e32 v24, 0xffff0000, v24
	v_cmp_o_f32_e64 s[22:23], v22, v22
	s_waitcnt vmcnt(0)
	v_lshlrev_b32_e32 v23, 16, v20
	v_bfe_u32 v27, v6, 16, 1
	v_add3_u32 v26, v7, v26, s52
	v_and_b32_e32 v25, 0xffff0000, v25
	v_cndmask_b32_e64 v22, v18, v24, s[22:23]
	v_cmp_o_f32_e64 s[22:23], v5, v5
	v_and_b32_e32 v19, 0xffff0000, v20
	v_add3_u32 v27, v6, v27, s52
	v_and_b32_e32 v26, 0xffff0000, v26
	v_cndmask_b32_e64 v5, v18, v25, s[22:23]
	v_cmp_o_f32_e64 s[22:23], v7, v7
	v_mul_f32_e32 v22, v22, v23
	v_alignbit_b32 v20, v21, v20, 16
	v_and_b32_e32 v21, 0xffff0000, v21
	v_and_b32_e32 v24, 0xffff0000, v27
	v_cndmask_b32_e64 v7, v18, v26, s[22:23]
	v_mul_f32_e32 v5, v5, v19
	v_cmp_o_f32_e64 s[22:23], v6, v6
	v_bfe_u32 v19, v22, 16, 1
	v_and_b32_e32 v20, 0xffff0000, v20
	v_cndmask_b32_e64 v6, v18, v24, s[22:23]
	v_mul_f32_e32 v7, v7, v21
	v_bfe_u32 v21, v5, 16, 1
	v_add3_u32 v19, v22, v19, s52
	v_mul_f32_e32 v6, v6, v20
	v_bfe_u32 v20, v7, 16, 1
	v_add3_u32 v21, v5, v21, s52
	v_and_b32_e32 v19, 0xffff0000, v19
	v_cmp_o_f32_e64 s[22:23], v22, v22
	v_bfe_u32 v23, v6, 16, 1
	v_add3_u32 v20, v7, v20, s52
	v_and_b32_e32 v21, 0xffff0000, v21
	v_cndmask_b32_e64 v19, v18, |v19|, s[22:23]
	v_cmp_o_f32_e64 s[22:23], v5, v5
	v_add3_u32 v23, v6, v23, s52
	v_and_b32_e32 v20, 0xffff0000, v20
	v_cndmask_b32_e64 v5, v18, |v21|, s[22:23]
	v_cmp_o_f32_e64 s[22:23], v7, v7
	v_and_b32_e32 v21, 0xffff0000, v23
	v_cndmask_b32_e64 v7, v18, |v20|, s[22:23]
	v_cmp_o_f32_e64 s[22:23], v6, v6
	v_max3_f32 v5, v15, v19, v5
	v_cndmask_b32_e64 v6, v18, |v21|, s[22:23]
	v_max3_f32 v15, v5, v6, v7
	s_and_saveexec_b64 s[42:43], vcc
	s_cbranch_execz .LBB16_60
; %bb.62:                               ;   in Loop: Header=BB16_61 Depth=1
	v_mov_b32_e32 v5, v3
	v_lshlrev_b64 v[6:7], 3, v[4:5]
	v_add_co_u32_e32 v20, vcc, s33, v6
	v_addc_co_u32_e32 v21, vcc, v16, v7, vcc
	global_load_dwordx2 v[20:21], v[20:21], off
	v_add_co_u32_e32 v6, vcc, s30, v6
	v_addc_co_u32_e32 v7, vcc, v17, v7, vcc
	global_load_dwordx2 v[22:23], v[6:7], off
	v_add_u32_e32 v6, s51, v2
	v_cmp_gt_u32_e32 vcc, s49, v6
	s_waitcnt vmcnt(1)
	v_lshlrev_b32_e32 v19, 16, v20
	v_and_b32_e32 v5, 0xffff0000, v20
	v_mul_f32_e32 v19, v10, v19
	v_alignbit_b32 v20, v21, v20, 16
	v_and_b32_e32 v21, 0xffff0000, v21
	v_mul_f32_e32 v5, v10, v5
	v_bfe_u32 v25, v19, 16, 1
	v_mul_f32_e32 v21, v10, v21
	v_bfe_u32 v26, v5, 16, 1
	v_add3_u32 v25, v19, v25, s52
	v_and_b32_e32 v20, 0xffff0000, v20
	v_bfe_u32 v27, v21, 16, 1
	v_add3_u32 v26, v5, v26, s52
	v_and_b32_e32 v25, 0xffff0000, v25
	v_cmp_o_f32_e64 s[22:23], v19, v19
	v_mul_f32_e32 v20, v10, v20
	v_add3_u32 v27, v21, v27, s52
	v_and_b32_e32 v26, 0xffff0000, v26
	v_cndmask_b32_e64 v19, v18, v25, s[22:23]
	v_cmp_o_f32_e64 s[22:23], v5, v5
	s_waitcnt vmcnt(0)
	v_lshlrev_b32_e32 v24, 16, v22
	v_bfe_u32 v28, v20, 16, 1
	v_and_b32_e32 v27, 0xffff0000, v27
	v_cndmask_b32_e64 v5, v18, v26, s[22:23]
	v_cmp_o_f32_e64 s[22:23], v21, v21
	v_and_b32_e32 v7, 0xffff0000, v22
	v_alignbit_b32 v22, v23, v22, 16
	v_and_b32_e32 v23, 0xffff0000, v23
	v_add3_u32 v28, v20, v28, s52
	v_cndmask_b32_e64 v21, v18, v27, s[22:23]
	v_mul_f32_e32 v19, v19, v24
	v_and_b32_e32 v25, 0xffff0000, v28
	v_mul_f32_e32 v5, v5, v7
	v_cmp_o_f32_e64 s[22:23], v20, v20
	v_mul_f32_e32 v20, v21, v23
	v_bfe_u32 v21, v19, 16, 1
	v_and_b32_e32 v22, 0xffff0000, v22
	v_cndmask_b32_e64 v7, v18, v25, s[22:23]
	v_bfe_u32 v23, v5, 16, 1
	v_add3_u32 v21, v19, v21, s52
	v_mul_f32_e32 v7, v7, v22
	v_bfe_u32 v22, v20, 16, 1
	v_add3_u32 v23, v5, v23, s52
	v_and_b32_e32 v21, 0xffff0000, v21
	v_cmp_o_f32_e64 s[22:23], v19, v19
	v_bfe_u32 v24, v7, 16, 1
	v_add3_u32 v22, v20, v22, s52
	v_and_b32_e32 v23, 0xffff0000, v23
	v_cndmask_b32_e64 v19, v18, |v21|, s[22:23]
	v_cmp_o_f32_e64 s[22:23], v5, v5
	v_add3_u32 v24, v7, v24, s52
	v_and_b32_e32 v22, 0xffff0000, v22
	v_cndmask_b32_e64 v5, v18, |v23|, s[22:23]
	v_cmp_o_f32_e64 s[22:23], v20, v20
	v_and_b32_e32 v21, 0xffff0000, v24
	v_cndmask_b32_e64 v20, v18, |v22|, s[22:23]
	v_cmp_o_f32_e64 s[22:23], v7, v7
	v_max3_f32 v5, v15, v19, v5
	v_cndmask_b32_e64 v7, v18, |v21|, s[22:23]
	v_max3_f32 v15, v5, v7, v20
	s_mov_b64 s[22:23], -1
	s_and_saveexec_b64 s[44:45], vcc
	s_cbranch_execz .LBB16_59
; %bb.63:                               ;   in Loop: Header=BB16_61 Depth=1
	v_mov_b32_e32 v7, v3
	v_lshlrev_b64 v[6:7], 3, v[6:7]
	v_add_co_u32_e32 v20, vcc, s33, v6
	v_addc_co_u32_e32 v21, vcc, v16, v7, vcc
	global_load_dwordx2 v[20:21], v[20:21], off
	v_add_co_u32_e32 v6, vcc, s30, v6
	v_addc_co_u32_e32 v7, vcc, v17, v7, vcc
	global_load_dwordx2 v[6:7], v[6:7], off
	v_add_u32_e32 v2, s36, v2
	v_cmp_gt_u32_e32 vcc, s49, v2
	s_waitcnt vmcnt(1)
	v_lshlrev_b32_e32 v22, 16, v20
	v_and_b32_e32 v5, 0xffff0000, v20
	v_mul_f32_e32 v22, v10, v22
	v_alignbit_b32 v20, v21, v20, 16
	v_and_b32_e32 v21, 0xffff0000, v21
	v_mul_f32_e32 v5, v10, v5
	v_bfe_u32 v24, v22, 16, 1
	v_and_b32_e32 v20, 0xffff0000, v20
	v_mul_f32_e32 v21, v10, v21
	v_bfe_u32 v25, v5, 16, 1
	v_add3_u32 v24, v22, v24, s52
	v_mul_f32_e32 v20, v10, v20
	v_bfe_u32 v26, v21, 16, 1
	v_add3_u32 v25, v5, v25, s52
	v_and_b32_e32 v24, 0xffff0000, v24
	v_cmp_o_f32_e64 s[22:23], v22, v22
	s_waitcnt vmcnt(0)
	v_lshlrev_b32_e32 v23, 16, v6
	v_bfe_u32 v27, v20, 16, 1
	v_add3_u32 v26, v21, v26, s52
	v_and_b32_e32 v25, 0xffff0000, v25
	v_cndmask_b32_e64 v22, v18, v24, s[22:23]
	v_cmp_o_f32_e64 s[22:23], v5, v5
	v_and_b32_e32 v19, 0xffff0000, v6
	v_add3_u32 v27, v20, v27, s52
	v_and_b32_e32 v26, 0xffff0000, v26
	v_cndmask_b32_e64 v5, v18, v25, s[22:23]
	v_cmp_o_f32_e64 s[22:23], v21, v21
	v_mul_f32_e32 v22, v22, v23
	v_alignbit_b32 v6, v7, v6, 16
	v_and_b32_e32 v7, 0xffff0000, v7
	v_and_b32_e32 v24, 0xffff0000, v27
	v_cndmask_b32_e64 v21, v18, v26, s[22:23]
	v_mul_f32_e32 v5, v5, v19
	v_cmp_o_f32_e64 s[22:23], v20, v20
	v_bfe_u32 v20, v22, 16, 1
	v_and_b32_e32 v6, 0xffff0000, v6
	v_cndmask_b32_e64 v19, v18, v24, s[22:23]
	v_mul_f32_e32 v7, v21, v7
	v_bfe_u32 v21, v5, 16, 1
	v_add3_u32 v20, v22, v20, s52
	v_mul_f32_e32 v6, v19, v6
	v_bfe_u32 v19, v7, 16, 1
	v_add3_u32 v21, v5, v21, s52
	v_and_b32_e32 v20, 0xffff0000, v20
	v_cmp_o_f32_e64 s[22:23], v22, v22
	v_bfe_u32 v23, v6, 16, 1
	v_add3_u32 v19, v7, v19, s52
	v_and_b32_e32 v21, 0xffff0000, v21
	v_cndmask_b32_e64 v20, v18, |v20|, s[22:23]
	v_cmp_o_f32_e64 s[22:23], v5, v5
	v_add3_u32 v23, v6, v23, s52
	v_and_b32_e32 v19, 0xffff0000, v19
	v_cndmask_b32_e64 v5, v18, |v21|, s[22:23]
	v_cmp_o_f32_e64 s[22:23], v7, v7
	v_and_b32_e32 v21, 0xffff0000, v23
	v_cndmask_b32_e64 v7, v18, |v19|, s[22:23]
	v_cmp_o_f32_e64 s[22:23], v6, v6
	v_max3_f32 v5, v15, v20, v5
	v_cndmask_b32_e64 v6, v18, |v21|, s[22:23]
	v_max3_f32 v15, v5, v6, v7
	s_mov_b64 s[22:23], -1
	s_and_saveexec_b64 s[46:47], vcc
	s_xor_b64 s[46:47], exec, s[46:47]
	s_cbranch_execz .LBB16_58
; %bb.64:                               ;   in Loop: Header=BB16_61 Depth=1
	v_lshlrev_b64 v[6:7], 3, v[2:3]
	v_mov_b32_e32 v2, s48
	v_add_co_u32_e32 v20, vcc, s33, v6
	v_addc_co_u32_e32 v21, vcc, v2, v7, vcc
	global_load_dwordx2 v[20:21], v[20:21], off
	v_mov_b32_e32 v2, s31
	v_add_co_u32_e32 v6, vcc, s30, v6
	v_addc_co_u32_e32 v7, vcc, v2, v7, vcc
	global_load_dwordx2 v[6:7], v[6:7], off
	v_add_u32_e32 v2, s53, v4
	v_cmp_le_u32_e32 vcc, s49, v2
	s_waitcnt vmcnt(1)
	v_lshlrev_b32_e32 v19, 16, v20
	v_and_b32_e32 v4, 0xffff0000, v20
	v_mul_f32_e32 v19, v10, v19
	v_alignbit_b32 v20, v21, v20, 16
	v_and_b32_e32 v21, 0xffff0000, v21
	v_mul_f32_e32 v4, v10, v4
	v_bfe_u32 v23, v19, 16, 1
	v_and_b32_e32 v20, 0xffff0000, v20
	v_mul_f32_e32 v21, v10, v21
	v_bfe_u32 v24, v4, 16, 1
	v_add3_u32 v23, v19, v23, s52
	v_mul_f32_e32 v20, v10, v20
	v_bfe_u32 v25, v21, 16, 1
	v_add3_u32 v24, v4, v24, s52
	v_and_b32_e32 v23, 0xffff0000, v23
	v_cmp_o_f32_e64 s[22:23], v19, v19
	s_waitcnt vmcnt(0)
	v_lshlrev_b32_e32 v22, 16, v6
	v_bfe_u32 v26, v20, 16, 1
	v_add3_u32 v25, v21, v25, s52
	v_and_b32_e32 v24, 0xffff0000, v24
	v_cndmask_b32_e64 v19, v18, v23, s[22:23]
	v_cmp_o_f32_e64 s[22:23], v4, v4
	v_and_b32_e32 v5, 0xffff0000, v6
	v_add3_u32 v26, v20, v26, s52
	v_and_b32_e32 v25, 0xffff0000, v25
	v_cndmask_b32_e64 v4, v18, v24, s[22:23]
	v_cmp_o_f32_e64 s[22:23], v21, v21
	v_mul_f32_e32 v19, v19, v22
	v_alignbit_b32 v6, v7, v6, 16
	v_and_b32_e32 v7, 0xffff0000, v7
	v_and_b32_e32 v23, 0xffff0000, v26
	v_cndmask_b32_e64 v21, v18, v25, s[22:23]
	v_mul_f32_e32 v4, v4, v5
	v_cmp_o_f32_e64 s[22:23], v20, v20
	v_bfe_u32 v20, v19, 16, 1
	v_and_b32_e32 v6, 0xffff0000, v6
	v_cndmask_b32_e64 v5, v18, v23, s[22:23]
	v_mul_f32_e32 v7, v21, v7
	v_bfe_u32 v21, v4, 16, 1
	v_add3_u32 v20, v19, v20, s52
	v_mul_f32_e32 v5, v5, v6
	v_bfe_u32 v6, v7, 16, 1
	v_add3_u32 v21, v4, v21, s52
	v_and_b32_e32 v20, 0xffff0000, v20
	v_cmp_o_f32_e64 s[22:23], v19, v19
	v_bfe_u32 v22, v5, 16, 1
	v_add3_u32 v6, v7, v6, s52
	v_and_b32_e32 v21, 0xffff0000, v21
	v_cndmask_b32_e64 v19, v18, |v20|, s[22:23]
	v_cmp_o_f32_e64 s[22:23], v4, v4
	v_add3_u32 v22, v5, v22, s52
	v_and_b32_e32 v6, 0xffff0000, v6
	v_cndmask_b32_e64 v4, v18, |v21|, s[22:23]
	v_cmp_o_f32_e64 s[22:23], v7, v7
	v_and_b32_e32 v20, 0xffff0000, v22
	v_cndmask_b32_e64 v6, v18, |v6|, s[22:23]
	v_cmp_o_f32_e64 s[22:23], v5, v5
	v_max3_f32 v4, v15, v19, v4
	v_cndmask_b32_e64 v5, v18, |v20|, s[22:23]
	v_max3_f32 v15, v4, v5, v6
	s_orn2_b64 s[22:23], vcc, exec
	s_branch .LBB16_58
.LBB16_65:
	s_or_b64 exec, exec, s[38:39]
.LBB16_66:
	s_or_b64 exec, exec, s[28:29]
	ds_bpermute_b32 v2, v8, v15
	s_waitcnt lgkmcnt(0)
	v_cmp_lt_f32_e32 vcc, v15, v2
	v_cndmask_b32_e32 v2, v15, v2, vcc
	v_cndmask_b32_e64 v2, v15, v2, s[2:3]
	ds_bpermute_b32 v3, v9, v2
	s_or_b64 s[2:3], s[2:3], s[4:5]
	s_or_b64 s[2:3], s[8:9], s[2:3]
	;; [unrolled: 1-line block ×4, first 2 shown]
	s_waitcnt lgkmcnt(0)
	v_cmp_lt_f32_e32 vcc, v2, v3
	v_cndmask_b32_e32 v3, v2, v3, vcc
	v_cndmask_b32_e64 v2, v2, v3, s[4:5]
	ds_bpermute_b32 v3, v11, v2
	s_waitcnt lgkmcnt(0)
	v_cmp_lt_f32_e32 vcc, v2, v3
	v_cndmask_b32_e32 v3, v2, v3, vcc
	v_cndmask_b32_e64 v2, v2, v3, s[8:9]
	ds_bpermute_b32 v3, v12, v2
	;; [unrolled: 5-line block ×4, first 2 shown]
	s_waitcnt lgkmcnt(0)
	v_cmp_lt_f32_e32 vcc, v2, v3
	s_and_b64 vcc, s[20:21], vcc
	v_cndmask_b32_e32 v2, v2, v3, vcc
	s_or_b64 vcc, s[20:21], s[2:3]
	v_cndmask_b32_e32 v2, v15, v2, vcc
	s_and_saveexec_b64 s[2:3], s[14:15]
	s_cbranch_execz .LBB16_68
; %bb.67:
	v_lshrrev_b32_e32 v3, 4, v0
	v_and_b32_e32 v3, 60, v3
	ds_write_b32 v3, v2 offset:64
.LBB16_68:
	s_or_b64 exec, exec, s[2:3]
	s_waitcnt lgkmcnt(0)
	s_barrier
	s_and_saveexec_b64 s[8:9], s[16:17]
	s_cbranch_execz .LBB16_70
; %bb.69:
	v_lshlrev_b32_e32 v2, 2, v1
	ds_read_b32 v2, v2 offset:64
	v_and_b32_e32 v3, 15, v1
	v_cmp_ne_u32_e32 vcc, 15, v3
	v_addc_co_u32_e32 v4, vcc, 0, v1, vcc
	v_lshlrev_b32_e32 v4, 2, v4
	s_waitcnt lgkmcnt(0)
	ds_bpermute_b32 v4, v4, v2
	s_add_i32 s2, s50, 63
	s_lshr_b32 s4, s2, 6
	v_add_u32_e32 v5, 1, v3
	v_cmp_gt_u32_e64 s[2:3], 14, v3
	s_waitcnt lgkmcnt(0)
	v_cmp_lt_f32_e32 vcc, v2, v4
	v_cndmask_b32_e32 v4, v2, v4, vcc
	v_cmp_gt_u32_e32 vcc, s4, v5
	v_cndmask_b32_e64 v5, 0, 1, s[2:3]
	v_lshlrev_b32_e32 v5, 1, v5
	v_cndmask_b32_e32 v4, v2, v4, vcc
	v_add_lshl_u32 v5, v5, v1, 2
	ds_bpermute_b32 v5, v5, v4
	v_add_u32_e32 v6, 2, v3
	s_waitcnt lgkmcnt(0)
	v_cmp_lt_f32_e64 s[2:3], v4, v5
	v_cndmask_b32_e64 v5, v4, v5, s[2:3]
	v_cmp_gt_u32_e64 s[2:3], s4, v6
	v_cndmask_b32_e64 v4, v4, v5, s[2:3]
	v_cmp_gt_u32_e64 s[2:3], 12, v3
	v_cndmask_b32_e64 v5, 0, 1, s[2:3]
	v_lshlrev_b32_e32 v5, 2, v5
	v_add_lshl_u32 v5, v5, v1, 2
	ds_bpermute_b32 v5, v5, v4
	v_add_u32_e32 v6, 4, v3
	s_waitcnt lgkmcnt(0)
	v_cmp_lt_f32_e64 s[2:3], v4, v5
	v_cndmask_b32_e64 v5, v4, v5, s[2:3]
	v_cmp_gt_u32_e64 s[2:3], s4, v6
	v_cndmask_b32_e64 v4, v4, v5, s[2:3]
	v_cmp_gt_u32_e64 s[2:3], 8, v3
	v_cndmask_b32_e64 v5, 0, 1, s[2:3]
	v_lshlrev_b32_e32 v5, 3, v5
	v_add_lshl_u32 v1, v5, v1, 2
	ds_bpermute_b32 v1, v1, v4
	v_add_u32_e32 v3, 8, v3
	v_cmp_gt_u32_e64 s[2:3], s4, v3
	s_waitcnt lgkmcnt(0)
	v_cmp_lt_f32_e64 s[4:5], v4, v1
	s_and_b64 s[2:3], s[2:3], s[4:5]
	v_cndmask_b32_e64 v1, v4, v1, s[2:3]
	v_cndmask_b32_e32 v2, v2, v1, vcc
.LBB16_70:
	s_or_b64 exec, exec, s[8:9]
	s_and_saveexec_b64 s[2:3], s[18:19]
	s_cbranch_execz .LBB16_74
; %bb.71:
	s_cmp_eq_u64 s[34:35], 0
	s_cbranch_scc1 .LBB16_73
; %bb.72:
	s_load_dword s4, s[34:35], 0x0
	v_max_f32_e32 v1, v2, v2
	s_waitcnt lgkmcnt(0)
	v_max_f32_e64 v2, s4, s4
	v_min_f32_e32 v2, v1, v2
.LBB16_73:
	s_mov_b32 s8, 0x43600000
	v_div_scale_f32 v1, s[4:5], s8, s8, v2
	v_rcp_f32_e32 v3, v1
	v_div_scale_f32 v4, vcc, v2, s8, v2
	s_lshl_b64 s[4:5], s[6:7], 2
	v_fma_f32 v5, -v1, v3, 1.0
	v_fmac_f32_e32 v3, v5, v3
	v_mul_f32_e32 v5, v4, v3
	v_fma_f32 v6, -v1, v5, v4
	v_fmac_f32_e32 v5, v6, v3
	v_fma_f32 v1, -v1, v5, v4
	v_div_fmas_f32 v1, v1, v3, v5
	v_div_fixup_f32 v1, v1, s8, v2
	s_add_u32 s4, s26, s4
	v_max_f32_e32 v1, 0x37124925, v1
	v_mov_b32_e32 v2, 0
	s_addc_u32 s5, s27, s5
	ds_write_b32 v2, v1 offset:260
	global_store_dword v2, v1, s[4:5]
.LBB16_74:
	s_or_b64 exec, exec, s[2:3]
	s_waitcnt lgkmcnt(0)
	s_barrier
	s_and_saveexec_b64 s[2:3], s[0:1]
	s_cbranch_execz .LBB16_211
; %bb.75:
	v_mov_b32_e32 v1, 0
	ds_read_b32 v11, v1 offset:260
	s_ashr_i32 s0, s37, 31
	s_mul_hi_u32 s1, s37, s6
	s_mul_i32 s0, s0, s6
	s_add_i32 s1, s1, s0
	s_mul_i32 s0, s37, s6
	s_add_u32 s14, s24, s0
	s_addc_u32 s15, s25, s1
	s_mul_i32 s16, s50, 3
	s_lshl_b32 s17, s50, 1
	s_mov_b64 s[0:1], 0
	v_mov_b32_e32 v12, s48
	v_mov_b32_e32 v13, s31
	s_movk_i32 s18, 0x7fff
	v_mov_b32_e32 v14, 0x7fc00000
	s_mov_b32 s19, 0x43800000
	s_mov_b32 s20, 0x3bffffff
	;; [unrolled: 1-line block ×4, first 2 shown]
	s_movk_i32 s23, 0x80
	s_mov_b32 s24, 0x4020c0c
	s_branch .LBB16_81
.LBB16_76:                              ;   in Loop: Header=BB16_81 Depth=1
	s_or_b64 exec, exec, s[12:13]
.LBB16_77:                              ;   in Loop: Header=BB16_81 Depth=1
	s_or_b64 exec, exec, s[8:9]
	v_lshlrev_b64 v[16:17], 2, v[0:1]
	v_mov_b32_e32 v0, s15
	v_add_co_u32_e32 v16, vcc, s14, v16
	v_addc_co_u32_e32 v17, vcc, v0, v17, vcc
	v_lshlrev_b32_e32 v0, 16, v6
	v_lshlrev_b32_e32 v3, 8, v3
	v_perm_b32 v0, v4, v0, s24
	v_and_b32_e32 v3, 0xff00, v3
	v_and_b32_e32 v4, 0xff, v8
	s_add_i32 s8, s50, s50
	v_or3_b32 v0, v0, v3, v4
	s_add_i32 s8, s8, s50
	global_store_dword v[16:17], v0, off
	v_add_u32_e32 v0, s8, v2
	v_cmp_le_u32_e32 vcc, s49, v0
	s_orn2_b64 s[8:9], vcc, exec
.LBB16_78:                              ;   in Loop: Header=BB16_81 Depth=1
	s_or_b64 exec, exec, s[6:7]
	s_orn2_b64 s[6:7], s[8:9], exec
.LBB16_79:                              ;   in Loop: Header=BB16_81 Depth=1
	s_or_b64 exec, exec, s[4:5]
	s_orn2_b64 s[4:5], s[6:7], exec
.LBB16_80:                              ;   in Loop: Header=BB16_81 Depth=1
	s_or_b64 exec, exec, s[2:3]
	s_and_b64 s[2:3], exec, s[4:5]
	s_or_b64 s[0:1], s[2:3], s[0:1]
	s_andn2_b64 exec, exec, s[0:1]
	s_cbranch_execz .LBB16_211
.LBB16_81:                              ; =>This Inner Loop Header: Depth=1
	v_lshlrev_b64 v[2:3], 3, v[0:1]
	v_add_co_u32_e32 v4, vcc, s33, v2
	v_addc_co_u32_e32 v5, vcc, v12, v3, vcc
	global_load_dwordx2 v[4:5], v[4:5], off
	v_add_co_u32_e32 v2, vcc, s30, v2
	v_addc_co_u32_e32 v3, vcc, v13, v3, vcc
	global_load_dwordx2 v[2:3], v[2:3], off
	s_waitcnt vmcnt(1)
	v_lshlrev_b32_e32 v6, 16, v4
	v_mul_f32_e32 v6, v10, v6
	v_bfe_u32 v8, v6, 16, 1
	v_add3_u32 v8, v6, v8, s18
	v_and_b32_e32 v8, 0xffff0000, v8
	v_cmp_o_f32_e32 vcc, v6, v6
	s_waitcnt vmcnt(0)
	v_lshlrev_b32_e32 v7, 16, v2
	v_cndmask_b32_e32 v6, v14, v8, vcc
	v_mul_f32_e32 v6, v6, v7
	v_bfe_u32 v7, v6, 16, 1
	v_add3_u32 v7, v6, v7, s18
	v_and_b32_e32 v7, 0xffff0000, v7
	v_cmp_o_f32_e32 vcc, v6, v6
	v_cndmask_b32_e32 v7, v14, v7, vcc
	s_waitcnt lgkmcnt(0)
	v_div_scale_f32 v8, s[2:3], v11, v11, v7
	v_rcp_f32_e32 v9, v8
	v_div_scale_f32 v15, vcc, v7, v11, v7
	v_mov_b32_e32 v6, 0x80
	v_fma_f32 v16, -v8, v9, 1.0
	v_fmac_f32_e32 v9, v16, v9
	v_mul_f32_e32 v16, v15, v9
	v_fma_f32 v17, -v8, v16, v15
	v_fmac_f32_e32 v16, v17, v9
	v_fma_f32 v8, -v8, v16, v15
	v_div_fmas_f32 v8, v8, v9, v16
	v_div_fixup_f32 v7, v8, v11, v7
	v_min_f32_e32 v7, 0x43600000, v7
	v_max_f32_e32 v8, 0xc3600000, v7
	v_and_b32_e32 v9, 0x7fffffff, v8
	v_cmp_gt_u32_e32 vcc, s19, v9
	v_mov_b32_e32 v7, 0x80
	s_and_saveexec_b64 s[2:3], vcc
	s_cbranch_execz .LBB16_87
; %bb.82:                               ;   in Loop: Header=BB16_81 Depth=1
	v_cmp_lt_u32_e32 vcc, s20, v9
	s_mov_b64 s[4:5], 0
                                        ; implicit-def: $vgpr9
	s_and_saveexec_b64 s[6:7], vcc
	s_xor_b64 s[6:7], exec, s[6:7]
	s_cbranch_execnz .LBB16_178
; %bb.83:                               ;   in Loop: Header=BB16_81 Depth=1
	s_or_saveexec_b64 s[6:7], s[6:7]
                                        ; implicit-def: $sgpr8
	s_xor_b64 exec, exec, s[6:7]
	s_cbranch_execnz .LBB16_179
.LBB16_84:                              ;   in Loop: Header=BB16_81 Depth=1
	s_or_b64 exec, exec, s[6:7]
	v_mov_b32_e32 v7, s8
	s_and_saveexec_b64 s[6:7], s[4:5]
.LBB16_85:                              ;   in Loop: Header=BB16_81 Depth=1
	v_lshrrev_b32_e32 v7, 24, v8
	v_and_or_b32 v7, v7, s23, v9
.LBB16_86:                              ;   in Loop: Header=BB16_81 Depth=1
	s_or_b64 exec, exec, s[6:7]
.LBB16_87:                              ;   in Loop: Header=BB16_81 Depth=1
	s_or_b64 exec, exec, s[2:3]
	v_and_b32_e32 v8, 0xffff0000, v4
	v_mul_f32_e32 v8, v10, v8
	v_bfe_u32 v15, v8, 16, 1
	v_add3_u32 v15, v8, v15, s18
	v_and_b32_e32 v15, 0xffff0000, v15
	v_cmp_o_f32_e32 vcc, v8, v8
	v_and_b32_e32 v9, 0xffff0000, v2
	v_cndmask_b32_e32 v8, v14, v15, vcc
	v_mul_f32_e32 v8, v8, v9
	v_bfe_u32 v9, v8, 16, 1
	v_add3_u32 v9, v8, v9, s18
	v_and_b32_e32 v9, 0xffff0000, v9
	v_cmp_o_f32_e32 vcc, v8, v8
	v_cndmask_b32_e32 v8, v14, v9, vcc
	v_div_scale_f32 v9, s[2:3], v11, v11, v8
	v_rcp_f32_e32 v15, v9
	v_fma_f32 v16, -v9, v15, 1.0
	v_fmac_f32_e32 v15, v16, v15
	v_div_scale_f32 v16, vcc, v8, v11, v8
	v_mul_f32_e32 v17, v16, v15
	v_fma_f32 v18, -v9, v17, v16
	v_fmac_f32_e32 v17, v18, v15
	v_fma_f32 v9, -v9, v17, v16
	v_div_fmas_f32 v9, v9, v15, v17
	v_div_fixup_f32 v8, v9, v11, v8
	v_min_f32_e32 v8, 0x43600000, v8
	v_max_f32_e32 v8, 0xc3600000, v8
	v_and_b32_e32 v9, 0x7fffffff, v8
	v_cmp_gt_u32_e32 vcc, s19, v9
	s_and_saveexec_b64 s[2:3], vcc
	s_cbranch_execz .LBB16_93
; %bb.88:                               ;   in Loop: Header=BB16_81 Depth=1
	v_cmp_lt_u32_e32 vcc, s20, v9
	s_mov_b64 s[4:5], 0
                                        ; implicit-def: $vgpr9
	s_and_saveexec_b64 s[6:7], vcc
	s_xor_b64 s[6:7], exec, s[6:7]
	s_cbranch_execnz .LBB16_180
; %bb.89:                               ;   in Loop: Header=BB16_81 Depth=1
	s_or_saveexec_b64 s[6:7], s[6:7]
                                        ; implicit-def: $sgpr8
	s_xor_b64 exec, exec, s[6:7]
	s_cbranch_execnz .LBB16_181
.LBB16_90:                              ;   in Loop: Header=BB16_81 Depth=1
	s_or_b64 exec, exec, s[6:7]
	v_mov_b32_e32 v6, s8
	s_and_saveexec_b64 s[6:7], s[4:5]
.LBB16_91:                              ;   in Loop: Header=BB16_81 Depth=1
	v_lshrrev_b32_e32 v6, 24, v8
	v_and_or_b32 v6, v6, s23, v9
.LBB16_92:                              ;   in Loop: Header=BB16_81 Depth=1
	s_or_b64 exec, exec, s[6:7]
.LBB16_93:                              ;   in Loop: Header=BB16_81 Depth=1
	s_or_b64 exec, exec, s[2:3]
	v_alignbit_b32 v4, v5, v4, 16
	v_and_b32_e32 v4, 0xffff0000, v4
	v_mul_f32_e32 v4, v10, v4
	v_bfe_u32 v8, v4, 16, 1
	v_add3_u32 v8, v4, v8, s18
	v_and_b32_e32 v8, 0xffff0000, v8
	v_cmp_o_f32_e32 vcc, v4, v4
	v_alignbit_b32 v2, v3, v2, 16
	v_cndmask_b32_e32 v4, v14, v8, vcc
	v_and_b32_e32 v2, 0xffff0000, v2
	v_mul_f32_e32 v2, v4, v2
	v_bfe_u32 v4, v2, 16, 1
	v_add3_u32 v4, v2, v4, s18
	v_and_b32_e32 v4, 0xffff0000, v4
	v_cmp_o_f32_e32 vcc, v2, v2
	v_cndmask_b32_e32 v2, v14, v4, vcc
	v_div_scale_f32 v4, s[2:3], v11, v11, v2
	v_rcp_f32_e32 v8, v4
	v_fma_f32 v9, -v4, v8, 1.0
	v_fmac_f32_e32 v8, v9, v8
	v_div_scale_f32 v9, vcc, v2, v11, v2
	v_mul_f32_e32 v15, v9, v8
	v_fma_f32 v16, -v4, v15, v9
	v_fmac_f32_e32 v15, v16, v8
	v_fma_f32 v4, -v4, v15, v9
	v_div_fmas_f32 v4, v4, v8, v15
	v_div_fixup_f32 v2, v4, v11, v2
	v_min_f32_e32 v2, 0x43600000, v2
	v_max_f32_e32 v8, 0xc3600000, v2
	v_and_b32_e32 v9, 0x7fffffff, v8
	v_cmp_gt_u32_e32 vcc, s19, v9
	v_mov_b32_e32 v2, 0x80
	v_mov_b32_e32 v4, 0x80
	s_and_saveexec_b64 s[2:3], vcc
	s_cbranch_execz .LBB16_99
; %bb.94:                               ;   in Loop: Header=BB16_81 Depth=1
	v_cmp_lt_u32_e32 vcc, s20, v9
	s_mov_b64 s[4:5], 0
                                        ; implicit-def: $vgpr9
	s_and_saveexec_b64 s[6:7], vcc
	s_xor_b64 s[6:7], exec, s[6:7]
	s_cbranch_execnz .LBB16_182
; %bb.95:                               ;   in Loop: Header=BB16_81 Depth=1
	s_or_saveexec_b64 s[6:7], s[6:7]
                                        ; implicit-def: $sgpr8
	s_xor_b64 exec, exec, s[6:7]
	s_cbranch_execnz .LBB16_183
.LBB16_96:                              ;   in Loop: Header=BB16_81 Depth=1
	s_or_b64 exec, exec, s[6:7]
	v_mov_b32_e32 v4, s8
	s_and_saveexec_b64 s[6:7], s[4:5]
.LBB16_97:                              ;   in Loop: Header=BB16_81 Depth=1
	v_lshrrev_b32_e32 v4, 24, v8
	v_and_or_b32 v4, v4, s23, v9
.LBB16_98:                              ;   in Loop: Header=BB16_81 Depth=1
	s_or_b64 exec, exec, s[6:7]
.LBB16_99:                              ;   in Loop: Header=BB16_81 Depth=1
	s_or_b64 exec, exec, s[2:3]
	v_and_b32_e32 v5, 0xffff0000, v5
	v_mul_f32_e32 v5, v10, v5
	v_bfe_u32 v8, v5, 16, 1
	v_add3_u32 v8, v5, v8, s18
	v_and_b32_e32 v8, 0xffff0000, v8
	v_cmp_o_f32_e32 vcc, v5, v5
	v_cndmask_b32_e32 v5, v14, v8, vcc
	v_and_b32_e32 v3, 0xffff0000, v3
	v_mul_f32_e32 v3, v5, v3
	v_bfe_u32 v5, v3, 16, 1
	v_add3_u32 v5, v3, v5, s18
	v_and_b32_e32 v5, 0xffff0000, v5
	v_cmp_o_f32_e32 vcc, v3, v3
	v_cndmask_b32_e32 v3, v14, v5, vcc
	v_div_scale_f32 v5, s[2:3], v11, v11, v3
	v_rcp_f32_e32 v8, v5
	v_fma_f32 v9, -v5, v8, 1.0
	v_fmac_f32_e32 v8, v9, v8
	v_div_scale_f32 v9, vcc, v3, v11, v3
	v_mul_f32_e32 v15, v9, v8
	v_fma_f32 v16, -v5, v15, v9
	v_fmac_f32_e32 v15, v16, v8
	v_fma_f32 v5, -v5, v15, v9
	v_div_fmas_f32 v5, v5, v8, v15
	v_div_fixup_f32 v3, v5, v11, v3
	v_min_f32_e32 v3, 0x43600000, v3
	v_max_f32_e32 v3, 0xc3600000, v3
	v_and_b32_e32 v5, 0x7fffffff, v3
	v_cmp_gt_u32_e32 vcc, s19, v5
	s_and_saveexec_b64 s[2:3], vcc
	s_cbranch_execz .LBB16_105
; %bb.100:                              ;   in Loop: Header=BB16_81 Depth=1
	v_cmp_lt_u32_e32 vcc, s20, v5
	s_mov_b64 s[4:5], 0
                                        ; implicit-def: $vgpr5
	s_and_saveexec_b64 s[6:7], vcc
	s_xor_b64 s[6:7], exec, s[6:7]
	s_cbranch_execnz .LBB16_184
; %bb.101:                              ;   in Loop: Header=BB16_81 Depth=1
	s_or_saveexec_b64 s[6:7], s[6:7]
                                        ; implicit-def: $sgpr8
	s_xor_b64 exec, exec, s[6:7]
	s_cbranch_execnz .LBB16_185
.LBB16_102:                             ;   in Loop: Header=BB16_81 Depth=1
	s_or_b64 exec, exec, s[6:7]
	v_mov_b32_e32 v2, s8
	s_and_saveexec_b64 s[6:7], s[4:5]
.LBB16_103:                             ;   in Loop: Header=BB16_81 Depth=1
	v_lshrrev_b32_e32 v2, 24, v3
	v_and_or_b32 v2, v2, s23, v5
.LBB16_104:                             ;   in Loop: Header=BB16_81 Depth=1
	s_or_b64 exec, exec, s[6:7]
.LBB16_105:                             ;   in Loop: Header=BB16_81 Depth=1
	s_or_b64 exec, exec, s[2:3]
	v_lshlrev_b64 v[8:9], 2, v[0:1]
	v_mov_b32_e32 v3, s15
	v_add_co_u32_e32 v8, vcc, s14, v8
	v_addc_co_u32_e32 v9, vcc, v3, v9, vcc
	v_lshlrev_b32_e32 v3, 16, v4
	v_perm_b32 v2, v2, v3, s24
	v_lshlrev_b32_e32 v3, 8, v6
	v_and_b32_e32 v3, 0xff00, v3
	v_and_b32_e32 v4, 0xff, v7
	v_or3_b32 v2, v2, v3, v4
	global_store_dword v[8:9], v2, off
	v_add_u32_e32 v2, s50, v0
	v_cmp_gt_u32_e32 vcc, s49, v2
	s_mov_b64 s[4:5], -1
	s_and_saveexec_b64 s[2:3], vcc
	s_cbranch_execz .LBB16_80
; %bb.106:                              ;   in Loop: Header=BB16_81 Depth=1
	v_mov_b32_e32 v3, v1
	v_lshlrev_b64 v[6:7], 3, v[2:3]
	v_mov_b32_e32 v5, s48
	v_add_co_u32_e32 v4, vcc, s33, v6
	v_addc_co_u32_e32 v5, vcc, v5, v7, vcc
	global_load_dwordx2 v[4:5], v[4:5], off
	v_mov_b32_e32 v8, s31
	v_add_co_u32_e32 v6, vcc, s30, v6
	v_addc_co_u32_e32 v7, vcc, v8, v7, vcc
	global_load_dwordx2 v[6:7], v[6:7], off
	s_waitcnt vmcnt(1)
	v_lshlrev_b32_e32 v8, 16, v4
	v_mul_f32_e32 v8, v10, v8
	v_bfe_u32 v15, v8, 16, 1
	v_add3_u32 v15, v8, v15, s18
	v_and_b32_e32 v15, 0xffff0000, v15
	v_cmp_o_f32_e32 vcc, v8, v8
	s_waitcnt vmcnt(0)
	v_lshlrev_b32_e32 v9, 16, v6
	v_cndmask_b32_e32 v8, v14, v15, vcc
	v_mul_f32_e32 v8, v8, v9
	v_bfe_u32 v9, v8, 16, 1
	v_add3_u32 v9, v8, v9, s18
	v_and_b32_e32 v9, 0xffff0000, v9
	v_cmp_o_f32_e32 vcc, v8, v8
	v_cndmask_b32_e32 v9, v14, v9, vcc
	v_div_scale_f32 v15, s[4:5], v11, v11, v9
	v_rcp_f32_e32 v16, v15
	v_div_scale_f32 v17, vcc, v9, v11, v9
	v_mov_b32_e32 v8, 0x80
	v_fma_f32 v18, -v15, v16, 1.0
	v_fmac_f32_e32 v16, v18, v16
	v_mul_f32_e32 v18, v17, v16
	v_fma_f32 v19, -v15, v18, v17
	v_fmac_f32_e32 v18, v19, v16
	v_fma_f32 v15, -v15, v18, v17
	v_div_fmas_f32 v15, v15, v16, v18
	v_div_fixup_f32 v9, v15, v11, v9
	v_min_f32_e32 v9, 0x43600000, v9
	v_max_f32_e32 v15, 0xc3600000, v9
	v_and_b32_e32 v16, 0x7fffffff, v15
	v_cmp_gt_u32_e32 vcc, s19, v16
	v_mov_b32_e32 v9, 0x80
	s_and_saveexec_b64 s[4:5], vcc
	s_cbranch_execz .LBB16_112
; %bb.107:                              ;   in Loop: Header=BB16_81 Depth=1
	v_cmp_lt_u32_e32 vcc, s20, v16
	s_mov_b64 s[6:7], 0
                                        ; implicit-def: $vgpr16
	s_and_saveexec_b64 s[8:9], vcc
	s_xor_b64 s[8:9], exec, s[8:9]
	s_cbranch_execnz .LBB16_186
; %bb.108:                              ;   in Loop: Header=BB16_81 Depth=1
	s_or_saveexec_b64 s[8:9], s[8:9]
                                        ; implicit-def: $sgpr10
	s_xor_b64 exec, exec, s[8:9]
	s_cbranch_execnz .LBB16_187
.LBB16_109:                             ;   in Loop: Header=BB16_81 Depth=1
	s_or_b64 exec, exec, s[8:9]
	v_mov_b32_e32 v9, s10
	s_and_saveexec_b64 s[8:9], s[6:7]
.LBB16_110:                             ;   in Loop: Header=BB16_81 Depth=1
	v_lshrrev_b32_e32 v9, 24, v15
	v_and_or_b32 v9, v9, s23, v16
.LBB16_111:                             ;   in Loop: Header=BB16_81 Depth=1
	s_or_b64 exec, exec, s[8:9]
.LBB16_112:                             ;   in Loop: Header=BB16_81 Depth=1
	s_or_b64 exec, exec, s[4:5]
	v_and_b32_e32 v15, 0xffff0000, v4
	v_mul_f32_e32 v15, v10, v15
	v_bfe_u32 v17, v15, 16, 1
	v_add3_u32 v17, v15, v17, s18
	v_and_b32_e32 v17, 0xffff0000, v17
	v_cmp_o_f32_e32 vcc, v15, v15
	v_and_b32_e32 v16, 0xffff0000, v6
	v_cndmask_b32_e32 v15, v14, v17, vcc
	v_mul_f32_e32 v15, v15, v16
	v_bfe_u32 v16, v15, 16, 1
	v_add3_u32 v16, v15, v16, s18
	v_and_b32_e32 v16, 0xffff0000, v16
	v_cmp_o_f32_e32 vcc, v15, v15
	v_cndmask_b32_e32 v15, v14, v16, vcc
	v_div_scale_f32 v16, s[4:5], v11, v11, v15
	v_rcp_f32_e32 v17, v16
	v_fma_f32 v18, -v16, v17, 1.0
	v_fmac_f32_e32 v17, v18, v17
	v_div_scale_f32 v18, vcc, v15, v11, v15
	v_mul_f32_e32 v19, v18, v17
	v_fma_f32 v20, -v16, v19, v18
	v_fmac_f32_e32 v19, v20, v17
	v_fma_f32 v16, -v16, v19, v18
	v_div_fmas_f32 v16, v16, v17, v19
	v_div_fixup_f32 v15, v16, v11, v15
	v_min_f32_e32 v15, 0x43600000, v15
	v_max_f32_e32 v15, 0xc3600000, v15
	v_and_b32_e32 v16, 0x7fffffff, v15
	v_cmp_gt_u32_e32 vcc, s19, v16
	s_and_saveexec_b64 s[4:5], vcc
	s_cbranch_execz .LBB16_118
; %bb.113:                              ;   in Loop: Header=BB16_81 Depth=1
	v_cmp_lt_u32_e32 vcc, s20, v16
	s_mov_b64 s[6:7], 0
                                        ; implicit-def: $vgpr16
	s_and_saveexec_b64 s[8:9], vcc
	s_xor_b64 s[8:9], exec, s[8:9]
	s_cbranch_execnz .LBB16_188
; %bb.114:                              ;   in Loop: Header=BB16_81 Depth=1
	s_or_saveexec_b64 s[8:9], s[8:9]
                                        ; implicit-def: $sgpr10
	s_xor_b64 exec, exec, s[8:9]
	s_cbranch_execnz .LBB16_189
.LBB16_115:                             ;   in Loop: Header=BB16_81 Depth=1
	s_or_b64 exec, exec, s[8:9]
	v_mov_b32_e32 v8, s10
	s_and_saveexec_b64 s[8:9], s[6:7]
.LBB16_116:                             ;   in Loop: Header=BB16_81 Depth=1
	v_lshrrev_b32_e32 v8, 24, v15
	v_and_or_b32 v8, v8, s23, v16
.LBB16_117:                             ;   in Loop: Header=BB16_81 Depth=1
	s_or_b64 exec, exec, s[8:9]
.LBB16_118:                             ;   in Loop: Header=BB16_81 Depth=1
	s_or_b64 exec, exec, s[4:5]
	v_alignbit_b32 v4, v5, v4, 16
	v_and_b32_e32 v4, 0xffff0000, v4
	v_mul_f32_e32 v4, v10, v4
	v_bfe_u32 v15, v4, 16, 1
	v_add3_u32 v15, v4, v15, s18
	v_and_b32_e32 v15, 0xffff0000, v15
	v_cmp_o_f32_e32 vcc, v4, v4
	v_alignbit_b32 v6, v7, v6, 16
	v_cndmask_b32_e32 v4, v14, v15, vcc
	v_and_b32_e32 v6, 0xffff0000, v6
	v_mul_f32_e32 v4, v4, v6
	v_bfe_u32 v6, v4, 16, 1
	v_add3_u32 v6, v4, v6, s18
	v_and_b32_e32 v6, 0xffff0000, v6
	v_cmp_o_f32_e32 vcc, v4, v4
	v_cndmask_b32_e32 v4, v14, v6, vcc
	v_div_scale_f32 v6, s[4:5], v11, v11, v4
	v_rcp_f32_e32 v15, v6
	v_fma_f32 v16, -v6, v15, 1.0
	v_fmac_f32_e32 v15, v16, v15
	v_div_scale_f32 v16, vcc, v4, v11, v4
	v_mul_f32_e32 v17, v16, v15
	v_fma_f32 v18, -v6, v17, v16
	v_fmac_f32_e32 v17, v18, v15
	v_fma_f32 v6, -v6, v17, v16
	v_div_fmas_f32 v6, v6, v15, v17
	v_div_fixup_f32 v4, v6, v11, v4
	v_min_f32_e32 v4, 0x43600000, v4
	v_max_f32_e32 v15, 0xc3600000, v4
	v_and_b32_e32 v16, 0x7fffffff, v15
	v_cmp_gt_u32_e32 vcc, s19, v16
	v_mov_b32_e32 v4, 0x80
	v_mov_b32_e32 v6, 0x80
	s_and_saveexec_b64 s[4:5], vcc
	s_cbranch_execz .LBB16_124
; %bb.119:                              ;   in Loop: Header=BB16_81 Depth=1
	v_cmp_lt_u32_e32 vcc, s20, v16
	s_mov_b64 s[6:7], 0
                                        ; implicit-def: $vgpr16
	s_and_saveexec_b64 s[8:9], vcc
	s_xor_b64 s[8:9], exec, s[8:9]
	s_cbranch_execnz .LBB16_190
; %bb.120:                              ;   in Loop: Header=BB16_81 Depth=1
	s_or_saveexec_b64 s[8:9], s[8:9]
                                        ; implicit-def: $sgpr10
	s_xor_b64 exec, exec, s[8:9]
	s_cbranch_execnz .LBB16_191
.LBB16_121:                             ;   in Loop: Header=BB16_81 Depth=1
	s_or_b64 exec, exec, s[8:9]
	v_mov_b32_e32 v6, s10
	s_and_saveexec_b64 s[8:9], s[6:7]
.LBB16_122:                             ;   in Loop: Header=BB16_81 Depth=1
	v_lshrrev_b32_e32 v6, 24, v15
	v_and_or_b32 v6, v6, s23, v16
.LBB16_123:                             ;   in Loop: Header=BB16_81 Depth=1
	s_or_b64 exec, exec, s[8:9]
.LBB16_124:                             ;   in Loop: Header=BB16_81 Depth=1
	s_or_b64 exec, exec, s[4:5]
	v_and_b32_e32 v5, 0xffff0000, v5
	v_mul_f32_e32 v5, v10, v5
	v_bfe_u32 v15, v5, 16, 1
	v_add3_u32 v15, v5, v15, s18
	v_and_b32_e32 v15, 0xffff0000, v15
	v_cmp_o_f32_e32 vcc, v5, v5
	v_cndmask_b32_e32 v5, v14, v15, vcc
	v_and_b32_e32 v7, 0xffff0000, v7
	v_mul_f32_e32 v5, v5, v7
	v_bfe_u32 v7, v5, 16, 1
	v_add3_u32 v7, v5, v7, s18
	v_and_b32_e32 v7, 0xffff0000, v7
	v_cmp_o_f32_e32 vcc, v5, v5
	v_cndmask_b32_e32 v5, v14, v7, vcc
	v_div_scale_f32 v7, s[4:5], v11, v11, v5
	v_rcp_f32_e32 v15, v7
	v_fma_f32 v16, -v7, v15, 1.0
	v_fmac_f32_e32 v15, v16, v15
	v_div_scale_f32 v16, vcc, v5, v11, v5
	v_mul_f32_e32 v17, v16, v15
	v_fma_f32 v18, -v7, v17, v16
	v_fmac_f32_e32 v17, v18, v15
	v_fma_f32 v7, -v7, v17, v16
	v_div_fmas_f32 v7, v7, v15, v17
	v_div_fixup_f32 v5, v7, v11, v5
	v_min_f32_e32 v5, 0x43600000, v5
	v_max_f32_e32 v5, 0xc3600000, v5
	v_and_b32_e32 v7, 0x7fffffff, v5
	v_cmp_gt_u32_e32 vcc, s19, v7
	s_and_saveexec_b64 s[4:5], vcc
	s_cbranch_execz .LBB16_130
; %bb.125:                              ;   in Loop: Header=BB16_81 Depth=1
	v_cmp_lt_u32_e32 vcc, s20, v7
	s_mov_b64 s[6:7], 0
                                        ; implicit-def: $vgpr7
	s_and_saveexec_b64 s[8:9], vcc
	s_xor_b64 s[8:9], exec, s[8:9]
	s_cbranch_execnz .LBB16_192
; %bb.126:                              ;   in Loop: Header=BB16_81 Depth=1
	s_or_saveexec_b64 s[8:9], s[8:9]
                                        ; implicit-def: $sgpr10
	s_xor_b64 exec, exec, s[8:9]
	s_cbranch_execnz .LBB16_193
.LBB16_127:                             ;   in Loop: Header=BB16_81 Depth=1
	s_or_b64 exec, exec, s[8:9]
	v_mov_b32_e32 v4, s10
	s_and_saveexec_b64 s[8:9], s[6:7]
.LBB16_128:                             ;   in Loop: Header=BB16_81 Depth=1
	v_lshrrev_b32_e32 v4, 24, v5
	v_and_or_b32 v4, v4, s23, v7
.LBB16_129:                             ;   in Loop: Header=BB16_81 Depth=1
	s_or_b64 exec, exec, s[8:9]
.LBB16_130:                             ;   in Loop: Header=BB16_81 Depth=1
	s_or_b64 exec, exec, s[4:5]
	v_lshlrev_b64 v[16:17], 2, v[2:3]
	v_mov_b32_e32 v3, s15
	v_add_co_u32_e32 v16, vcc, s14, v16
	v_addc_co_u32_e32 v17, vcc, v3, v17, vcc
	v_lshlrev_b32_e32 v3, 16, v6
	v_perm_b32 v3, v4, v3, s24
	v_lshlrev_b32_e32 v4, 8, v8
	v_and_b32_e32 v4, 0xff00, v4
	v_and_b32_e32 v5, 0xff, v9
	v_or3_b32 v3, v3, v4, v5
	v_add_u32_e32 v4, s17, v0
	v_cmp_gt_u32_e32 vcc, s49, v4
	s_mov_b64 s[6:7], -1
	global_store_dword v[16:17], v3, off
	s_and_saveexec_b64 s[4:5], vcc
	s_cbranch_execz .LBB16_79
; %bb.131:                              ;   in Loop: Header=BB16_81 Depth=1
	v_mov_b32_e32 v5, v1
	v_lshlrev_b64 v[8:9], 3, v[4:5]
	v_mov_b32_e32 v3, s48
	v_add_co_u32_e32 v6, vcc, s33, v8
	v_addc_co_u32_e32 v7, vcc, v3, v9, vcc
	global_load_dwordx2 v[6:7], v[6:7], off
	v_mov_b32_e32 v3, s31
	v_add_co_u32_e32 v8, vcc, s30, v8
	v_addc_co_u32_e32 v9, vcc, v3, v9, vcc
	global_load_dwordx2 v[8:9], v[8:9], off
	s_waitcnt vmcnt(1)
	v_lshlrev_b32_e32 v3, 16, v6
	v_mul_f32_e32 v3, v10, v3
	v_bfe_u32 v16, v3, 16, 1
	v_add3_u32 v16, v3, v16, s18
	v_and_b32_e32 v16, 0xffff0000, v16
	v_cmp_o_f32_e32 vcc, v3, v3
	s_waitcnt vmcnt(0)
	v_lshlrev_b32_e32 v15, 16, v8
	v_cndmask_b32_e32 v3, v14, v16, vcc
	v_mul_f32_e32 v3, v3, v15
	v_bfe_u32 v15, v3, 16, 1
	v_add3_u32 v15, v3, v15, s18
	v_and_b32_e32 v15, 0xffff0000, v15
	v_cmp_o_f32_e32 vcc, v3, v3
	v_cndmask_b32_e32 v15, v14, v15, vcc
	v_div_scale_f32 v16, s[6:7], v11, v11, v15
	v_rcp_f32_e32 v17, v16
	v_div_scale_f32 v18, vcc, v15, v11, v15
	v_mov_b32_e32 v3, 0x80
	v_fma_f32 v19, -v16, v17, 1.0
	v_fmac_f32_e32 v17, v19, v17
	v_mul_f32_e32 v19, v18, v17
	v_fma_f32 v20, -v16, v19, v18
	v_fmac_f32_e32 v19, v20, v17
	v_fma_f32 v16, -v16, v19, v18
	v_div_fmas_f32 v16, v16, v17, v19
	v_div_fixup_f32 v15, v16, v11, v15
	v_min_f32_e32 v15, 0x43600000, v15
	v_max_f32_e32 v16, 0xc3600000, v15
	v_and_b32_e32 v17, 0x7fffffff, v16
	v_cmp_gt_u32_e32 vcc, s19, v17
	v_mov_b32_e32 v15, 0x80
	s_and_saveexec_b64 s[6:7], vcc
	s_cbranch_execz .LBB16_137
; %bb.132:                              ;   in Loop: Header=BB16_81 Depth=1
	v_cmp_lt_u32_e32 vcc, s20, v17
	s_mov_b64 s[8:9], 0
                                        ; implicit-def: $vgpr17
	s_and_saveexec_b64 s[10:11], vcc
	s_xor_b64 s[10:11], exec, s[10:11]
	s_cbranch_execnz .LBB16_194
; %bb.133:                              ;   in Loop: Header=BB16_81 Depth=1
	s_or_saveexec_b64 s[10:11], s[10:11]
                                        ; implicit-def: $sgpr12
	s_xor_b64 exec, exec, s[10:11]
	s_cbranch_execnz .LBB16_195
.LBB16_134:                             ;   in Loop: Header=BB16_81 Depth=1
	s_or_b64 exec, exec, s[10:11]
	v_mov_b32_e32 v15, s12
	s_and_saveexec_b64 s[10:11], s[8:9]
.LBB16_135:                             ;   in Loop: Header=BB16_81 Depth=1
	v_lshrrev_b32_e32 v15, 24, v16
	v_and_or_b32 v15, v15, s23, v17
.LBB16_136:                             ;   in Loop: Header=BB16_81 Depth=1
	s_or_b64 exec, exec, s[10:11]
.LBB16_137:                             ;   in Loop: Header=BB16_81 Depth=1
	s_or_b64 exec, exec, s[6:7]
	v_and_b32_e32 v16, 0xffff0000, v6
	v_mul_f32_e32 v16, v10, v16
	v_bfe_u32 v18, v16, 16, 1
	v_add3_u32 v18, v16, v18, s18
	v_and_b32_e32 v18, 0xffff0000, v18
	v_cmp_o_f32_e32 vcc, v16, v16
	v_and_b32_e32 v17, 0xffff0000, v8
	v_cndmask_b32_e32 v16, v14, v18, vcc
	v_mul_f32_e32 v16, v16, v17
	v_bfe_u32 v17, v16, 16, 1
	v_add3_u32 v17, v16, v17, s18
	v_and_b32_e32 v17, 0xffff0000, v17
	v_cmp_o_f32_e32 vcc, v16, v16
	v_cndmask_b32_e32 v16, v14, v17, vcc
	v_div_scale_f32 v17, s[6:7], v11, v11, v16
	v_rcp_f32_e32 v18, v17
	v_fma_f32 v19, -v17, v18, 1.0
	v_fmac_f32_e32 v18, v19, v18
	v_div_scale_f32 v19, vcc, v16, v11, v16
	v_mul_f32_e32 v20, v19, v18
	v_fma_f32 v21, -v17, v20, v19
	v_fmac_f32_e32 v20, v21, v18
	v_fma_f32 v17, -v17, v20, v19
	v_div_fmas_f32 v17, v17, v18, v20
	v_div_fixup_f32 v16, v17, v11, v16
	v_min_f32_e32 v16, 0x43600000, v16
	v_max_f32_e32 v16, 0xc3600000, v16
	v_and_b32_e32 v17, 0x7fffffff, v16
	v_cmp_gt_u32_e32 vcc, s19, v17
	s_and_saveexec_b64 s[6:7], vcc
	s_cbranch_execz .LBB16_143
; %bb.138:                              ;   in Loop: Header=BB16_81 Depth=1
	v_cmp_lt_u32_e32 vcc, s20, v17
	s_mov_b64 s[8:9], 0
                                        ; implicit-def: $vgpr17
	s_and_saveexec_b64 s[10:11], vcc
	s_xor_b64 s[10:11], exec, s[10:11]
	s_cbranch_execnz .LBB16_196
; %bb.139:                              ;   in Loop: Header=BB16_81 Depth=1
	s_or_saveexec_b64 s[10:11], s[10:11]
                                        ; implicit-def: $sgpr12
	s_xor_b64 exec, exec, s[10:11]
	s_cbranch_execnz .LBB16_197
.LBB16_140:                             ;   in Loop: Header=BB16_81 Depth=1
	s_or_b64 exec, exec, s[10:11]
	v_mov_b32_e32 v3, s12
	s_and_saveexec_b64 s[10:11], s[8:9]
.LBB16_141:                             ;   in Loop: Header=BB16_81 Depth=1
	v_lshrrev_b32_e32 v3, 24, v16
	v_and_or_b32 v3, v3, s23, v17
.LBB16_142:                             ;   in Loop: Header=BB16_81 Depth=1
	s_or_b64 exec, exec, s[10:11]
.LBB16_143:                             ;   in Loop: Header=BB16_81 Depth=1
	s_or_b64 exec, exec, s[6:7]
	v_alignbit_b32 v6, v7, v6, 16
	v_and_b32_e32 v6, 0xffff0000, v6
	v_mul_f32_e32 v6, v10, v6
	v_bfe_u32 v16, v6, 16, 1
	v_add3_u32 v16, v6, v16, s18
	v_and_b32_e32 v16, 0xffff0000, v16
	v_cmp_o_f32_e32 vcc, v6, v6
	v_alignbit_b32 v8, v9, v8, 16
	v_cndmask_b32_e32 v6, v14, v16, vcc
	v_and_b32_e32 v8, 0xffff0000, v8
	v_mul_f32_e32 v6, v6, v8
	v_bfe_u32 v8, v6, 16, 1
	v_add3_u32 v8, v6, v8, s18
	v_and_b32_e32 v8, 0xffff0000, v8
	v_cmp_o_f32_e32 vcc, v6, v6
	v_cndmask_b32_e32 v6, v14, v8, vcc
	v_div_scale_f32 v8, s[6:7], v11, v11, v6
	v_rcp_f32_e32 v16, v8
	v_fma_f32 v17, -v8, v16, 1.0
	v_fmac_f32_e32 v16, v17, v16
	v_div_scale_f32 v17, vcc, v6, v11, v6
	v_mul_f32_e32 v18, v17, v16
	v_fma_f32 v19, -v8, v18, v17
	v_fmac_f32_e32 v18, v19, v16
	v_fma_f32 v8, -v8, v18, v17
	v_div_fmas_f32 v8, v8, v16, v18
	v_div_fixup_f32 v6, v8, v11, v6
	v_min_f32_e32 v6, 0x43600000, v6
	v_max_f32_e32 v16, 0xc3600000, v6
	v_and_b32_e32 v17, 0x7fffffff, v16
	v_cmp_gt_u32_e32 vcc, s19, v17
	v_mov_b32_e32 v6, 0x80
	v_mov_b32_e32 v8, 0x80
	s_and_saveexec_b64 s[6:7], vcc
	s_cbranch_execz .LBB16_149
; %bb.144:                              ;   in Loop: Header=BB16_81 Depth=1
	v_cmp_lt_u32_e32 vcc, s20, v17
	s_mov_b64 s[8:9], 0
                                        ; implicit-def: $vgpr17
	s_and_saveexec_b64 s[10:11], vcc
	s_xor_b64 s[10:11], exec, s[10:11]
	s_cbranch_execnz .LBB16_198
; %bb.145:                              ;   in Loop: Header=BB16_81 Depth=1
	s_or_saveexec_b64 s[10:11], s[10:11]
                                        ; implicit-def: $sgpr12
	s_xor_b64 exec, exec, s[10:11]
	s_cbranch_execnz .LBB16_199
.LBB16_146:                             ;   in Loop: Header=BB16_81 Depth=1
	s_or_b64 exec, exec, s[10:11]
	v_mov_b32_e32 v8, s12
	s_and_saveexec_b64 s[10:11], s[8:9]
.LBB16_147:                             ;   in Loop: Header=BB16_81 Depth=1
	v_lshrrev_b32_e32 v8, 24, v16
	v_and_or_b32 v8, v8, s23, v17
.LBB16_148:                             ;   in Loop: Header=BB16_81 Depth=1
	s_or_b64 exec, exec, s[10:11]
.LBB16_149:                             ;   in Loop: Header=BB16_81 Depth=1
	s_or_b64 exec, exec, s[6:7]
	v_and_b32_e32 v7, 0xffff0000, v7
	v_mul_f32_e32 v7, v10, v7
	v_bfe_u32 v16, v7, 16, 1
	v_add3_u32 v16, v7, v16, s18
	v_and_b32_e32 v16, 0xffff0000, v16
	v_cmp_o_f32_e32 vcc, v7, v7
	v_cndmask_b32_e32 v7, v14, v16, vcc
	v_and_b32_e32 v9, 0xffff0000, v9
	v_mul_f32_e32 v7, v7, v9
	v_bfe_u32 v9, v7, 16, 1
	v_add3_u32 v9, v7, v9, s18
	v_and_b32_e32 v9, 0xffff0000, v9
	v_cmp_o_f32_e32 vcc, v7, v7
	v_cndmask_b32_e32 v7, v14, v9, vcc
	v_div_scale_f32 v9, s[6:7], v11, v11, v7
	v_rcp_f32_e32 v16, v9
	v_fma_f32 v17, -v9, v16, 1.0
	v_fmac_f32_e32 v16, v17, v16
	v_div_scale_f32 v17, vcc, v7, v11, v7
	v_mul_f32_e32 v18, v17, v16
	v_fma_f32 v19, -v9, v18, v17
	v_fmac_f32_e32 v18, v19, v16
	v_fma_f32 v9, -v9, v18, v17
	v_div_fmas_f32 v9, v9, v16, v18
	v_div_fixup_f32 v7, v9, v11, v7
	v_min_f32_e32 v7, 0x43600000, v7
	v_max_f32_e32 v7, 0xc3600000, v7
	v_and_b32_e32 v9, 0x7fffffff, v7
	v_cmp_gt_u32_e32 vcc, s19, v9
	s_and_saveexec_b64 s[6:7], vcc
	s_cbranch_execz .LBB16_155
; %bb.150:                              ;   in Loop: Header=BB16_81 Depth=1
	v_cmp_lt_u32_e32 vcc, s20, v9
	s_mov_b64 s[8:9], 0
                                        ; implicit-def: $vgpr9
	s_and_saveexec_b64 s[10:11], vcc
	s_xor_b64 s[10:11], exec, s[10:11]
	s_cbranch_execnz .LBB16_200
; %bb.151:                              ;   in Loop: Header=BB16_81 Depth=1
	s_or_saveexec_b64 s[10:11], s[10:11]
                                        ; implicit-def: $sgpr12
	s_xor_b64 exec, exec, s[10:11]
	s_cbranch_execnz .LBB16_201
.LBB16_152:                             ;   in Loop: Header=BB16_81 Depth=1
	s_or_b64 exec, exec, s[10:11]
	v_mov_b32_e32 v6, s12
	s_and_saveexec_b64 s[10:11], s[8:9]
.LBB16_153:                             ;   in Loop: Header=BB16_81 Depth=1
	v_lshrrev_b32_e32 v6, 24, v7
	v_and_or_b32 v6, v6, s23, v9
.LBB16_154:                             ;   in Loop: Header=BB16_81 Depth=1
	s_or_b64 exec, exec, s[10:11]
.LBB16_155:                             ;   in Loop: Header=BB16_81 Depth=1
	s_or_b64 exec, exec, s[6:7]
	v_lshlrev_b64 v[4:5], 2, v[4:5]
	v_mov_b32_e32 v7, s15
	v_add_co_u32_e32 v4, vcc, s14, v4
	v_addc_co_u32_e32 v5, vcc, v7, v5, vcc
	v_lshlrev_b32_e32 v7, 16, v8
	v_lshlrev_b32_e32 v3, 8, v3
	v_perm_b32 v6, v6, v7, s24
	v_and_b32_e32 v3, 0xff00, v3
	v_and_b32_e32 v7, 0xff, v15
	v_add_u32_e32 v0, s16, v0
	v_or3_b32 v3, v6, v3, v7
	v_cmp_gt_u32_e32 vcc, s49, v0
	s_mov_b64 s[8:9], -1
	global_store_dword v[4:5], v3, off
	s_and_saveexec_b64 s[6:7], vcc
	s_cbranch_execz .LBB16_78
; %bb.156:                              ;   in Loop: Header=BB16_81 Depth=1
	v_lshlrev_b64 v[6:7], 3, v[0:1]
	v_mov_b32_e32 v3, s48
	v_add_co_u32_e32 v4, vcc, s33, v6
	v_addc_co_u32_e32 v5, vcc, v3, v7, vcc
	global_load_dwordx2 v[4:5], v[4:5], off
	v_mov_b32_e32 v3, s31
	v_add_co_u32_e32 v6, vcc, s30, v6
	v_addc_co_u32_e32 v7, vcc, v3, v7, vcc
	global_load_dwordx2 v[6:7], v[6:7], off
	s_waitcnt vmcnt(1)
	v_lshlrev_b32_e32 v3, 16, v4
	v_mul_f32_e32 v3, v10, v3
	v_bfe_u32 v9, v3, 16, 1
	v_add3_u32 v9, v3, v9, s18
	v_and_b32_e32 v9, 0xffff0000, v9
	v_cmp_o_f32_e32 vcc, v3, v3
	s_waitcnt vmcnt(0)
	v_lshlrev_b32_e32 v8, 16, v6
	v_cndmask_b32_e32 v3, v14, v9, vcc
	v_mul_f32_e32 v3, v3, v8
	v_bfe_u32 v8, v3, 16, 1
	v_add3_u32 v8, v3, v8, s18
	v_and_b32_e32 v8, 0xffff0000, v8
	v_cmp_o_f32_e32 vcc, v3, v3
	v_cndmask_b32_e32 v8, v14, v8, vcc
	v_div_scale_f32 v9, s[8:9], v11, v11, v8
	v_rcp_f32_e32 v15, v9
	v_div_scale_f32 v16, vcc, v8, v11, v8
	v_mov_b32_e32 v3, 0x80
	v_fma_f32 v17, -v9, v15, 1.0
	v_fmac_f32_e32 v15, v17, v15
	v_mul_f32_e32 v17, v16, v15
	v_fma_f32 v18, -v9, v17, v16
	v_fmac_f32_e32 v17, v18, v15
	v_fma_f32 v9, -v9, v17, v16
	v_div_fmas_f32 v9, v9, v15, v17
	v_div_fixup_f32 v8, v9, v11, v8
	v_min_f32_e32 v8, 0x43600000, v8
	v_max_f32_e32 v9, 0xc3600000, v8
	v_and_b32_e32 v15, 0x7fffffff, v9
	v_cmp_gt_u32_e32 vcc, s19, v15
	v_mov_b32_e32 v8, 0x80
	s_and_saveexec_b64 s[8:9], vcc
	s_cbranch_execz .LBB16_162
; %bb.157:                              ;   in Loop: Header=BB16_81 Depth=1
	v_cmp_lt_u32_e32 vcc, s20, v15
	s_mov_b64 s[10:11], 0
                                        ; implicit-def: $vgpr15
	s_and_saveexec_b64 s[12:13], vcc
	s_xor_b64 s[12:13], exec, s[12:13]
	s_cbranch_execnz .LBB16_202
; %bb.158:                              ;   in Loop: Header=BB16_81 Depth=1
	s_or_saveexec_b64 s[12:13], s[12:13]
                                        ; implicit-def: $sgpr25
	s_xor_b64 exec, exec, s[12:13]
	s_cbranch_execnz .LBB16_203
.LBB16_159:                             ;   in Loop: Header=BB16_81 Depth=1
	s_or_b64 exec, exec, s[12:13]
	v_mov_b32_e32 v8, s25
	s_and_saveexec_b64 s[12:13], s[10:11]
.LBB16_160:                             ;   in Loop: Header=BB16_81 Depth=1
	v_lshrrev_b32_e32 v8, 24, v9
	v_and_or_b32 v8, v8, s23, v15
.LBB16_161:                             ;   in Loop: Header=BB16_81 Depth=1
	s_or_b64 exec, exec, s[12:13]
.LBB16_162:                             ;   in Loop: Header=BB16_81 Depth=1
	s_or_b64 exec, exec, s[8:9]
	v_and_b32_e32 v9, 0xffff0000, v4
	v_mul_f32_e32 v9, v10, v9
	v_bfe_u32 v16, v9, 16, 1
	v_add3_u32 v16, v9, v16, s18
	v_and_b32_e32 v16, 0xffff0000, v16
	v_cmp_o_f32_e32 vcc, v9, v9
	v_and_b32_e32 v15, 0xffff0000, v6
	v_cndmask_b32_e32 v9, v14, v16, vcc
	v_mul_f32_e32 v9, v9, v15
	v_bfe_u32 v15, v9, 16, 1
	v_add3_u32 v15, v9, v15, s18
	v_and_b32_e32 v15, 0xffff0000, v15
	v_cmp_o_f32_e32 vcc, v9, v9
	v_cndmask_b32_e32 v9, v14, v15, vcc
	v_div_scale_f32 v15, s[8:9], v11, v11, v9
	v_rcp_f32_e32 v16, v15
	v_fma_f32 v17, -v15, v16, 1.0
	v_fmac_f32_e32 v16, v17, v16
	v_div_scale_f32 v17, vcc, v9, v11, v9
	v_mul_f32_e32 v18, v17, v16
	v_fma_f32 v19, -v15, v18, v17
	v_fmac_f32_e32 v18, v19, v16
	v_fma_f32 v15, -v15, v18, v17
	v_div_fmas_f32 v15, v15, v16, v18
	v_div_fixup_f32 v9, v15, v11, v9
	v_min_f32_e32 v9, 0x43600000, v9
	v_max_f32_e32 v9, 0xc3600000, v9
	v_and_b32_e32 v15, 0x7fffffff, v9
	v_cmp_gt_u32_e32 vcc, s19, v15
	s_and_saveexec_b64 s[8:9], vcc
	s_cbranch_execz .LBB16_168
; %bb.163:                              ;   in Loop: Header=BB16_81 Depth=1
	v_cmp_lt_u32_e32 vcc, s20, v15
	s_mov_b64 s[10:11], 0
                                        ; implicit-def: $vgpr15
	s_and_saveexec_b64 s[12:13], vcc
	s_xor_b64 s[12:13], exec, s[12:13]
	s_cbranch_execnz .LBB16_204
; %bb.164:                              ;   in Loop: Header=BB16_81 Depth=1
	s_or_saveexec_b64 s[12:13], s[12:13]
                                        ; implicit-def: $sgpr25
	s_xor_b64 exec, exec, s[12:13]
	s_cbranch_execnz .LBB16_205
.LBB16_165:                             ;   in Loop: Header=BB16_81 Depth=1
	s_or_b64 exec, exec, s[12:13]
	v_mov_b32_e32 v3, s25
	s_and_saveexec_b64 s[12:13], s[10:11]
.LBB16_166:                             ;   in Loop: Header=BB16_81 Depth=1
	v_lshrrev_b32_e32 v3, 24, v9
	v_and_or_b32 v3, v3, s23, v15
.LBB16_167:                             ;   in Loop: Header=BB16_81 Depth=1
	s_or_b64 exec, exec, s[12:13]
.LBB16_168:                             ;   in Loop: Header=BB16_81 Depth=1
	s_or_b64 exec, exec, s[8:9]
	v_alignbit_b32 v4, v5, v4, 16
	v_and_b32_e32 v4, 0xffff0000, v4
	v_mul_f32_e32 v4, v10, v4
	v_bfe_u32 v9, v4, 16, 1
	v_add3_u32 v9, v4, v9, s18
	v_and_b32_e32 v9, 0xffff0000, v9
	v_cmp_o_f32_e32 vcc, v4, v4
	v_alignbit_b32 v6, v7, v6, 16
	v_cndmask_b32_e32 v4, v14, v9, vcc
	v_and_b32_e32 v6, 0xffff0000, v6
	v_mul_f32_e32 v4, v4, v6
	v_bfe_u32 v6, v4, 16, 1
	v_add3_u32 v6, v4, v6, s18
	v_and_b32_e32 v6, 0xffff0000, v6
	v_cmp_o_f32_e32 vcc, v4, v4
	v_cndmask_b32_e32 v4, v14, v6, vcc
	v_div_scale_f32 v6, s[8:9], v11, v11, v4
	v_rcp_f32_e32 v9, v6
	v_fma_f32 v15, -v6, v9, 1.0
	v_fmac_f32_e32 v9, v15, v9
	v_div_scale_f32 v15, vcc, v4, v11, v4
	v_mul_f32_e32 v16, v15, v9
	v_fma_f32 v17, -v6, v16, v15
	v_fmac_f32_e32 v16, v17, v9
	v_fma_f32 v6, -v6, v16, v15
	v_div_fmas_f32 v6, v6, v9, v16
	v_div_fixup_f32 v4, v6, v11, v4
	v_min_f32_e32 v4, 0x43600000, v4
	v_max_f32_e32 v9, 0xc3600000, v4
	v_and_b32_e32 v15, 0x7fffffff, v9
	v_cmp_gt_u32_e32 vcc, s19, v15
	v_mov_b32_e32 v4, 0x80
	v_mov_b32_e32 v6, 0x80
	s_and_saveexec_b64 s[8:9], vcc
	s_cbranch_execz .LBB16_174
; %bb.169:                              ;   in Loop: Header=BB16_81 Depth=1
	v_cmp_lt_u32_e32 vcc, s20, v15
	s_mov_b64 s[10:11], 0
                                        ; implicit-def: $vgpr15
	s_and_saveexec_b64 s[12:13], vcc
	s_xor_b64 s[12:13], exec, s[12:13]
	s_cbranch_execnz .LBB16_206
; %bb.170:                              ;   in Loop: Header=BB16_81 Depth=1
	s_or_saveexec_b64 s[12:13], s[12:13]
                                        ; implicit-def: $sgpr25
	s_xor_b64 exec, exec, s[12:13]
	s_cbranch_execnz .LBB16_207
.LBB16_171:                             ;   in Loop: Header=BB16_81 Depth=1
	s_or_b64 exec, exec, s[12:13]
	v_mov_b32_e32 v6, s25
	s_and_saveexec_b64 s[12:13], s[10:11]
.LBB16_172:                             ;   in Loop: Header=BB16_81 Depth=1
	v_lshrrev_b32_e32 v6, 24, v9
	v_and_or_b32 v6, v6, s23, v15
.LBB16_173:                             ;   in Loop: Header=BB16_81 Depth=1
	s_or_b64 exec, exec, s[12:13]
.LBB16_174:                             ;   in Loop: Header=BB16_81 Depth=1
	s_or_b64 exec, exec, s[8:9]
	v_and_b32_e32 v5, 0xffff0000, v5
	v_mul_f32_e32 v5, v10, v5
	v_bfe_u32 v9, v5, 16, 1
	v_add3_u32 v9, v5, v9, s18
	v_and_b32_e32 v9, 0xffff0000, v9
	v_cmp_o_f32_e32 vcc, v5, v5
	v_cndmask_b32_e32 v5, v14, v9, vcc
	v_and_b32_e32 v7, 0xffff0000, v7
	v_mul_f32_e32 v5, v5, v7
	v_bfe_u32 v7, v5, 16, 1
	v_add3_u32 v7, v5, v7, s18
	v_and_b32_e32 v7, 0xffff0000, v7
	v_cmp_o_f32_e32 vcc, v5, v5
	v_cndmask_b32_e32 v5, v14, v7, vcc
	v_div_scale_f32 v7, s[8:9], v11, v11, v5
	v_rcp_f32_e32 v9, v7
	v_fma_f32 v15, -v7, v9, 1.0
	v_fmac_f32_e32 v9, v15, v9
	v_div_scale_f32 v15, vcc, v5, v11, v5
	v_mul_f32_e32 v16, v15, v9
	v_fma_f32 v17, -v7, v16, v15
	v_fmac_f32_e32 v16, v17, v9
	v_fma_f32 v7, -v7, v16, v15
	v_div_fmas_f32 v7, v7, v9, v16
	v_div_fixup_f32 v5, v7, v11, v5
	v_min_f32_e32 v5, 0x43600000, v5
	v_max_f32_e32 v5, 0xc3600000, v5
	v_and_b32_e32 v7, 0x7fffffff, v5
	v_cmp_gt_u32_e32 vcc, s19, v7
	s_and_saveexec_b64 s[8:9], vcc
	s_cbranch_execz .LBB16_77
; %bb.175:                              ;   in Loop: Header=BB16_81 Depth=1
	v_cmp_lt_u32_e32 vcc, s20, v7
	s_mov_b64 s[10:11], 0
                                        ; implicit-def: $vgpr7
	s_and_saveexec_b64 s[12:13], vcc
	s_xor_b64 s[12:13], exec, s[12:13]
	s_cbranch_execnz .LBB16_208
; %bb.176:                              ;   in Loop: Header=BB16_81 Depth=1
	s_or_saveexec_b64 s[12:13], s[12:13]
                                        ; implicit-def: $sgpr25
	s_xor_b64 exec, exec, s[12:13]
	s_cbranch_execnz .LBB16_209
.LBB16_177:                             ;   in Loop: Header=BB16_81 Depth=1
	s_or_b64 exec, exec, s[12:13]
	v_mov_b32_e32 v4, s25
	s_and_saveexec_b64 s[12:13], s[10:11]
	s_cbranch_execz .LBB16_76
	s_branch .LBB16_210
.LBB16_178:                             ;   in Loop: Header=BB16_81 Depth=1
	v_bfe_u32 v7, v8, 20, 1
	v_add3_u32 v7, v8, v7, s21
	s_mov_b64 s[4:5], exec
	v_lshrrev_b32_e32 v9, 20, v7
	s_or_saveexec_b64 s[6:7], s[6:7]
                                        ; implicit-def: $sgpr8
	s_xor_b64 exec, exec, s[6:7]
	s_cbranch_execz .LBB16_84
.LBB16_179:                             ;   in Loop: Header=BB16_81 Depth=1
	v_add_f32_e64 v7, |v8|, s22
	v_and_b32_e32 v9, 0xff, v7
	v_cmp_ne_u32_e32 vcc, 0, v9
	s_andn2_b64 s[4:5], s[4:5], exec
	s_and_b64 s[10:11], vcc, exec
	s_mov_b32 s8, 0
	s_or_b64 s[4:5], s[4:5], s[10:11]
	s_or_b64 exec, exec, s[6:7]
	v_mov_b32_e32 v7, s8
	s_and_saveexec_b64 s[6:7], s[4:5]
	s_cbranch_execnz .LBB16_85
	s_branch .LBB16_86
.LBB16_180:                             ;   in Loop: Header=BB16_81 Depth=1
	v_bfe_u32 v6, v8, 20, 1
	v_add3_u32 v6, v8, v6, s21
	s_mov_b64 s[4:5], exec
	v_lshrrev_b32_e32 v9, 20, v6
	s_or_saveexec_b64 s[6:7], s[6:7]
                                        ; implicit-def: $sgpr8
	s_xor_b64 exec, exec, s[6:7]
	s_cbranch_execz .LBB16_90
.LBB16_181:                             ;   in Loop: Header=BB16_81 Depth=1
	v_add_f32_e64 v6, |v8|, s22
	v_and_b32_e32 v9, 0xff, v6
	v_cmp_ne_u32_e32 vcc, 0, v9
	s_andn2_b64 s[4:5], s[4:5], exec
	s_and_b64 s[10:11], vcc, exec
	s_mov_b32 s8, 0
	s_or_b64 s[4:5], s[4:5], s[10:11]
	s_or_b64 exec, exec, s[6:7]
	v_mov_b32_e32 v6, s8
	s_and_saveexec_b64 s[6:7], s[4:5]
	s_cbranch_execnz .LBB16_91
	s_branch .LBB16_92
.LBB16_182:                             ;   in Loop: Header=BB16_81 Depth=1
	v_bfe_u32 v4, v8, 20, 1
	v_add3_u32 v4, v8, v4, s21
	s_mov_b64 s[4:5], exec
	v_lshrrev_b32_e32 v9, 20, v4
	s_or_saveexec_b64 s[6:7], s[6:7]
                                        ; implicit-def: $sgpr8
	s_xor_b64 exec, exec, s[6:7]
	s_cbranch_execz .LBB16_96
.LBB16_183:                             ;   in Loop: Header=BB16_81 Depth=1
	v_add_f32_e64 v4, |v8|, s22
	v_and_b32_e32 v9, 0xff, v4
	v_cmp_ne_u32_e32 vcc, 0, v9
	s_andn2_b64 s[4:5], s[4:5], exec
	s_and_b64 s[10:11], vcc, exec
	s_mov_b32 s8, 0
	s_or_b64 s[4:5], s[4:5], s[10:11]
	s_or_b64 exec, exec, s[6:7]
	v_mov_b32_e32 v4, s8
	s_and_saveexec_b64 s[6:7], s[4:5]
	s_cbranch_execnz .LBB16_97
	s_branch .LBB16_98
.LBB16_184:                             ;   in Loop: Header=BB16_81 Depth=1
	v_bfe_u32 v2, v3, 20, 1
	v_add3_u32 v2, v3, v2, s21
	s_mov_b64 s[4:5], exec
	v_lshrrev_b32_e32 v5, 20, v2
	s_or_saveexec_b64 s[6:7], s[6:7]
                                        ; implicit-def: $sgpr8
	s_xor_b64 exec, exec, s[6:7]
	s_cbranch_execz .LBB16_102
.LBB16_185:                             ;   in Loop: Header=BB16_81 Depth=1
	v_add_f32_e64 v2, |v3|, s22
	v_and_b32_e32 v5, 0xff, v2
	v_cmp_ne_u32_e32 vcc, 0, v5
	s_andn2_b64 s[4:5], s[4:5], exec
	s_and_b64 s[10:11], vcc, exec
	s_mov_b32 s8, 0
	s_or_b64 s[4:5], s[4:5], s[10:11]
	s_or_b64 exec, exec, s[6:7]
	v_mov_b32_e32 v2, s8
	s_and_saveexec_b64 s[6:7], s[4:5]
	s_cbranch_execnz .LBB16_103
	s_branch .LBB16_104
.LBB16_186:                             ;   in Loop: Header=BB16_81 Depth=1
	v_bfe_u32 v9, v15, 20, 1
	v_add3_u32 v9, v15, v9, s21
	s_mov_b64 s[6:7], exec
	v_lshrrev_b32_e32 v16, 20, v9
	s_or_saveexec_b64 s[8:9], s[8:9]
                                        ; implicit-def: $sgpr10
	s_xor_b64 exec, exec, s[8:9]
	s_cbranch_execz .LBB16_109
.LBB16_187:                             ;   in Loop: Header=BB16_81 Depth=1
	v_add_f32_e64 v9, |v15|, s22
	v_and_b32_e32 v16, 0xff, v9
	v_cmp_ne_u32_e32 vcc, 0, v16
	s_andn2_b64 s[6:7], s[6:7], exec
	s_and_b64 s[12:13], vcc, exec
	s_mov_b32 s10, 0
	s_or_b64 s[6:7], s[6:7], s[12:13]
	s_or_b64 exec, exec, s[8:9]
	v_mov_b32_e32 v9, s10
	s_and_saveexec_b64 s[8:9], s[6:7]
	s_cbranch_execnz .LBB16_110
	s_branch .LBB16_111
.LBB16_188:                             ;   in Loop: Header=BB16_81 Depth=1
	v_bfe_u32 v8, v15, 20, 1
	v_add3_u32 v8, v15, v8, s21
	s_mov_b64 s[6:7], exec
	v_lshrrev_b32_e32 v16, 20, v8
	s_or_saveexec_b64 s[8:9], s[8:9]
                                        ; implicit-def: $sgpr10
	s_xor_b64 exec, exec, s[8:9]
	s_cbranch_execz .LBB16_115
.LBB16_189:                             ;   in Loop: Header=BB16_81 Depth=1
	v_add_f32_e64 v8, |v15|, s22
	v_and_b32_e32 v16, 0xff, v8
	v_cmp_ne_u32_e32 vcc, 0, v16
	s_andn2_b64 s[6:7], s[6:7], exec
	s_and_b64 s[12:13], vcc, exec
	s_mov_b32 s10, 0
	s_or_b64 s[6:7], s[6:7], s[12:13]
	s_or_b64 exec, exec, s[8:9]
	v_mov_b32_e32 v8, s10
	s_and_saveexec_b64 s[8:9], s[6:7]
	s_cbranch_execnz .LBB16_116
	s_branch .LBB16_117
.LBB16_190:                             ;   in Loop: Header=BB16_81 Depth=1
	v_bfe_u32 v6, v15, 20, 1
	v_add3_u32 v6, v15, v6, s21
	s_mov_b64 s[6:7], exec
	v_lshrrev_b32_e32 v16, 20, v6
	s_or_saveexec_b64 s[8:9], s[8:9]
                                        ; implicit-def: $sgpr10
	s_xor_b64 exec, exec, s[8:9]
	s_cbranch_execz .LBB16_121
.LBB16_191:                             ;   in Loop: Header=BB16_81 Depth=1
	v_add_f32_e64 v6, |v15|, s22
	v_and_b32_e32 v16, 0xff, v6
	v_cmp_ne_u32_e32 vcc, 0, v16
	s_andn2_b64 s[6:7], s[6:7], exec
	s_and_b64 s[12:13], vcc, exec
	s_mov_b32 s10, 0
	s_or_b64 s[6:7], s[6:7], s[12:13]
	s_or_b64 exec, exec, s[8:9]
	v_mov_b32_e32 v6, s10
	s_and_saveexec_b64 s[8:9], s[6:7]
	s_cbranch_execnz .LBB16_122
	s_branch .LBB16_123
.LBB16_192:                             ;   in Loop: Header=BB16_81 Depth=1
	v_bfe_u32 v4, v5, 20, 1
	v_add3_u32 v4, v5, v4, s21
	s_mov_b64 s[6:7], exec
	v_lshrrev_b32_e32 v7, 20, v4
	s_or_saveexec_b64 s[8:9], s[8:9]
                                        ; implicit-def: $sgpr10
	s_xor_b64 exec, exec, s[8:9]
	s_cbranch_execz .LBB16_127
.LBB16_193:                             ;   in Loop: Header=BB16_81 Depth=1
	v_add_f32_e64 v4, |v5|, s22
	v_and_b32_e32 v7, 0xff, v4
	v_cmp_ne_u32_e32 vcc, 0, v7
	s_andn2_b64 s[6:7], s[6:7], exec
	s_and_b64 s[12:13], vcc, exec
	s_mov_b32 s10, 0
	s_or_b64 s[6:7], s[6:7], s[12:13]
	s_or_b64 exec, exec, s[8:9]
	v_mov_b32_e32 v4, s10
	s_and_saveexec_b64 s[8:9], s[6:7]
	s_cbranch_execnz .LBB16_128
	s_branch .LBB16_129
.LBB16_194:                             ;   in Loop: Header=BB16_81 Depth=1
	v_bfe_u32 v15, v16, 20, 1
	v_add3_u32 v15, v16, v15, s21
	s_mov_b64 s[8:9], exec
	v_lshrrev_b32_e32 v17, 20, v15
	s_or_saveexec_b64 s[10:11], s[10:11]
                                        ; implicit-def: $sgpr12
	s_xor_b64 exec, exec, s[10:11]
	s_cbranch_execz .LBB16_134
.LBB16_195:                             ;   in Loop: Header=BB16_81 Depth=1
	v_add_f32_e64 v15, |v16|, s22
	v_and_b32_e32 v17, 0xff, v15
	v_cmp_ne_u32_e32 vcc, 0, v17
	s_andn2_b64 s[8:9], s[8:9], exec
	s_and_b64 s[26:27], vcc, exec
	s_mov_b32 s12, 0
	s_or_b64 s[8:9], s[8:9], s[26:27]
	s_or_b64 exec, exec, s[10:11]
	v_mov_b32_e32 v15, s12
	s_and_saveexec_b64 s[10:11], s[8:9]
	s_cbranch_execnz .LBB16_135
	s_branch .LBB16_136
.LBB16_196:                             ;   in Loop: Header=BB16_81 Depth=1
	v_bfe_u32 v3, v16, 20, 1
	v_add3_u32 v3, v16, v3, s21
	s_mov_b64 s[8:9], exec
	v_lshrrev_b32_e32 v17, 20, v3
	s_or_saveexec_b64 s[10:11], s[10:11]
                                        ; implicit-def: $sgpr12
	s_xor_b64 exec, exec, s[10:11]
	s_cbranch_execz .LBB16_140
.LBB16_197:                             ;   in Loop: Header=BB16_81 Depth=1
	v_add_f32_e64 v3, |v16|, s22
	v_and_b32_e32 v17, 0xff, v3
	v_cmp_ne_u32_e32 vcc, 0, v17
	s_andn2_b64 s[8:9], s[8:9], exec
	s_and_b64 s[26:27], vcc, exec
	s_mov_b32 s12, 0
	s_or_b64 s[8:9], s[8:9], s[26:27]
	s_or_b64 exec, exec, s[10:11]
	v_mov_b32_e32 v3, s12
	s_and_saveexec_b64 s[10:11], s[8:9]
	s_cbranch_execnz .LBB16_141
	s_branch .LBB16_142
.LBB16_198:                             ;   in Loop: Header=BB16_81 Depth=1
	v_bfe_u32 v8, v16, 20, 1
	v_add3_u32 v8, v16, v8, s21
	s_mov_b64 s[8:9], exec
	v_lshrrev_b32_e32 v17, 20, v8
	s_or_saveexec_b64 s[10:11], s[10:11]
                                        ; implicit-def: $sgpr12
	s_xor_b64 exec, exec, s[10:11]
	s_cbranch_execz .LBB16_146
.LBB16_199:                             ;   in Loop: Header=BB16_81 Depth=1
	v_add_f32_e64 v8, |v16|, s22
	v_and_b32_e32 v17, 0xff, v8
	v_cmp_ne_u32_e32 vcc, 0, v17
	s_andn2_b64 s[8:9], s[8:9], exec
	s_and_b64 s[26:27], vcc, exec
	s_mov_b32 s12, 0
	s_or_b64 s[8:9], s[8:9], s[26:27]
	s_or_b64 exec, exec, s[10:11]
	v_mov_b32_e32 v8, s12
	s_and_saveexec_b64 s[10:11], s[8:9]
	s_cbranch_execnz .LBB16_147
	s_branch .LBB16_148
.LBB16_200:                             ;   in Loop: Header=BB16_81 Depth=1
	v_bfe_u32 v6, v7, 20, 1
	v_add3_u32 v6, v7, v6, s21
	s_mov_b64 s[8:9], exec
	v_lshrrev_b32_e32 v9, 20, v6
	s_or_saveexec_b64 s[10:11], s[10:11]
                                        ; implicit-def: $sgpr12
	s_xor_b64 exec, exec, s[10:11]
	s_cbranch_execz .LBB16_152
.LBB16_201:                             ;   in Loop: Header=BB16_81 Depth=1
	v_add_f32_e64 v6, |v7|, s22
	v_and_b32_e32 v9, 0xff, v6
	v_cmp_ne_u32_e32 vcc, 0, v9
	s_andn2_b64 s[8:9], s[8:9], exec
	s_and_b64 s[26:27], vcc, exec
	s_mov_b32 s12, 0
	s_or_b64 s[8:9], s[8:9], s[26:27]
	s_or_b64 exec, exec, s[10:11]
	v_mov_b32_e32 v6, s12
	s_and_saveexec_b64 s[10:11], s[8:9]
	s_cbranch_execnz .LBB16_153
	s_branch .LBB16_154
.LBB16_202:                             ;   in Loop: Header=BB16_81 Depth=1
	v_bfe_u32 v8, v9, 20, 1
	v_add3_u32 v8, v9, v8, s21
	s_mov_b64 s[10:11], exec
	v_lshrrev_b32_e32 v15, 20, v8
	s_or_saveexec_b64 s[12:13], s[12:13]
                                        ; implicit-def: $sgpr25
	s_xor_b64 exec, exec, s[12:13]
	s_cbranch_execz .LBB16_159
.LBB16_203:                             ;   in Loop: Header=BB16_81 Depth=1
	v_add_f32_e64 v8, |v9|, s22
	v_and_b32_e32 v15, 0xff, v8
	v_cmp_ne_u32_e32 vcc, 0, v15
	s_andn2_b64 s[10:11], s[10:11], exec
	s_and_b64 s[26:27], vcc, exec
	s_mov_b32 s25, 0
	s_or_b64 s[10:11], s[10:11], s[26:27]
	s_or_b64 exec, exec, s[12:13]
	v_mov_b32_e32 v8, s25
	s_and_saveexec_b64 s[12:13], s[10:11]
	s_cbranch_execnz .LBB16_160
	s_branch .LBB16_161
.LBB16_204:                             ;   in Loop: Header=BB16_81 Depth=1
	v_bfe_u32 v3, v9, 20, 1
	v_add3_u32 v3, v9, v3, s21
	s_mov_b64 s[10:11], exec
	v_lshrrev_b32_e32 v15, 20, v3
	s_or_saveexec_b64 s[12:13], s[12:13]
                                        ; implicit-def: $sgpr25
	s_xor_b64 exec, exec, s[12:13]
	s_cbranch_execz .LBB16_165
.LBB16_205:                             ;   in Loop: Header=BB16_81 Depth=1
	v_add_f32_e64 v3, |v9|, s22
	v_and_b32_e32 v15, 0xff, v3
	v_cmp_ne_u32_e32 vcc, 0, v15
	s_andn2_b64 s[10:11], s[10:11], exec
	s_and_b64 s[26:27], vcc, exec
	s_mov_b32 s25, 0
	s_or_b64 s[10:11], s[10:11], s[26:27]
	s_or_b64 exec, exec, s[12:13]
	v_mov_b32_e32 v3, s25
	s_and_saveexec_b64 s[12:13], s[10:11]
	s_cbranch_execnz .LBB16_166
	s_branch .LBB16_167
.LBB16_206:                             ;   in Loop: Header=BB16_81 Depth=1
	v_bfe_u32 v6, v9, 20, 1
	v_add3_u32 v6, v9, v6, s21
	s_mov_b64 s[10:11], exec
	v_lshrrev_b32_e32 v15, 20, v6
	s_or_saveexec_b64 s[12:13], s[12:13]
                                        ; implicit-def: $sgpr25
	s_xor_b64 exec, exec, s[12:13]
	s_cbranch_execz .LBB16_171
.LBB16_207:                             ;   in Loop: Header=BB16_81 Depth=1
	v_add_f32_e64 v6, |v9|, s22
	v_and_b32_e32 v15, 0xff, v6
	v_cmp_ne_u32_e32 vcc, 0, v15
	s_andn2_b64 s[10:11], s[10:11], exec
	s_and_b64 s[26:27], vcc, exec
	s_mov_b32 s25, 0
	s_or_b64 s[10:11], s[10:11], s[26:27]
	s_or_b64 exec, exec, s[12:13]
	v_mov_b32_e32 v6, s25
	s_and_saveexec_b64 s[12:13], s[10:11]
	s_cbranch_execnz .LBB16_172
	s_branch .LBB16_173
.LBB16_208:                             ;   in Loop: Header=BB16_81 Depth=1
	v_bfe_u32 v4, v5, 20, 1
	v_add3_u32 v4, v5, v4, s21
	s_mov_b64 s[10:11], exec
	v_lshrrev_b32_e32 v7, 20, v4
	s_or_saveexec_b64 s[12:13], s[12:13]
                                        ; implicit-def: $sgpr25
	s_xor_b64 exec, exec, s[12:13]
	s_cbranch_execz .LBB16_177
.LBB16_209:                             ;   in Loop: Header=BB16_81 Depth=1
	v_add_f32_e64 v4, |v5|, s22
	v_and_b32_e32 v7, 0xff, v4
	v_cmp_ne_u32_e32 vcc, 0, v7
	s_andn2_b64 s[10:11], s[10:11], exec
	s_and_b64 s[26:27], vcc, exec
	s_mov_b32 s25, 0
	s_or_b64 s[10:11], s[10:11], s[26:27]
	s_or_b64 exec, exec, s[12:13]
	v_mov_b32_e32 v4, s25
	s_and_saveexec_b64 s[12:13], s[10:11]
	s_cbranch_execz .LBB16_76
.LBB16_210:                             ;   in Loop: Header=BB16_81 Depth=1
	v_lshrrev_b32_e32 v4, 24, v5
	v_and_or_b32 v4, v4, s23, v7
	s_branch .LBB16_76
.LBB16_211:
	s_endpgm
	.section	.rodata,"a",@progbits
	.p2align	6, 0x0
	.amdhsa_kernel _ZN4vllm39rms_norm_dynamic_per_token_quant_kernelIN3c108BFloat16ENS1_15Float8_e4m3fnuzELb0EEEvPT0_PfPKT_S9_PKffiiPS7_
		.amdhsa_group_segment_fixed_size 272
		.amdhsa_private_segment_fixed_size 0
		.amdhsa_kernarg_size 320
		.amdhsa_user_sgpr_count 6
		.amdhsa_user_sgpr_private_segment_buffer 1
		.amdhsa_user_sgpr_dispatch_ptr 0
		.amdhsa_user_sgpr_queue_ptr 0
		.amdhsa_user_sgpr_kernarg_segment_ptr 1
		.amdhsa_user_sgpr_dispatch_id 0
		.amdhsa_user_sgpr_flat_scratch_init 0
		.amdhsa_user_sgpr_kernarg_preload_length 0
		.amdhsa_user_sgpr_kernarg_preload_offset 0
		.amdhsa_user_sgpr_private_segment_size 0
		.amdhsa_uses_dynamic_stack 0
		.amdhsa_system_sgpr_private_segment_wavefront_offset 0
		.amdhsa_system_sgpr_workgroup_id_x 1
		.amdhsa_system_sgpr_workgroup_id_y 0
		.amdhsa_system_sgpr_workgroup_id_z 0
		.amdhsa_system_sgpr_workgroup_info 0
		.amdhsa_system_vgpr_workitem_id 0
		.amdhsa_next_free_vgpr 30
		.amdhsa_next_free_sgpr 54
		.amdhsa_accum_offset 32
		.amdhsa_reserve_vcc 1
		.amdhsa_reserve_flat_scratch 0
		.amdhsa_float_round_mode_32 0
		.amdhsa_float_round_mode_16_64 0
		.amdhsa_float_denorm_mode_32 3
		.amdhsa_float_denorm_mode_16_64 3
		.amdhsa_dx10_clamp 1
		.amdhsa_ieee_mode 1
		.amdhsa_fp16_overflow 0
		.amdhsa_tg_split 0
		.amdhsa_exception_fp_ieee_invalid_op 0
		.amdhsa_exception_fp_denorm_src 0
		.amdhsa_exception_fp_ieee_div_zero 0
		.amdhsa_exception_fp_ieee_overflow 0
		.amdhsa_exception_fp_ieee_underflow 0
		.amdhsa_exception_fp_ieee_inexact 0
		.amdhsa_exception_int_div_zero 0
	.end_amdhsa_kernel
	.section	.text._ZN4vllm39rms_norm_dynamic_per_token_quant_kernelIN3c108BFloat16ENS1_15Float8_e4m3fnuzELb0EEEvPT0_PfPKT_S9_PKffiiPS7_,"axG",@progbits,_ZN4vllm39rms_norm_dynamic_per_token_quant_kernelIN3c108BFloat16ENS1_15Float8_e4m3fnuzELb0EEEvPT0_PfPKT_S9_PKffiiPS7_,comdat
.Lfunc_end16:
	.size	_ZN4vllm39rms_norm_dynamic_per_token_quant_kernelIN3c108BFloat16ENS1_15Float8_e4m3fnuzELb0EEEvPT0_PfPKT_S9_PKffiiPS7_, .Lfunc_end16-_ZN4vllm39rms_norm_dynamic_per_token_quant_kernelIN3c108BFloat16ENS1_15Float8_e4m3fnuzELb0EEEvPT0_PfPKT_S9_PKffiiPS7_
                                        ; -- End function
	.section	.AMDGPU.csdata,"",@progbits
; Kernel info:
; codeLenInByte = 13892
; NumSgprs: 58
; NumVgprs: 30
; NumAgprs: 0
; TotalNumVgprs: 30
; ScratchSize: 0
; MemoryBound: 0
; FloatMode: 240
; IeeeMode: 1
; LDSByteSize: 272 bytes/workgroup (compile time only)
; SGPRBlocks: 7
; VGPRBlocks: 3
; NumSGPRsForWavesPerEU: 58
; NumVGPRsForWavesPerEU: 30
; AccumOffset: 32
; Occupancy: 8
; WaveLimiterHint : 0
; COMPUTE_PGM_RSRC2:SCRATCH_EN: 0
; COMPUTE_PGM_RSRC2:USER_SGPR: 6
; COMPUTE_PGM_RSRC2:TRAP_HANDLER: 0
; COMPUTE_PGM_RSRC2:TGID_X_EN: 1
; COMPUTE_PGM_RSRC2:TGID_Y_EN: 0
; COMPUTE_PGM_RSRC2:TGID_Z_EN: 0
; COMPUTE_PGM_RSRC2:TIDIG_COMP_CNT: 0
; COMPUTE_PGM_RSRC3_GFX90A:ACCUM_OFFSET: 7
; COMPUTE_PGM_RSRC3_GFX90A:TG_SPLIT: 0
	.section	.text._ZN4vllm39rms_norm_dynamic_per_token_quant_kernelIN3c108BFloat16EaLb0EEEvPT0_PfPKT_S8_PKffiiPS6_,"axG",@progbits,_ZN4vllm39rms_norm_dynamic_per_token_quant_kernelIN3c108BFloat16EaLb0EEEvPT0_PfPKT_S8_PKffiiPS6_,comdat
	.protected	_ZN4vllm39rms_norm_dynamic_per_token_quant_kernelIN3c108BFloat16EaLb0EEEvPT0_PfPKT_S8_PKffiiPS6_ ; -- Begin function _ZN4vllm39rms_norm_dynamic_per_token_quant_kernelIN3c108BFloat16EaLb0EEEvPT0_PfPKT_S8_PKffiiPS6_
	.globl	_ZN4vllm39rms_norm_dynamic_per_token_quant_kernelIN3c108BFloat16EaLb0EEEvPT0_PfPKT_S8_PKffiiPS6_
	.p2align	8
	.type	_ZN4vllm39rms_norm_dynamic_per_token_quant_kernelIN3c108BFloat16EaLb0EEEvPT0_PfPKT_S8_PKffiiPS6_,@function
_ZN4vllm39rms_norm_dynamic_per_token_quant_kernelIN3c108BFloat16EaLb0EEEvPT0_PfPKT_S8_PKffiiPS6_: ; @_ZN4vllm39rms_norm_dynamic_per_token_quant_kernelIN3c108BFloat16EaLb0EEEvPT0_PfPKT_S8_PKffiiPS6_
; %bb.0:
	s_load_dwordx4 s[36:39], s[4:5], 0x28
	s_load_dwordx2 s[34:35], s[4:5], 0x20
	s_load_dwordx8 s[24:31], s[4:5], 0x0
	s_waitcnt lgkmcnt(0)
	s_or_b32 s0, s38, s37
	s_and_b32 s0, s0, 3
	s_cmp_lg_u32 s0, 0
	s_cbranch_scc0 .LBB17_31
; %bb.1:
	v_cmp_gt_u32_e64 s[0:1], s37, v0
	v_cmp_le_u32_e64 s[2:3], s37, v0
                                        ; implicit-def: $sgpr7
                                        ; implicit-def: $sgpr10_sgpr11
	s_and_saveexec_b64 s[8:9], s[2:3]
	s_xor_b64 s[8:9], exec, s[8:9]
; %bb.2:
	s_add_u32 s10, s4, 64
	s_addc_u32 s11, s5, 0
	s_mov_b32 s7, 0
; %bb.3:
	s_or_saveexec_b64 s[8:9], s[8:9]
	v_mov_b32_e32 v4, s7
	v_pk_mov_b32 v[2:3], s[10:11], s[10:11] op_sel:[0,1]
	v_mov_b32_e32 v1, s6
	s_xor_b64 exec, exec, s[8:9]
	s_cbranch_execz .LBB17_7
; %bb.4:
	s_ashr_i32 s7, s38, 31
	s_mul_hi_u32 s10, s38, s6
	s_mul_i32 s7, s7, s6
	s_add_i32 s11, s10, s7
	s_mul_i32 s10, s38, s6
	s_load_dword s12, s[4:5], 0x4c
	s_lshl_b64 s[10:11], s[10:11], 1
	s_add_u32 s7, s28, s10
	s_addc_u32 s15, s29, s11
	s_add_u32 s10, s4, 64
	s_addc_u32 s11, s5, 0
	s_waitcnt lgkmcnt(0)
	s_and_b32 s14, s12, 0xffff
	s_mov_b64 s[12:13], 0
	v_mov_b32_e32 v3, 0
	v_mov_b32_e32 v1, s15
	;; [unrolled: 1-line block ×4, first 2 shown]
.LBB17_5:                               ; =>This Inner Loop Header: Depth=1
	v_lshlrev_b64 v[6:7], 1, v[2:3]
	v_add_co_u32_e32 v6, vcc, s7, v6
	v_addc_co_u32_e32 v7, vcc, v1, v7, vcc
	global_load_ushort v5, v[6:7], off
	v_add_u32_e32 v2, s14, v2
	v_cmp_le_u32_e32 vcc, s37, v2
	s_or_b64 s[12:13], vcc, s[12:13]
	s_waitcnt vmcnt(0)
	v_lshlrev_b32_e32 v5, 16, v5
	v_fmac_f32_e32 v4, v5, v5
	s_andn2_b64 exec, exec, s[12:13]
	s_cbranch_execnz .LBB17_5
; %bb.6:
	s_or_b64 exec, exec, s[12:13]
	v_pk_mov_b32 v[2:3], s[10:11], s[10:11] op_sel:[0,1]
	v_mov_b32_e32 v1, s6
.LBB17_7:
	s_or_b64 exec, exec, s[8:9]
	global_load_dword v5, v[2:3], off
	s_waitcnt vmcnt(0)
	v_cmp_lt_u32_e32 vcc, v1, v5
	v_cndmask_b32_e64 v1, 18, 12, vcc
	v_add_co_u32_e32 v2, vcc, v2, v1
	v_addc_co_u32_e32 v3, vcc, 0, v3, vcc
	global_load_ushort v2, v[2:3], off
	v_mbcnt_lo_u32_b32 v1, -1, 0
	v_mbcnt_hi_u32_b32 v1, -1, v1
	v_and_b32_e32 v3, 63, v1
	v_cmp_ne_u32_e32 vcc, 63, v3
	v_addc_co_u32_e32 v6, vcc, 0, v1, vcc
	v_lshlrev_b32_e32 v14, 2, v6
	ds_bpermute_b32 v6, v14, v4
	v_cmp_gt_u32_e32 vcc, 62, v3
	v_cndmask_b32_e64 v12, 0, 1, vcc
	v_and_b32_e32 v5, 0x3c0, v0
	v_lshlrev_b32_e32 v12, 1, v12
	v_add_u32_e32 v7, 1, v1
	v_add_lshl_u32 v13, v12, v1, 2
	s_waitcnt lgkmcnt(0)
	v_add_f32_e32 v6, v4, v6
	v_add_u32_e32 v8, 2, v1
	v_add_u32_e32 v10, 4, v1
	;; [unrolled: 1-line block ×5, first 2 shown]
	v_cmp_eq_u32_e64 s[8:9], 0, v1
	s_waitcnt vmcnt(0)
	v_sub_u32_e64 v12, v2, v5 clamp
	v_cmp_lt_u32_e32 vcc, v7, v12
	v_cndmask_b32_e32 v4, v4, v6, vcc
	ds_bpermute_b32 v6, v13, v4
	v_cmp_gt_u32_e32 vcc, 60, v3
	v_cndmask_b32_e64 v15, 0, 1, vcc
	v_lshlrev_b32_e32 v15, 2, v15
	v_cmp_lt_u32_e32 vcc, v8, v12
	s_waitcnt lgkmcnt(0)
	v_add_f32_e32 v6, v4, v6
	v_add_lshl_u32 v15, v15, v1, 2
	v_cndmask_b32_e32 v4, v4, v6, vcc
	ds_bpermute_b32 v6, v15, v4
	v_cmp_gt_u32_e32 vcc, 56, v3
	v_cndmask_b32_e64 v16, 0, 1, vcc
	v_lshlrev_b32_e32 v16, 3, v16
	v_cmp_lt_u32_e32 vcc, v10, v12
	s_waitcnt lgkmcnt(0)
	v_add_f32_e32 v6, v4, v6
	v_add_lshl_u32 v16, v16, v1, 2
	;; [unrolled: 9-line block ×3, first 2 shown]
	v_cndmask_b32_e32 v4, v4, v6, vcc
	ds_bpermute_b32 v6, v18, v4
	v_cmp_gt_u32_e32 vcc, 32, v3
	v_cndmask_b32_e64 v3, 0, 1, vcc
	v_lshlrev_b32_e32 v3, 5, v3
	v_add_lshl_u32 v17, v3, v1, 2
	s_waitcnt lgkmcnt(0)
	v_add_f32_e32 v3, v4, v6
	v_cmp_lt_u32_e32 vcc, v9, v12
	v_cndmask_b32_e32 v3, v4, v3, vcc
	ds_bpermute_b32 v4, v17, v3
	v_cmp_lt_u32_e32 vcc, v19, v12
	s_waitcnt lgkmcnt(0)
	v_add_f32_e32 v4, v3, v4
	v_cndmask_b32_e32 v3, v3, v4, vcc
	s_and_saveexec_b64 s[10:11], s[8:9]
	s_cbranch_execz .LBB17_9
; %bb.8:
	v_lshrrev_b32_e32 v4, 4, v0
	v_and_b32_e32 v4, 60, v4
	ds_write_b32 v4, v3 offset:128
.LBB17_9:
	s_or_b64 exec, exec, s[10:11]
	v_cmp_gt_u32_e64 s[10:11], 16, v0
	v_lshlrev_b32_e32 v12, 2, v1
	v_and_b32_e32 v6, 15, v1
	s_waitcnt lgkmcnt(0)
	s_barrier
	s_and_saveexec_b64 s[14:15], s[10:11]
	s_cbranch_execz .LBB17_11
; %bb.10:
	ds_read_b32 v3, v12 offset:128
	v_cmp_ne_u32_e32 vcc, 15, v6
	v_addc_co_u32_e32 v4, vcc, 0, v1, vcc
	v_lshlrev_b32_e32 v4, 2, v4
	s_waitcnt lgkmcnt(0)
	ds_bpermute_b32 v4, v4, v3
	v_add_u32_e32 v2, 63, v2
	v_add_u32_e32 v20, 1, v6
	v_lshrrev_b32_e32 v2, 6, v2
	v_cmp_gt_u32_e64 s[12:13], 14, v6
	v_cmp_lt_u32_e32 vcc, v20, v2
	v_cndmask_b32_e64 v20, 0, 1, s[12:13]
	s_waitcnt lgkmcnt(0)
	v_add_f32_e32 v4, v3, v4
	v_lshlrev_b32_e32 v20, 1, v20
	v_cndmask_b32_e32 v4, v3, v4, vcc
	v_add_lshl_u32 v20, v20, v1, 2
	ds_bpermute_b32 v20, v20, v4
	v_add_u32_e32 v21, 2, v6
	v_cmp_lt_u32_e64 s[12:13], v21, v2
	v_add_u32_e32 v21, 4, v6
	s_waitcnt lgkmcnt(0)
	v_add_f32_e32 v20, v4, v20
	v_cndmask_b32_e64 v4, v4, v20, s[12:13]
	v_cmp_gt_u32_e64 s[12:13], 12, v6
	v_cndmask_b32_e64 v20, 0, 1, s[12:13]
	v_lshlrev_b32_e32 v20, 2, v20
	v_add_lshl_u32 v20, v20, v1, 2
	ds_bpermute_b32 v20, v20, v4
	v_cmp_lt_u32_e64 s[12:13], v21, v2
	v_add_u32_e32 v21, 8, v6
	s_waitcnt lgkmcnt(0)
	v_add_f32_e32 v20, v4, v20
	v_cndmask_b32_e64 v4, v4, v20, s[12:13]
	v_cmp_gt_u32_e64 s[12:13], 8, v6
	v_cndmask_b32_e64 v20, 0, 1, s[12:13]
	v_lshlrev_b32_e32 v20, 3, v20
	v_add_lshl_u32 v20, v20, v1, 2
	ds_bpermute_b32 v20, v20, v4
	v_cmp_lt_u32_e64 s[12:13], v21, v2
	s_waitcnt lgkmcnt(0)
	v_add_f32_e32 v20, v4, v20
	v_cndmask_b32_e64 v2, v4, v20, s[12:13]
	v_cndmask_b32_e32 v3, v3, v2, vcc
.LBB17_11:
	s_or_b64 exec, exec, s[14:15]
	s_mov_b32 s7, 0
	v_cmp_eq_u32_e64 s[12:13], 0, v0
	s_and_saveexec_b64 s[14:15], s[12:13]
	s_cbranch_execz .LBB17_13
; %bb.12:
	v_cvt_f32_i32_e32 v2, s37
	v_div_scale_f32 v4, s[16:17], v2, v2, v3
	v_rcp_f32_e32 v20, v4
	v_div_scale_f32 v21, vcc, v3, v2, v3
	s_mov_b32 s16, 0x800000
	v_fma_f32 v22, -v4, v20, 1.0
	v_fmac_f32_e32 v20, v22, v20
	v_mul_f32_e32 v22, v21, v20
	v_fma_f32 v23, -v4, v22, v21
	v_fmac_f32_e32 v22, v23, v20
	v_fma_f32 v4, -v4, v22, v21
	v_div_fmas_f32 v4, v4, v20, v22
	v_div_fixup_f32 v2, v4, v2, v3
	v_add_f32_e32 v2, s36, v2
	v_mul_f32_e32 v3, 0x4b800000, v2
	v_cmp_gt_f32_e32 vcc, s16, v2
	v_cndmask_b32_e32 v2, v2, v3, vcc
	v_rsq_f32_e32 v2, v2
	v_mul_f32_e32 v3, 0x45800000, v2
	v_cndmask_b32_e32 v2, v2, v3, vcc
	v_mov_b32_e32 v3, 0
	ds_write_b32 v3, v2 offset:264
.LBB17_13:
	s_or_b64 exec, exec, s[14:15]
	v_mov_b32_e32 v2, 0
	s_waitcnt lgkmcnt(0)
	s_barrier
	ds_read_b32 v4, v2 offset:264
	s_waitcnt lgkmcnt(0)
	s_barrier
	s_waitcnt lgkmcnt(0)
                                        ; implicit-def: $sgpr16
                                        ; implicit-def: $sgpr14_sgpr15
	s_and_saveexec_b64 s[18:19], s[2:3]
	s_xor_b64 s[2:3], exec, s[18:19]
; %bb.14:
	s_add_u32 s14, s4, 64
	s_addc_u32 s15, s5, 0
	s_mov_b32 s16, 0
; %bb.15:
	s_or_saveexec_b64 s[2:3], s[2:3]
	v_mov_b32_e32 v20, s16
	v_pk_mov_b32 v[2:3], s[14:15], s[14:15] op_sel:[0,1]
	s_mul_hi_u32 s33, s38, s6
	s_mul_i32 s22, s38, s6
	s_xor_b64 exec, exec, s[2:3]
	s_cbranch_execz .LBB17_19
; %bb.16:
	s_ashr_i32 s14, s38, 31
	s_mul_i32 s14, s14, s6
	s_add_i32 s23, s33, s14
	s_load_dword s16, s[4:5], 0x4c
	s_lshl_b64 s[14:15], s[22:23], 1
	s_add_u32 s18, s28, s14
	s_addc_u32 s20, s29, s15
	s_add_u32 s14, s4, 64
	s_addc_u32 s15, s5, 0
	s_waitcnt lgkmcnt(0)
	s_and_b32 s19, s16, 0xffff
	s_mov_b64 s[16:17], 0
	v_mov_b32_e32 v3, 0
	v_mov_b32_e32 v21, s20
	s_movk_i32 s20, 0x7fff
	v_mov_b32_e32 v22, s31
	v_mov_b32_e32 v23, 0x7fc00000
	v_mov_b32_e32 v20, 0
	v_mov_b32_e32 v2, v0
.LBB17_17:                              ; =>This Inner Loop Header: Depth=1
	v_lshlrev_b64 v[24:25], 1, v[2:3]
	v_add_co_u32_e32 v26, vcc, s18, v24
	v_addc_co_u32_e32 v27, vcc, v21, v25, vcc
	v_add_co_u32_e32 v24, vcc, s30, v24
	v_addc_co_u32_e32 v25, vcc, v22, v25, vcc
	global_load_ushort v28, v[26:27], off
	global_load_ushort v29, v[24:25], off
	v_add_u32_e32 v2, s19, v2
	v_cmp_le_u32_e32 vcc, s37, v2
	s_or_b64 s[16:17], vcc, s[16:17]
	v_max_f32_e32 v20, v20, v20
	s_waitcnt vmcnt(1)
	v_lshlrev_b32_e32 v24, 16, v28
	v_mul_f32_e32 v24, v4, v24
	v_bfe_u32 v26, v24, 16, 1
	v_add3_u32 v26, v24, v26, s20
	v_and_b32_e32 v26, 0xffff0000, v26
	v_cmp_o_f32_e32 vcc, v24, v24
	s_waitcnt vmcnt(0)
	v_lshlrev_b32_e32 v25, 16, v29
	v_cndmask_b32_e32 v24, v23, v26, vcc
	v_mul_f32_e32 v24, v24, v25
	v_bfe_u32 v25, v24, 16, 1
	v_add3_u32 v25, v24, v25, s20
	v_and_b32_e32 v25, 0xffff0000, v25
	v_cmp_o_f32_e32 vcc, v24, v24
	v_cndmask_b32_e64 v24, v23, |v25|, vcc
	v_max_f32_e32 v24, v24, v24
	v_max_f32_e32 v20, v20, v24
	s_andn2_b64 exec, exec, s[16:17]
	s_cbranch_execnz .LBB17_17
; %bb.18:
	s_or_b64 exec, exec, s[16:17]
	v_pk_mov_b32 v[2:3], s[14:15], s[14:15] op_sel:[0,1]
.LBB17_19:
	s_or_b64 exec, exec, s[2:3]
	global_load_dword v21, v[2:3], off
	s_waitcnt vmcnt(0)
	v_cmp_lt_u32_e32 vcc, s6, v21
	v_cndmask_b32_e64 v21, 18, 12, vcc
	v_add_co_u32_e32 v2, vcc, v2, v21
	v_addc_co_u32_e32 v3, vcc, 0, v3, vcc
	global_load_ushort v2, v[2:3], off
	ds_bpermute_b32 v3, v14, v20
	s_waitcnt lgkmcnt(0)
	v_cmp_lt_f32_e32 vcc, v20, v3
	v_cndmask_b32_e32 v3, v20, v3, vcc
	s_waitcnt vmcnt(0)
	v_sub_u32_e64 v5, v2, v5 clamp
	v_cmp_lt_u32_e32 vcc, v7, v5
	v_cndmask_b32_e32 v3, v20, v3, vcc
	ds_bpermute_b32 v7, v13, v3
	v_cmp_lt_u32_e64 s[18:19], v19, v5
	s_waitcnt lgkmcnt(0)
	v_cmp_lt_f32_e64 s[2:3], v3, v7
	v_cndmask_b32_e64 v7, v3, v7, s[2:3]
	v_cmp_lt_u32_e64 s[2:3], v8, v5
	v_cndmask_b32_e64 v3, v3, v7, s[2:3]
	ds_bpermute_b32 v7, v15, v3
	s_or_b64 s[2:3], vcc, s[2:3]
	s_waitcnt lgkmcnt(0)
	v_cmp_lt_f32_e64 s[14:15], v3, v7
	v_cndmask_b32_e64 v7, v3, v7, s[14:15]
	v_cmp_lt_u32_e64 s[14:15], v10, v5
	v_cndmask_b32_e64 v3, v3, v7, s[14:15]
	ds_bpermute_b32 v7, v16, v3
	s_or_b64 s[2:3], s[14:15], s[2:3]
	s_waitcnt lgkmcnt(0)
	v_cmp_lt_f32_e64 s[16:17], v3, v7
	v_cndmask_b32_e64 v7, v3, v7, s[16:17]
	v_cmp_lt_u32_e64 s[16:17], v11, v5
	v_cndmask_b32_e64 v3, v3, v7, s[16:17]
	ds_bpermute_b32 v7, v18, v3
	s_or_b64 s[2:3], s[16:17], s[2:3]
	;; [unrolled: 7-line block ×3, first 2 shown]
	s_waitcnt lgkmcnt(0)
	v_cmp_lt_f32_e32 vcc, v3, v5
	s_and_b64 vcc, s[18:19], vcc
	v_cndmask_b32_e32 v3, v3, v5, vcc
	s_or_b64 vcc, s[18:19], s[2:3]
	v_cndmask_b32_e32 v3, v20, v3, vcc
	s_and_saveexec_b64 s[2:3], s[8:9]
	s_cbranch_execz .LBB17_21
; %bb.20:
	v_lshrrev_b32_e32 v5, 4, v0
	v_and_b32_e32 v5, 60, v5
	ds_write_b32 v5, v3 offset:192
.LBB17_21:
	s_or_b64 exec, exec, s[2:3]
	s_waitcnt lgkmcnt(0)
	s_barrier
	s_and_saveexec_b64 s[14:15], s[10:11]
	s_cbranch_execz .LBB17_23
; %bb.22:
	ds_read_b32 v3, v12 offset:192
	v_cmp_ne_u32_e32 vcc, 15, v6
	v_addc_co_u32_e32 v5, vcc, 0, v1, vcc
	v_lshlrev_b32_e32 v5, 2, v5
	s_waitcnt lgkmcnt(0)
	ds_bpermute_b32 v5, v5, v3
	v_add_u32_e32 v2, 63, v2
	v_add_u32_e32 v7, 1, v6
	v_lshrrev_b32_e32 v2, 6, v2
	v_cmp_gt_u32_e64 s[2:3], 14, v6
	s_waitcnt lgkmcnt(0)
	v_cmp_lt_f32_e32 vcc, v3, v5
	v_cndmask_b32_e32 v5, v3, v5, vcc
	v_cmp_lt_u32_e32 vcc, v7, v2
	v_cndmask_b32_e64 v7, 0, 1, s[2:3]
	v_lshlrev_b32_e32 v7, 1, v7
	v_cndmask_b32_e32 v5, v3, v5, vcc
	v_add_lshl_u32 v7, v7, v1, 2
	ds_bpermute_b32 v7, v7, v5
	v_add_u32_e32 v8, 2, v6
	s_waitcnt lgkmcnt(0)
	v_cmp_lt_f32_e64 s[2:3], v5, v7
	v_cndmask_b32_e64 v7, v5, v7, s[2:3]
	v_cmp_lt_u32_e64 s[2:3], v8, v2
	v_cndmask_b32_e64 v5, v5, v7, s[2:3]
	v_cmp_gt_u32_e64 s[2:3], 12, v6
	v_cndmask_b32_e64 v7, 0, 1, s[2:3]
	v_lshlrev_b32_e32 v7, 2, v7
	v_add_lshl_u32 v7, v7, v1, 2
	ds_bpermute_b32 v7, v7, v5
	v_add_u32_e32 v8, 4, v6
	s_waitcnt lgkmcnt(0)
	v_cmp_lt_f32_e64 s[2:3], v5, v7
	v_cndmask_b32_e64 v7, v5, v7, s[2:3]
	v_cmp_lt_u32_e64 s[2:3], v8, v2
	v_cndmask_b32_e64 v5, v5, v7, s[2:3]
	v_cmp_gt_u32_e64 s[2:3], 8, v6
	v_cndmask_b32_e64 v7, 0, 1, s[2:3]
	v_lshlrev_b32_e32 v7, 3, v7
	v_add_lshl_u32 v1, v7, v1, 2
	ds_bpermute_b32 v1, v1, v5
	v_add_u32_e32 v6, 8, v6
	v_cmp_lt_u32_e64 s[2:3], v6, v2
	s_waitcnt lgkmcnt(0)
	v_cmp_lt_f32_e64 s[8:9], v5, v1
	s_and_b64 s[2:3], s[2:3], s[8:9]
	v_cndmask_b32_e64 v1, v5, v1, s[2:3]
	v_cndmask_b32_e32 v3, v3, v1, vcc
.LBB17_23:
	s_or_b64 exec, exec, s[14:15]
	s_and_saveexec_b64 s[2:3], s[12:13]
	s_cbranch_execz .LBB17_27
; %bb.24:
	s_cmp_eq_u64 s[34:35], 0
	s_cbranch_scc1 .LBB17_26
; %bb.25:
	s_load_dword s8, s[34:35], 0x0
	v_max_f32_e32 v1, v3, v3
	s_waitcnt lgkmcnt(0)
	v_max_f32_e64 v2, s8, s8
	v_min_f32_e32 v3, v1, v2
.LBB17_26:
	s_mov_b32 s10, 0x42fe0000
	v_div_scale_f32 v1, s[8:9], s10, s10, v3
	v_rcp_f32_e32 v2, v1
	v_div_scale_f32 v5, vcc, v3, s10, v3
	s_lshl_b64 s[8:9], s[6:7], 2
	v_fma_f32 v6, -v1, v2, 1.0
	v_fmac_f32_e32 v2, v6, v2
	v_mul_f32_e32 v6, v5, v2
	v_fma_f32 v7, -v1, v6, v5
	v_fmac_f32_e32 v6, v7, v2
	v_fma_f32 v1, -v1, v6, v5
	v_div_fmas_f32 v1, v1, v2, v6
	v_div_fixup_f32 v1, v1, s10, v3
	s_add_u32 s8, s26, s8
	v_max_f32_e32 v1, 0x34000000, v1
	v_mov_b32_e32 v2, 0
	s_addc_u32 s9, s27, s9
	ds_write_b32 v2, v1 offset:268
	global_store_dword v2, v1, s[8:9]
.LBB17_27:
	s_or_b64 exec, exec, s[2:3]
	s_waitcnt lgkmcnt(0)
	s_barrier
	s_and_saveexec_b64 s[2:3], s[0:1]
	s_cbranch_execz .LBB17_30
; %bb.28:
	v_mov_b32_e32 v3, 0
	ds_read_b32 v1, v3 offset:268
	s_ashr_i32 s7, s37, 31
	s_mul_hi_u32 s8, s37, s6
	s_mul_i32 s7, s7, s6
	s_load_dword s10, s[4:5], 0x4c
	s_waitcnt lgkmcnt(0)
	v_div_scale_f32 v2, s[0:1], v1, v1, 1.0
	v_rcp_f32_e32 v5, v2
	s_ashr_i32 s0, s38, 31
	v_div_scale_f32 v6, vcc, 1.0, v1, 1.0
	v_fma_f32 v7, -v2, v5, 1.0
	v_fmac_f32_e32 v5, v7, v5
	s_mul_i32 s0, s0, s6
	v_mul_f32_e32 v7, v6, v5
	s_add_i32 s23, s33, s0
	v_fma_f32 v8, -v2, v7, v6
	s_add_i32 s8, s8, s7
	s_lshl_b64 s[0:1], s[22:23], 1
	v_fmac_f32_e32 v7, v8, v5
	s_add_u32 s7, s28, s0
	v_fma_f32 v2, -v2, v7, v6
	s_mul_i32 s9, s37, s6
	s_addc_u32 s11, s29, s1
	v_div_fmas_f32 v2, v2, v5, v7
	s_add_u32 s0, s24, s9
	v_div_fixup_f32 v1, v2, v1, 1.0
	s_addc_u32 s1, s25, s8
	s_and_b32 s10, s10, 0xffff
	s_mov_b64 s[8:9], 0
	v_mov_b32_e32 v5, s11
	s_movk_i32 s11, 0x7fff
	v_mov_b32_e32 v6, s31
	v_mov_b32_e32 v7, 0x7fc00000
	s_mov_b32 s12, 0x42fe0000
	v_mov_b32_e32 v8, 0x42fe0000
	s_mov_b32 s13, 0xc3000000
	v_mov_b32_e32 v9, 0xc3000000
	v_mov_b32_e32 v2, v0
.LBB17_29:                              ; =>This Inner Loop Header: Depth=1
	v_lshlrev_b64 v[10:11], 1, v[2:3]
	v_add_co_u32_e32 v12, vcc, s7, v10
	v_addc_co_u32_e32 v13, vcc, v5, v11, vcc
	v_add_co_u32_e32 v10, vcc, s30, v10
	v_addc_co_u32_e32 v11, vcc, v6, v11, vcc
	global_load_ushort v14, v[12:13], off
	global_load_ushort v15, v[10:11], off
	s_waitcnt vmcnt(1)
	v_lshlrev_b32_e32 v10, 16, v14
	v_mul_f32_e32 v10, v4, v10
	v_bfe_u32 v12, v10, 16, 1
	v_add3_u32 v12, v10, v12, s11
	v_and_b32_e32 v12, 0xffff0000, v12
	v_cmp_o_f32_e32 vcc, v10, v10
	s_waitcnt vmcnt(0)
	v_lshlrev_b32_e32 v11, 16, v15
	v_cndmask_b32_e32 v10, v7, v12, vcc
	v_mul_f32_e32 v10, v10, v11
	v_bfe_u32 v11, v10, 16, 1
	v_add3_u32 v11, v10, v11, s11
	v_and_b32_e32 v11, 0xffff0000, v11
	v_cmp_o_f32_e32 vcc, v10, v10
	v_cndmask_b32_e32 v10, v7, v11, vcc
	v_mul_f32_e32 v10, v1, v10
	v_rndne_f32_e32 v10, v10
	v_cmp_nlt_f32_e32 vcc, s12, v10
	v_cndmask_b32_e32 v11, v8, v10, vcc
	v_cmp_ngt_f32_e32 vcc, s13, v10
	v_cndmask_b32_e32 v10, v9, v11, vcc
	v_cvt_i32_f32_e32 v10, v10
	global_store_byte v2, v10, s[0:1]
	v_add_u32_e32 v2, s10, v2
	v_cmp_le_u32_e32 vcc, s37, v2
	s_or_b64 s[8:9], vcc, s[8:9]
	s_andn2_b64 exec, exec, s[8:9]
	s_cbranch_execnz .LBB17_29
.LBB17_30:
	s_or_b64 exec, exec, s[2:3]
	s_branch .LBB17_75
.LBB17_31:
	s_cbranch_execz .LBB17_75
; %bb.32:
	s_ashr_i32 s0, s38, 31
	s_mul_hi_u32 s1, s38, s6
	s_mul_i32 s0, s0, s6
	s_add_i32 s1, s1, s0
	s_mul_i32 s0, s38, s6
	s_lshl_b64 s[0:1], s[0:1], 1
	s_load_dword s18, s[4:5], 0x40
	s_add_u32 s33, s28, s0
	s_addc_u32 s48, s29, s1
	s_ashr_i32 s49, s37, 2
	s_add_u32 s19, s4, 64
	s_mov_b32 s7, 0
	v_cmp_gt_u32_e64 s[0:1], s49, v0
	s_addc_u32 s20, s5, 0
	v_mov_b32_e32 v8, 0
	s_and_saveexec_b64 s[2:3], s[0:1]
	s_cbranch_execz .LBB17_42
; %bb.33:
	s_waitcnt lgkmcnt(0)
	s_cmp_lt_u32 s6, s18
	s_cselect_b32 s4, 12, 18
	s_add_u32 s4, s19, s4
	s_addc_u32 s5, s20, 0
	v_mov_b32_e32 v3, 0
	global_load_ushort v1, v3, s[4:5]
	s_mov_b64 s[4:5], 0
	v_mov_b32_e32 v9, s48
	v_mov_b32_e32 v2, v0
	;; [unrolled: 1-line block ×3, first 2 shown]
                                        ; implicit-def: $sgpr8_sgpr9
	s_waitcnt vmcnt(0)
	v_add_u32_e32 v4, v1, v1
	v_mul_lo_u32 v10, v1, 3
	v_lshlrev_b32_e32 v11, 1, v1
	v_add_u32_e32 v12, v4, v1
	s_branch .LBB17_37
.LBB17_34:                              ;   in Loop: Header=BB17_37 Depth=1
	s_or_b64 exec, exec, s[14:15]
	s_orn2_b64 s[14:15], s[16:17], exec
.LBB17_35:                              ;   in Loop: Header=BB17_37 Depth=1
	s_or_b64 exec, exec, s[12:13]
	s_andn2_b64 s[8:9], s[8:9], exec
	s_and_b64 s[12:13], s[14:15], exec
	s_or_b64 s[8:9], s[8:9], s[12:13]
.LBB17_36:                              ;   in Loop: Header=BB17_37 Depth=1
	s_or_b64 exec, exec, s[10:11]
	s_and_b64 s[10:11], exec, s[8:9]
	s_or_b64 s[4:5], s[10:11], s[4:5]
	s_andn2_b64 exec, exec, s[4:5]
	s_cbranch_execz .LBB17_41
.LBB17_37:                              ; =>This Inner Loop Header: Depth=1
	v_lshlrev_b64 v[4:5], 3, v[2:3]
	v_add_co_u32_e32 v4, vcc, s33, v4
	v_addc_co_u32_e32 v5, vcc, v9, v5, vcc
	global_load_dwordx2 v[6:7], v[4:5], off
	v_add_u32_e32 v4, v2, v1
	v_cmp_gt_u32_e32 vcc, s49, v4
	s_or_b64 s[8:9], s[8:9], exec
	s_waitcnt vmcnt(0)
	v_lshlrev_b32_e32 v13, 16, v6
	v_and_b32_e32 v5, 0xffff0000, v6
	v_alignbit_b32 v6, v7, v6, 16
	v_fmac_f32_e32 v8, v13, v13
	v_and_b32_e32 v6, 0xffff0000, v6
	v_fmac_f32_e32 v8, v5, v5
	v_and_b32_e32 v7, 0xffff0000, v7
	v_fmac_f32_e32 v8, v6, v6
	v_fmac_f32_e32 v8, v7, v7
	s_and_saveexec_b64 s[10:11], vcc
	s_cbranch_execz .LBB17_36
; %bb.38:                               ;   in Loop: Header=BB17_37 Depth=1
	v_mov_b32_e32 v5, v3
	v_lshlrev_b64 v[6:7], 3, v[4:5]
	v_add_co_u32_e32 v6, vcc, s33, v6
	v_addc_co_u32_e32 v7, vcc, v9, v7, vcc
	global_load_dwordx2 v[14:15], v[6:7], off
	v_add_u32_e32 v6, v11, v2
	v_cmp_gt_u32_e32 vcc, s49, v6
	s_mov_b64 s[14:15], -1
	s_waitcnt vmcnt(0)
	v_lshlrev_b32_e32 v7, 16, v14
	v_and_b32_e32 v5, 0xffff0000, v14
	v_alignbit_b32 v13, v15, v14, 16
	v_fmac_f32_e32 v8, v7, v7
	v_and_b32_e32 v13, 0xffff0000, v13
	v_fmac_f32_e32 v8, v5, v5
	v_and_b32_e32 v14, 0xffff0000, v15
	v_fmac_f32_e32 v8, v13, v13
	v_fmac_f32_e32 v8, v14, v14
	s_and_saveexec_b64 s[12:13], vcc
	s_cbranch_execz .LBB17_35
; %bb.39:                               ;   in Loop: Header=BB17_37 Depth=1
	v_mov_b32_e32 v7, v3
	v_lshlrev_b64 v[6:7], 3, v[6:7]
	v_add_co_u32_e32 v6, vcc, s33, v6
	v_addc_co_u32_e32 v7, vcc, v9, v7, vcc
	global_load_dwordx2 v[6:7], v[6:7], off
	v_add_u32_e32 v2, v10, v2
	v_cmp_gt_u32_e32 vcc, s49, v2
	s_mov_b64 s[16:17], -1
	s_waitcnt vmcnt(0)
	v_lshlrev_b32_e32 v13, 16, v6
	v_and_b32_e32 v5, 0xffff0000, v6
	v_alignbit_b32 v6, v7, v6, 16
	v_fmac_f32_e32 v8, v13, v13
	v_and_b32_e32 v6, 0xffff0000, v6
	v_fmac_f32_e32 v8, v5, v5
	v_and_b32_e32 v7, 0xffff0000, v7
	v_fmac_f32_e32 v8, v6, v6
	v_fmac_f32_e32 v8, v7, v7
	s_and_saveexec_b64 s[14:15], vcc
	s_xor_b64 s[14:15], exec, s[14:15]
	s_cbranch_execz .LBB17_34
; %bb.40:                               ;   in Loop: Header=BB17_37 Depth=1
	v_lshlrev_b64 v[6:7], 3, v[2:3]
	v_add_co_u32_e32 v6, vcc, s33, v6
	v_addc_co_u32_e32 v7, vcc, v9, v7, vcc
	global_load_dwordx2 v[6:7], v[6:7], off
	v_add_u32_e32 v2, v12, v4
	v_cmp_le_u32_e32 vcc, s49, v2
	s_orn2_b64 s[16:17], vcc, exec
	s_waitcnt vmcnt(0)
	v_lshlrev_b32_e32 v5, 16, v6
	v_and_b32_e32 v4, 0xffff0000, v6
	v_alignbit_b32 v6, v7, v6, 16
	v_fmac_f32_e32 v8, v5, v5
	v_and_b32_e32 v6, 0xffff0000, v6
	v_fmac_f32_e32 v8, v4, v4
	v_and_b32_e32 v7, 0xffff0000, v7
	v_fmac_f32_e32 v8, v6, v6
	v_fmac_f32_e32 v8, v7, v7
	s_branch .LBB17_34
.LBB17_41:
	s_or_b64 exec, exec, s[4:5]
.LBB17_42:
	s_or_b64 exec, exec, s[2:3]
	s_waitcnt lgkmcnt(0)
	s_cmp_lt_u32 s6, s18
	s_cselect_b32 s2, 12, 18
	s_add_u32 s2, s19, s2
	s_addc_u32 s3, s20, 0
	v_mov_b32_e32 v1, 0
	global_load_ushort v2, v1, s[2:3]
	v_mbcnt_lo_u32_b32 v1, -1, 0
	v_mbcnt_hi_u32_b32 v1, -1, v1
	v_and_b32_e32 v4, 63, v1
	v_cmp_ne_u32_e32 vcc, 63, v4
	v_addc_co_u32_e32 v9, vcc, 0, v1, vcc
	v_lshlrev_b32_e32 v9, 2, v9
	ds_bpermute_b32 v11, v9, v8
	v_and_b32_e32 v3, 0x3c0, v0
	v_cmp_gt_u32_e32 vcc, 62, v4
	v_add_u32_e32 v5, 1, v1
	v_cndmask_b32_e64 v10, 0, 1, vcc
	v_lshlrev_b32_e32 v10, 1, v10
	s_waitcnt lgkmcnt(0)
	v_add_f32_e32 v11, v8, v11
	v_add_lshl_u32 v10, v10, v1, 2
	v_cmp_gt_u32_e32 vcc, 60, v4
	v_add_u32_e32 v6, 2, v1
	v_add_u32_e32 v7, 4, v1
	;; [unrolled: 1-line block ×4, first 2 shown]
	v_cmp_eq_u32_e64 s[14:15], 0, v1
	s_waitcnt vmcnt(0)
	v_sub_u32_e64 v3, v2, v3 clamp
	v_cmp_lt_u32_e64 s[2:3], v5, v3
	v_cndmask_b32_e64 v5, v8, v11, s[2:3]
	ds_bpermute_b32 v8, v10, v5
	v_cndmask_b32_e64 v11, 0, 1, vcc
	v_lshlrev_b32_e32 v11, 2, v11
	v_cmp_lt_u32_e64 s[4:5], v6, v3
	v_add_lshl_u32 v11, v11, v1, 2
	s_waitcnt lgkmcnt(0)
	v_add_f32_e32 v8, v5, v8
	v_cndmask_b32_e64 v5, v5, v8, s[4:5]
	ds_bpermute_b32 v6, v11, v5
	v_cmp_gt_u32_e32 vcc, 56, v4
	v_cndmask_b32_e64 v8, 0, 1, vcc
	v_lshlrev_b32_e32 v8, 3, v8
	v_cmp_lt_u32_e64 s[8:9], v7, v3
	s_waitcnt lgkmcnt(0)
	v_add_f32_e32 v6, v5, v6
	v_add_lshl_u32 v12, v8, v1, 2
	v_cndmask_b32_e64 v5, v5, v6, s[8:9]
	ds_bpermute_b32 v6, v12, v5
	v_cmp_gt_u32_e32 vcc, 48, v4
	v_cndmask_b32_e64 v7, 0, 1, vcc
	v_lshlrev_b32_e32 v7, 4, v7
	v_cmp_lt_u32_e64 s[10:11], v14, v3
	s_waitcnt lgkmcnt(0)
	v_add_f32_e32 v6, v5, v6
	v_add_lshl_u32 v13, v7, v1, 2
	v_cndmask_b32_e64 v5, v5, v6, s[10:11]
	ds_bpermute_b32 v6, v13, v5
	v_cmp_gt_u32_e32 vcc, 32, v4
	v_cndmask_b32_e64 v4, 0, 1, vcc
	v_lshlrev_b32_e32 v4, 5, v4
	v_add_lshl_u32 v14, v4, v1, 2
	s_waitcnt lgkmcnt(0)
	v_add_f32_e32 v4, v5, v6
	v_cmp_lt_u32_e64 s[12:13], v15, v3
	v_cndmask_b32_e64 v4, v5, v4, s[12:13]
	ds_bpermute_b32 v5, v14, v4
	v_add_u32_e32 v6, 32, v1
	v_readfirstlane_b32 s50, v2
	v_cmp_lt_u32_e64 s[20:21], v6, v3
	s_waitcnt lgkmcnt(0)
	v_add_f32_e32 v2, v4, v5
	v_cndmask_b32_e64 v2, v4, v2, s[20:21]
	s_and_saveexec_b64 s[16:17], s[14:15]
	s_cbranch_execz .LBB17_44
; %bb.43:
	v_lshrrev_b32_e32 v3, 4, v0
	v_and_b32_e32 v3, 60, v3
	ds_write_b32 v3, v2
.LBB17_44:
	s_or_b64 exec, exec, s[16:17]
	v_cmp_gt_u32_e64 s[16:17], 16, v0
	s_waitcnt lgkmcnt(0)
	s_barrier
	s_and_saveexec_b64 s[22:23], s[16:17]
	s_cbranch_execz .LBB17_46
; %bb.45:
	v_lshlrev_b32_e32 v2, 2, v1
	ds_read_b32 v2, v2
	v_and_b32_e32 v3, 15, v1
	v_cmp_ne_u32_e32 vcc, 15, v3
	v_addc_co_u32_e32 v4, vcc, 0, v1, vcc
	v_lshlrev_b32_e32 v4, 2, v4
	s_waitcnt lgkmcnt(0)
	ds_bpermute_b32 v4, v4, v2
	s_add_i32 s18, s50, 63
	s_lshr_b32 s28, s18, 6
	v_add_u32_e32 v5, 1, v3
	v_cmp_gt_u32_e64 s[18:19], 14, v3
	v_cmp_gt_u32_e32 vcc, s28, v5
	v_cndmask_b32_e64 v5, 0, 1, s[18:19]
	s_waitcnt lgkmcnt(0)
	v_add_f32_e32 v4, v2, v4
	v_lshlrev_b32_e32 v5, 1, v5
	v_cndmask_b32_e32 v4, v2, v4, vcc
	v_add_lshl_u32 v5, v5, v1, 2
	ds_bpermute_b32 v5, v5, v4
	v_add_u32_e32 v6, 2, v3
	v_cmp_gt_u32_e64 s[18:19], s28, v6
	v_add_u32_e32 v6, 4, v3
	s_waitcnt lgkmcnt(0)
	v_add_f32_e32 v5, v4, v5
	v_cndmask_b32_e64 v4, v4, v5, s[18:19]
	v_cmp_gt_u32_e64 s[18:19], 12, v3
	v_cndmask_b32_e64 v5, 0, 1, s[18:19]
	v_lshlrev_b32_e32 v5, 2, v5
	v_add_lshl_u32 v5, v5, v1, 2
	ds_bpermute_b32 v5, v5, v4
	v_cmp_gt_u32_e64 s[18:19], s28, v6
	s_waitcnt lgkmcnt(0)
	v_add_f32_e32 v5, v4, v5
	v_cndmask_b32_e64 v4, v4, v5, s[18:19]
	v_cmp_gt_u32_e64 s[18:19], 8, v3
	v_cndmask_b32_e64 v5, 0, 1, s[18:19]
	v_lshlrev_b32_e32 v5, 3, v5
	v_add_lshl_u32 v5, v5, v1, 2
	ds_bpermute_b32 v5, v5, v4
	v_add_u32_e32 v3, 8, v3
	v_cmp_gt_u32_e64 s[18:19], s28, v3
	s_waitcnt lgkmcnt(0)
	v_add_f32_e32 v5, v4, v5
	v_cndmask_b32_e64 v3, v4, v5, s[18:19]
	v_cndmask_b32_e32 v2, v2, v3, vcc
.LBB17_46:
	s_or_b64 exec, exec, s[22:23]
	v_cmp_eq_u32_e64 s[18:19], 0, v0
	s_and_saveexec_b64 s[22:23], s[18:19]
	s_cbranch_execz .LBB17_48
; %bb.47:
	v_cvt_f32_i32_e32 v3, s37
	v_div_scale_f32 v4, s[28:29], v3, v3, v2
	v_rcp_f32_e32 v5, v4
	v_div_scale_f32 v6, vcc, v2, v3, v2
	s_mov_b32 s28, 0x800000
	v_fma_f32 v7, -v4, v5, 1.0
	v_fmac_f32_e32 v5, v7, v5
	v_mul_f32_e32 v7, v6, v5
	v_fma_f32 v8, -v4, v7, v6
	v_fmac_f32_e32 v7, v8, v5
	v_fma_f32 v4, -v4, v7, v6
	v_div_fmas_f32 v4, v4, v5, v7
	v_div_fixup_f32 v2, v4, v3, v2
	v_add_f32_e32 v2, s36, v2
	v_mul_f32_e32 v3, 0x4b800000, v2
	v_cmp_gt_f32_e32 vcc, s28, v2
	v_cndmask_b32_e32 v2, v2, v3, vcc
	v_rsq_f32_e32 v2, v2
	v_mul_f32_e32 v3, 0x45800000, v2
	v_cndmask_b32_e32 v2, v2, v3, vcc
	v_mov_b32_e32 v3, 0
	ds_write_b32 v3, v2 offset:256
.LBB17_48:
	s_or_b64 exec, exec, s[22:23]
	v_mov_b32_e32 v15, 0
	s_waitcnt lgkmcnt(0)
	s_barrier
	ds_read_b32 v8, v15 offset:256
	s_and_saveexec_b64 s[28:29], s[0:1]
	s_cbranch_execz .LBB17_58
; %bb.49:
	v_mov_b32_e32 v3, 0
	s_add_i32 s53, s50, s50
	s_mul_i32 s36, s50, 3
	s_lshl_b32 s51, s50, 1
	s_mov_b64 s[38:39], 0
	v_mov_b32_e32 v16, s48
	v_mov_b32_e32 v17, s31
	s_movk_i32 s52, 0x7fff
	v_mov_b32_e32 v18, 0x7fc00000
	s_add_i32 s53, s53, s50
	v_mov_b32_e32 v2, v0
	v_mov_b32_e32 v15, v3
                                        ; implicit-def: $sgpr40_sgpr41
	s_branch .LBB17_53
.LBB17_50:                              ;   in Loop: Header=BB17_53 Depth=1
	s_or_b64 exec, exec, s[46:47]
	s_orn2_b64 s[22:23], s[22:23], exec
.LBB17_51:                              ;   in Loop: Header=BB17_53 Depth=1
	s_or_b64 exec, exec, s[44:45]
	s_andn2_b64 s[40:41], s[40:41], exec
	s_and_b64 s[22:23], s[22:23], exec
	s_or_b64 s[40:41], s[40:41], s[22:23]
.LBB17_52:                              ;   in Loop: Header=BB17_53 Depth=1
	s_or_b64 exec, exec, s[42:43]
	s_and_b64 s[22:23], exec, s[40:41]
	s_or_b64 s[38:39], s[22:23], s[38:39]
	s_andn2_b64 exec, exec, s[38:39]
	s_cbranch_execz .LBB17_57
.LBB17_53:                              ; =>This Inner Loop Header: Depth=1
	v_lshlrev_b64 v[4:5], 3, v[2:3]
	v_add_co_u32_e32 v6, vcc, s33, v4
	v_addc_co_u32_e32 v7, vcc, v16, v5, vcc
	global_load_dwordx2 v[6:7], v[6:7], off
	v_add_co_u32_e32 v4, vcc, s30, v4
	v_addc_co_u32_e32 v5, vcc, v17, v5, vcc
	global_load_dwordx2 v[20:21], v[4:5], off
	v_add_u32_e32 v4, s50, v2
	v_cmp_gt_u32_e32 vcc, s49, v4
	s_or_b64 s[40:41], s[40:41], exec
	s_waitcnt vmcnt(1)
	v_lshlrev_b32_e32 v22, 16, v6
	v_and_b32_e32 v5, 0xffff0000, v6
	s_waitcnt lgkmcnt(0)
	v_mul_f32_e32 v22, v8, v22
	v_alignbit_b32 v6, v7, v6, 16
	v_and_b32_e32 v7, 0xffff0000, v7
	v_mul_f32_e32 v5, v8, v5
	v_bfe_u32 v24, v22, 16, 1
	v_and_b32_e32 v6, 0xffff0000, v6
	v_mul_f32_e32 v7, v8, v7
	v_bfe_u32 v25, v5, 16, 1
	v_add3_u32 v24, v22, v24, s52
	v_mul_f32_e32 v6, v8, v6
	v_bfe_u32 v26, v7, 16, 1
	v_add3_u32 v25, v5, v25, s52
	v_and_b32_e32 v24, 0xffff0000, v24
	v_cmp_o_f32_e64 s[22:23], v22, v22
	s_waitcnt vmcnt(0)
	v_lshlrev_b32_e32 v23, 16, v20
	v_bfe_u32 v27, v6, 16, 1
	v_add3_u32 v26, v7, v26, s52
	v_and_b32_e32 v25, 0xffff0000, v25
	v_cndmask_b32_e64 v22, v18, v24, s[22:23]
	v_cmp_o_f32_e64 s[22:23], v5, v5
	v_and_b32_e32 v19, 0xffff0000, v20
	v_add3_u32 v27, v6, v27, s52
	v_and_b32_e32 v26, 0xffff0000, v26
	v_cndmask_b32_e64 v5, v18, v25, s[22:23]
	v_cmp_o_f32_e64 s[22:23], v7, v7
	v_mul_f32_e32 v22, v22, v23
	v_alignbit_b32 v20, v21, v20, 16
	v_and_b32_e32 v21, 0xffff0000, v21
	v_and_b32_e32 v24, 0xffff0000, v27
	v_cndmask_b32_e64 v7, v18, v26, s[22:23]
	v_mul_f32_e32 v5, v5, v19
	v_cmp_o_f32_e64 s[22:23], v6, v6
	v_bfe_u32 v19, v22, 16, 1
	v_and_b32_e32 v20, 0xffff0000, v20
	v_cndmask_b32_e64 v6, v18, v24, s[22:23]
	v_mul_f32_e32 v7, v7, v21
	v_bfe_u32 v21, v5, 16, 1
	v_add3_u32 v19, v22, v19, s52
	v_mul_f32_e32 v6, v6, v20
	v_bfe_u32 v20, v7, 16, 1
	v_add3_u32 v21, v5, v21, s52
	v_and_b32_e32 v19, 0xffff0000, v19
	v_cmp_o_f32_e64 s[22:23], v22, v22
	v_bfe_u32 v23, v6, 16, 1
	v_add3_u32 v20, v7, v20, s52
	v_and_b32_e32 v21, 0xffff0000, v21
	v_cndmask_b32_e64 v19, v18, |v19|, s[22:23]
	v_cmp_o_f32_e64 s[22:23], v5, v5
	v_add3_u32 v23, v6, v23, s52
	v_and_b32_e32 v20, 0xffff0000, v20
	v_cndmask_b32_e64 v5, v18, |v21|, s[22:23]
	v_cmp_o_f32_e64 s[22:23], v7, v7
	v_and_b32_e32 v21, 0xffff0000, v23
	v_cndmask_b32_e64 v7, v18, |v20|, s[22:23]
	v_cmp_o_f32_e64 s[22:23], v6, v6
	v_max3_f32 v5, v15, v19, v5
	v_cndmask_b32_e64 v6, v18, |v21|, s[22:23]
	v_max3_f32 v15, v5, v6, v7
	s_and_saveexec_b64 s[42:43], vcc
	s_cbranch_execz .LBB17_52
; %bb.54:                               ;   in Loop: Header=BB17_53 Depth=1
	v_mov_b32_e32 v5, v3
	v_lshlrev_b64 v[6:7], 3, v[4:5]
	v_add_co_u32_e32 v20, vcc, s33, v6
	v_addc_co_u32_e32 v21, vcc, v16, v7, vcc
	global_load_dwordx2 v[20:21], v[20:21], off
	v_add_co_u32_e32 v6, vcc, s30, v6
	v_addc_co_u32_e32 v7, vcc, v17, v7, vcc
	global_load_dwordx2 v[22:23], v[6:7], off
	v_add_u32_e32 v6, s51, v2
	v_cmp_gt_u32_e32 vcc, s49, v6
	s_waitcnt vmcnt(1)
	v_lshlrev_b32_e32 v19, 16, v20
	v_and_b32_e32 v5, 0xffff0000, v20
	v_mul_f32_e32 v19, v8, v19
	v_alignbit_b32 v20, v21, v20, 16
	v_and_b32_e32 v21, 0xffff0000, v21
	v_mul_f32_e32 v5, v8, v5
	v_bfe_u32 v25, v19, 16, 1
	v_mul_f32_e32 v21, v8, v21
	v_bfe_u32 v26, v5, 16, 1
	v_add3_u32 v25, v19, v25, s52
	v_and_b32_e32 v20, 0xffff0000, v20
	v_bfe_u32 v27, v21, 16, 1
	v_add3_u32 v26, v5, v26, s52
	v_and_b32_e32 v25, 0xffff0000, v25
	v_cmp_o_f32_e64 s[22:23], v19, v19
	v_mul_f32_e32 v20, v8, v20
	v_add3_u32 v27, v21, v27, s52
	v_and_b32_e32 v26, 0xffff0000, v26
	v_cndmask_b32_e64 v19, v18, v25, s[22:23]
	v_cmp_o_f32_e64 s[22:23], v5, v5
	s_waitcnt vmcnt(0)
	v_lshlrev_b32_e32 v24, 16, v22
	v_bfe_u32 v28, v20, 16, 1
	v_and_b32_e32 v27, 0xffff0000, v27
	v_cndmask_b32_e64 v5, v18, v26, s[22:23]
	v_cmp_o_f32_e64 s[22:23], v21, v21
	v_and_b32_e32 v7, 0xffff0000, v22
	v_alignbit_b32 v22, v23, v22, 16
	v_and_b32_e32 v23, 0xffff0000, v23
	v_add3_u32 v28, v20, v28, s52
	v_cndmask_b32_e64 v21, v18, v27, s[22:23]
	v_mul_f32_e32 v19, v19, v24
	v_and_b32_e32 v25, 0xffff0000, v28
	v_mul_f32_e32 v5, v5, v7
	v_cmp_o_f32_e64 s[22:23], v20, v20
	v_mul_f32_e32 v20, v21, v23
	v_bfe_u32 v21, v19, 16, 1
	v_and_b32_e32 v22, 0xffff0000, v22
	v_cndmask_b32_e64 v7, v18, v25, s[22:23]
	v_bfe_u32 v23, v5, 16, 1
	v_add3_u32 v21, v19, v21, s52
	v_mul_f32_e32 v7, v7, v22
	v_bfe_u32 v22, v20, 16, 1
	v_add3_u32 v23, v5, v23, s52
	v_and_b32_e32 v21, 0xffff0000, v21
	v_cmp_o_f32_e64 s[22:23], v19, v19
	v_bfe_u32 v24, v7, 16, 1
	v_add3_u32 v22, v20, v22, s52
	v_and_b32_e32 v23, 0xffff0000, v23
	v_cndmask_b32_e64 v19, v18, |v21|, s[22:23]
	v_cmp_o_f32_e64 s[22:23], v5, v5
	v_add3_u32 v24, v7, v24, s52
	v_and_b32_e32 v22, 0xffff0000, v22
	v_cndmask_b32_e64 v5, v18, |v23|, s[22:23]
	v_cmp_o_f32_e64 s[22:23], v20, v20
	v_and_b32_e32 v21, 0xffff0000, v24
	v_cndmask_b32_e64 v20, v18, |v22|, s[22:23]
	v_cmp_o_f32_e64 s[22:23], v7, v7
	v_max3_f32 v5, v15, v19, v5
	v_cndmask_b32_e64 v7, v18, |v21|, s[22:23]
	v_max3_f32 v15, v5, v7, v20
	s_mov_b64 s[22:23], -1
	s_and_saveexec_b64 s[44:45], vcc
	s_cbranch_execz .LBB17_51
; %bb.55:                               ;   in Loop: Header=BB17_53 Depth=1
	v_mov_b32_e32 v7, v3
	v_lshlrev_b64 v[6:7], 3, v[6:7]
	v_add_co_u32_e32 v20, vcc, s33, v6
	v_addc_co_u32_e32 v21, vcc, v16, v7, vcc
	global_load_dwordx2 v[20:21], v[20:21], off
	v_add_co_u32_e32 v6, vcc, s30, v6
	v_addc_co_u32_e32 v7, vcc, v17, v7, vcc
	global_load_dwordx2 v[6:7], v[6:7], off
	v_add_u32_e32 v2, s36, v2
	v_cmp_gt_u32_e32 vcc, s49, v2
	s_waitcnt vmcnt(1)
	v_lshlrev_b32_e32 v22, 16, v20
	v_and_b32_e32 v5, 0xffff0000, v20
	v_mul_f32_e32 v22, v8, v22
	v_alignbit_b32 v20, v21, v20, 16
	v_and_b32_e32 v21, 0xffff0000, v21
	v_mul_f32_e32 v5, v8, v5
	v_bfe_u32 v24, v22, 16, 1
	v_and_b32_e32 v20, 0xffff0000, v20
	v_mul_f32_e32 v21, v8, v21
	v_bfe_u32 v25, v5, 16, 1
	v_add3_u32 v24, v22, v24, s52
	v_mul_f32_e32 v20, v8, v20
	v_bfe_u32 v26, v21, 16, 1
	v_add3_u32 v25, v5, v25, s52
	v_and_b32_e32 v24, 0xffff0000, v24
	v_cmp_o_f32_e64 s[22:23], v22, v22
	s_waitcnt vmcnt(0)
	v_lshlrev_b32_e32 v23, 16, v6
	v_bfe_u32 v27, v20, 16, 1
	v_add3_u32 v26, v21, v26, s52
	v_and_b32_e32 v25, 0xffff0000, v25
	v_cndmask_b32_e64 v22, v18, v24, s[22:23]
	v_cmp_o_f32_e64 s[22:23], v5, v5
	v_and_b32_e32 v19, 0xffff0000, v6
	v_add3_u32 v27, v20, v27, s52
	v_and_b32_e32 v26, 0xffff0000, v26
	v_cndmask_b32_e64 v5, v18, v25, s[22:23]
	v_cmp_o_f32_e64 s[22:23], v21, v21
	v_mul_f32_e32 v22, v22, v23
	v_alignbit_b32 v6, v7, v6, 16
	v_and_b32_e32 v7, 0xffff0000, v7
	v_and_b32_e32 v24, 0xffff0000, v27
	v_cndmask_b32_e64 v21, v18, v26, s[22:23]
	v_mul_f32_e32 v5, v5, v19
	v_cmp_o_f32_e64 s[22:23], v20, v20
	v_bfe_u32 v20, v22, 16, 1
	v_and_b32_e32 v6, 0xffff0000, v6
	v_cndmask_b32_e64 v19, v18, v24, s[22:23]
	v_mul_f32_e32 v7, v21, v7
	v_bfe_u32 v21, v5, 16, 1
	v_add3_u32 v20, v22, v20, s52
	v_mul_f32_e32 v6, v19, v6
	v_bfe_u32 v19, v7, 16, 1
	v_add3_u32 v21, v5, v21, s52
	v_and_b32_e32 v20, 0xffff0000, v20
	v_cmp_o_f32_e64 s[22:23], v22, v22
	v_bfe_u32 v23, v6, 16, 1
	v_add3_u32 v19, v7, v19, s52
	v_and_b32_e32 v21, 0xffff0000, v21
	v_cndmask_b32_e64 v20, v18, |v20|, s[22:23]
	v_cmp_o_f32_e64 s[22:23], v5, v5
	v_add3_u32 v23, v6, v23, s52
	v_and_b32_e32 v19, 0xffff0000, v19
	v_cndmask_b32_e64 v5, v18, |v21|, s[22:23]
	v_cmp_o_f32_e64 s[22:23], v7, v7
	v_and_b32_e32 v21, 0xffff0000, v23
	v_cndmask_b32_e64 v7, v18, |v19|, s[22:23]
	v_cmp_o_f32_e64 s[22:23], v6, v6
	v_max3_f32 v5, v15, v20, v5
	v_cndmask_b32_e64 v6, v18, |v21|, s[22:23]
	v_max3_f32 v15, v5, v6, v7
	s_mov_b64 s[22:23], -1
	s_and_saveexec_b64 s[46:47], vcc
	s_xor_b64 s[46:47], exec, s[46:47]
	s_cbranch_execz .LBB17_50
; %bb.56:                               ;   in Loop: Header=BB17_53 Depth=1
	v_lshlrev_b64 v[6:7], 3, v[2:3]
	v_mov_b32_e32 v2, s48
	v_add_co_u32_e32 v20, vcc, s33, v6
	v_addc_co_u32_e32 v21, vcc, v2, v7, vcc
	global_load_dwordx2 v[20:21], v[20:21], off
	v_mov_b32_e32 v2, s31
	v_add_co_u32_e32 v6, vcc, s30, v6
	v_addc_co_u32_e32 v7, vcc, v2, v7, vcc
	global_load_dwordx2 v[6:7], v[6:7], off
	v_add_u32_e32 v2, s53, v4
	v_cmp_le_u32_e32 vcc, s49, v2
	s_waitcnt vmcnt(1)
	v_lshlrev_b32_e32 v19, 16, v20
	v_and_b32_e32 v4, 0xffff0000, v20
	v_mul_f32_e32 v19, v8, v19
	v_alignbit_b32 v20, v21, v20, 16
	v_and_b32_e32 v21, 0xffff0000, v21
	v_mul_f32_e32 v4, v8, v4
	v_bfe_u32 v23, v19, 16, 1
	v_and_b32_e32 v20, 0xffff0000, v20
	v_mul_f32_e32 v21, v8, v21
	v_bfe_u32 v24, v4, 16, 1
	v_add3_u32 v23, v19, v23, s52
	v_mul_f32_e32 v20, v8, v20
	v_bfe_u32 v25, v21, 16, 1
	v_add3_u32 v24, v4, v24, s52
	v_and_b32_e32 v23, 0xffff0000, v23
	v_cmp_o_f32_e64 s[22:23], v19, v19
	s_waitcnt vmcnt(0)
	v_lshlrev_b32_e32 v22, 16, v6
	v_bfe_u32 v26, v20, 16, 1
	v_add3_u32 v25, v21, v25, s52
	v_and_b32_e32 v24, 0xffff0000, v24
	v_cndmask_b32_e64 v19, v18, v23, s[22:23]
	v_cmp_o_f32_e64 s[22:23], v4, v4
	v_and_b32_e32 v5, 0xffff0000, v6
	v_add3_u32 v26, v20, v26, s52
	v_and_b32_e32 v25, 0xffff0000, v25
	v_cndmask_b32_e64 v4, v18, v24, s[22:23]
	v_cmp_o_f32_e64 s[22:23], v21, v21
	v_mul_f32_e32 v19, v19, v22
	v_alignbit_b32 v6, v7, v6, 16
	v_and_b32_e32 v7, 0xffff0000, v7
	v_and_b32_e32 v23, 0xffff0000, v26
	v_cndmask_b32_e64 v21, v18, v25, s[22:23]
	v_mul_f32_e32 v4, v4, v5
	v_cmp_o_f32_e64 s[22:23], v20, v20
	v_bfe_u32 v20, v19, 16, 1
	v_and_b32_e32 v6, 0xffff0000, v6
	v_cndmask_b32_e64 v5, v18, v23, s[22:23]
	v_mul_f32_e32 v7, v21, v7
	v_bfe_u32 v21, v4, 16, 1
	v_add3_u32 v20, v19, v20, s52
	v_mul_f32_e32 v5, v5, v6
	v_bfe_u32 v6, v7, 16, 1
	v_add3_u32 v21, v4, v21, s52
	v_and_b32_e32 v20, 0xffff0000, v20
	v_cmp_o_f32_e64 s[22:23], v19, v19
	v_bfe_u32 v22, v5, 16, 1
	v_add3_u32 v6, v7, v6, s52
	v_and_b32_e32 v21, 0xffff0000, v21
	v_cndmask_b32_e64 v19, v18, |v20|, s[22:23]
	v_cmp_o_f32_e64 s[22:23], v4, v4
	v_add3_u32 v22, v5, v22, s52
	v_and_b32_e32 v6, 0xffff0000, v6
	v_cndmask_b32_e64 v4, v18, |v21|, s[22:23]
	v_cmp_o_f32_e64 s[22:23], v7, v7
	v_and_b32_e32 v20, 0xffff0000, v22
	v_cndmask_b32_e64 v6, v18, |v6|, s[22:23]
	v_cmp_o_f32_e64 s[22:23], v5, v5
	v_max3_f32 v4, v15, v19, v4
	v_cndmask_b32_e64 v5, v18, |v20|, s[22:23]
	v_max3_f32 v15, v4, v5, v6
	s_orn2_b64 s[22:23], vcc, exec
	s_branch .LBB17_50
.LBB17_57:
	s_or_b64 exec, exec, s[38:39]
.LBB17_58:
	s_or_b64 exec, exec, s[28:29]
	ds_bpermute_b32 v2, v9, v15
	s_waitcnt lgkmcnt(0)
	v_cmp_lt_f32_e32 vcc, v15, v2
	v_cndmask_b32_e32 v2, v15, v2, vcc
	v_cndmask_b32_e64 v2, v15, v2, s[2:3]
	ds_bpermute_b32 v3, v10, v2
	s_or_b64 s[2:3], s[2:3], s[4:5]
	s_or_b64 s[2:3], s[8:9], s[2:3]
	;; [unrolled: 1-line block ×4, first 2 shown]
	s_waitcnt lgkmcnt(0)
	v_cmp_lt_f32_e32 vcc, v2, v3
	v_cndmask_b32_e32 v3, v2, v3, vcc
	v_cndmask_b32_e64 v2, v2, v3, s[4:5]
	ds_bpermute_b32 v3, v11, v2
	s_waitcnt lgkmcnt(0)
	v_cmp_lt_f32_e32 vcc, v2, v3
	v_cndmask_b32_e32 v3, v2, v3, vcc
	v_cndmask_b32_e64 v2, v2, v3, s[8:9]
	ds_bpermute_b32 v3, v12, v2
	;; [unrolled: 5-line block ×4, first 2 shown]
	s_waitcnt lgkmcnt(0)
	v_cmp_lt_f32_e32 vcc, v2, v3
	s_and_b64 vcc, s[20:21], vcc
	v_cndmask_b32_e32 v2, v2, v3, vcc
	s_or_b64 vcc, s[20:21], s[2:3]
	v_cndmask_b32_e32 v2, v15, v2, vcc
	s_and_saveexec_b64 s[2:3], s[14:15]
	s_cbranch_execz .LBB17_60
; %bb.59:
	v_lshrrev_b32_e32 v3, 4, v0
	v_and_b32_e32 v3, 60, v3
	ds_write_b32 v3, v2 offset:64
.LBB17_60:
	s_or_b64 exec, exec, s[2:3]
	s_waitcnt lgkmcnt(0)
	s_barrier
	s_and_saveexec_b64 s[8:9], s[16:17]
	s_cbranch_execz .LBB17_62
; %bb.61:
	v_lshlrev_b32_e32 v2, 2, v1
	ds_read_b32 v2, v2 offset:64
	v_and_b32_e32 v3, 15, v1
	v_cmp_ne_u32_e32 vcc, 15, v3
	v_addc_co_u32_e32 v4, vcc, 0, v1, vcc
	v_lshlrev_b32_e32 v4, 2, v4
	s_waitcnt lgkmcnt(0)
	ds_bpermute_b32 v4, v4, v2
	s_add_i32 s2, s50, 63
	s_lshr_b32 s4, s2, 6
	v_add_u32_e32 v5, 1, v3
	v_cmp_gt_u32_e64 s[2:3], 14, v3
	s_waitcnt lgkmcnt(0)
	v_cmp_lt_f32_e32 vcc, v2, v4
	v_cndmask_b32_e32 v4, v2, v4, vcc
	v_cmp_gt_u32_e32 vcc, s4, v5
	v_cndmask_b32_e64 v5, 0, 1, s[2:3]
	v_lshlrev_b32_e32 v5, 1, v5
	v_cndmask_b32_e32 v4, v2, v4, vcc
	v_add_lshl_u32 v5, v5, v1, 2
	ds_bpermute_b32 v5, v5, v4
	v_add_u32_e32 v6, 2, v3
	s_waitcnt lgkmcnt(0)
	v_cmp_lt_f32_e64 s[2:3], v4, v5
	v_cndmask_b32_e64 v5, v4, v5, s[2:3]
	v_cmp_gt_u32_e64 s[2:3], s4, v6
	v_cndmask_b32_e64 v4, v4, v5, s[2:3]
	v_cmp_gt_u32_e64 s[2:3], 12, v3
	v_cndmask_b32_e64 v5, 0, 1, s[2:3]
	v_lshlrev_b32_e32 v5, 2, v5
	v_add_lshl_u32 v5, v5, v1, 2
	ds_bpermute_b32 v5, v5, v4
	v_add_u32_e32 v6, 4, v3
	s_waitcnt lgkmcnt(0)
	v_cmp_lt_f32_e64 s[2:3], v4, v5
	v_cndmask_b32_e64 v5, v4, v5, s[2:3]
	v_cmp_gt_u32_e64 s[2:3], s4, v6
	v_cndmask_b32_e64 v4, v4, v5, s[2:3]
	v_cmp_gt_u32_e64 s[2:3], 8, v3
	v_cndmask_b32_e64 v5, 0, 1, s[2:3]
	v_lshlrev_b32_e32 v5, 3, v5
	v_add_lshl_u32 v1, v5, v1, 2
	ds_bpermute_b32 v1, v1, v4
	v_add_u32_e32 v3, 8, v3
	v_cmp_gt_u32_e64 s[2:3], s4, v3
	s_waitcnt lgkmcnt(0)
	v_cmp_lt_f32_e64 s[4:5], v4, v1
	s_and_b64 s[2:3], s[2:3], s[4:5]
	v_cndmask_b32_e64 v1, v4, v1, s[2:3]
	v_cndmask_b32_e32 v2, v2, v1, vcc
.LBB17_62:
	s_or_b64 exec, exec, s[8:9]
	s_and_saveexec_b64 s[2:3], s[18:19]
	s_cbranch_execz .LBB17_66
; %bb.63:
	s_cmp_eq_u64 s[34:35], 0
	s_cbranch_scc1 .LBB17_65
; %bb.64:
	s_load_dword s4, s[34:35], 0x0
	v_max_f32_e32 v1, v2, v2
	s_waitcnt lgkmcnt(0)
	v_max_f32_e64 v2, s4, s4
	v_min_f32_e32 v2, v1, v2
.LBB17_65:
	s_mov_b32 s8, 0x42fe0000
	v_div_scale_f32 v1, s[4:5], s8, s8, v2
	v_rcp_f32_e32 v3, v1
	v_div_scale_f32 v4, vcc, v2, s8, v2
	s_lshl_b64 s[4:5], s[6:7], 2
	v_fma_f32 v5, -v1, v3, 1.0
	v_fmac_f32_e32 v3, v5, v3
	v_mul_f32_e32 v5, v4, v3
	v_fma_f32 v6, -v1, v5, v4
	v_fmac_f32_e32 v5, v6, v3
	v_fma_f32 v1, -v1, v5, v4
	v_div_fmas_f32 v1, v1, v3, v5
	v_div_fixup_f32 v1, v1, s8, v2
	s_add_u32 s4, s26, s4
	v_max_f32_e32 v1, 0x34000000, v1
	v_mov_b32_e32 v2, 0
	s_addc_u32 s5, s27, s5
	ds_write_b32 v2, v1 offset:260
	global_store_dword v2, v1, s[4:5]
.LBB17_66:
	s_or_b64 exec, exec, s[2:3]
	s_waitcnt lgkmcnt(0)
	s_barrier
	s_and_saveexec_b64 s[2:3], s[0:1]
	s_cbranch_execz .LBB17_75
; %bb.67:
	v_mov_b32_e32 v1, 0
	ds_read_b32 v2, v1 offset:260
	s_ashr_i32 s2, s37, 31
	s_mul_hi_u32 s3, s37, s6
	s_mul_i32 s2, s2, s6
	s_add_i32 s3, s3, s2
	s_waitcnt lgkmcnt(0)
	v_div_scale_f32 v3, s[0:1], v2, v2, 1.0
	v_rcp_f32_e32 v4, v3
	v_div_scale_f32 v5, vcc, 1.0, v2, 1.0
	s_mul_i32 s0, s37, s6
	v_fma_f32 v6, -v3, v4, 1.0
	v_fmac_f32_e32 v4, v6, v4
	v_mul_f32_e32 v6, v5, v4
	v_fma_f32 v7, -v3, v6, v5
	v_fmac_f32_e32 v6, v7, v4
	v_fma_f32 v3, -v3, v6, v5
	v_div_fmas_f32 v3, v3, v4, v6
	s_add_u32 s12, s24, s0
	v_div_fixup_f32 v2, v3, v2, 1.0
	s_addc_u32 s13, s25, s3
	s_add_i32 s19, s50, s50
	v_mov_b32_e32 v3, v2
	s_mul_i32 s14, s50, 3
	s_lshl_b32 s15, s50, 1
	s_mov_b64 s[0:1], 0
	v_mov_b32_e32 v9, s48
	v_mov_b32_e32 v10, s31
	s_movk_i32 s16, 0x7fff
	v_mov_b32_e32 v11, 0x7fc00000
	s_mov_b32 s17, 0x42fe0000
	v_mov_b32_e32 v12, 0x42fe0000
	s_mov_b32 s18, 0xc3000000
	v_mov_b32_e32 v13, 0xc3000000
	v_mov_b32_e32 v14, s13
	s_add_i32 s19, s19, s50
	v_mov_b32_e32 v15, 8
                                        ; implicit-def: $sgpr2_sgpr3
	s_branch .LBB17_71
.LBB17_68:                              ;   in Loop: Header=BB17_71 Depth=1
	s_or_b64 exec, exec, s[8:9]
	s_orn2_b64 s[8:9], s[10:11], exec
.LBB17_69:                              ;   in Loop: Header=BB17_71 Depth=1
	s_or_b64 exec, exec, s[6:7]
	s_andn2_b64 s[2:3], s[2:3], exec
	s_and_b64 s[6:7], s[8:9], exec
	s_or_b64 s[2:3], s[2:3], s[6:7]
.LBB17_70:                              ;   in Loop: Header=BB17_71 Depth=1
	s_or_b64 exec, exec, s[4:5]
	s_and_b64 s[4:5], exec, s[2:3]
	s_or_b64 s[0:1], s[4:5], s[0:1]
	s_andn2_b64 exec, exec, s[0:1]
	s_cbranch_execz .LBB17_75
.LBB17_71:                              ; =>This Inner Loop Header: Depth=1
	v_lshlrev_b64 v[4:5], 3, v[0:1]
	v_add_co_u32_e32 v6, vcc, s33, v4
	v_addc_co_u32_e32 v7, vcc, v9, v5, vcc
	v_add_co_u32_e32 v4, vcc, s30, v4
	global_load_dwordx2 v[6:7], v[6:7], off
	v_addc_co_u32_e32 v5, vcc, v10, v5, vcc
	global_load_dwordx2 v[4:5], v[4:5], off
	v_lshlrev_b64 v[16:17], 2, v[0:1]
	v_add_co_u32_e32 v16, vcc, s12, v16
	v_addc_co_u32_e32 v17, vcc, v14, v17, vcc
	s_or_b64 s[2:3], s[2:3], exec
	s_waitcnt vmcnt(1)
	v_lshlrev_b32_e32 v19, 16, v6
	v_and_b32_e32 v18, 0xffff0000, v6
	v_alignbit_b32 v20, v7, v6, 16
	v_and_b32_e32 v21, 0xffff0000, v7
	s_waitcnt vmcnt(0)
	v_alignbit_b32 v23, v5, v4, 16
	v_and_b32_e32 v6, 0xffff0000, v5
	v_mul_f32_e32 v5, v8, v19
	v_lshlrev_b32_e32 v22, 16, v4
	v_and_b32_e32 v7, 0xffff0000, v4
	v_and_b32_e32 v4, 0xffff0000, v20
	v_mul_f32_e32 v18, v8, v18
	v_mul_f32_e32 v20, v8, v21
	v_bfe_u32 v21, v5, 16, 1
	v_and_b32_e32 v19, 0xffff0000, v23
	v_bfe_u32 v23, v18, 16, 1
	v_add3_u32 v21, v5, v21, s16
	v_mul_f32_e32 v24, v8, v4
	v_bfe_u32 v4, v20, 16, 1
	v_add3_u32 v23, v18, v23, s16
	v_and_b32_e32 v21, 0xffff0000, v21
	v_cmp_o_f32_e32 vcc, v5, v5
	v_bfe_u32 v25, v24, 16, 1
	v_add3_u32 v4, v20, v4, s16
	v_and_b32_e32 v23, 0xffff0000, v23
	v_cndmask_b32_e32 v21, v11, v21, vcc
	v_cmp_o_f32_e32 vcc, v18, v18
	v_add3_u32 v25, v24, v25, s16
	v_and_b32_e32 v4, 0xffff0000, v4
	v_cndmask_b32_e32 v5, v11, v23, vcc
	v_cmp_o_f32_e32 vcc, v20, v20
	v_and_b32_e32 v25, 0xffff0000, v25
	v_cndmask_b32_e32 v4, v11, v4, vcc
	v_mul_f32_e32 v18, v21, v22
	v_cmp_o_f32_e32 vcc, v24, v24
	v_cndmask_b32_e32 v20, v11, v25, vcc
	v_pk_mul_f32 v[4:5], v[4:5], v[6:7]
	v_bfe_u32 v6, v18, 16, 1
	v_mul_f32_e32 v7, v20, v19
	v_bfe_u32 v20, v5, 16, 1
	v_add3_u32 v6, v18, v6, s16
	v_bfe_u32 v19, v4, 16, 1
	v_add3_u32 v20, v5, v20, s16
	v_and_b32_e32 v6, 0xffff0000, v6
	v_cmp_o_f32_e32 vcc, v18, v18
	v_add3_u32 v19, v4, v19, s16
	v_and_b32_e32 v20, 0xffff0000, v20
	v_cndmask_b32_e32 v6, v11, v6, vcc
	v_cmp_o_f32_e32 vcc, v5, v5
	v_bfe_u32 v21, v7, 16, 1
	v_and_b32_e32 v19, 0xffff0000, v19
	v_cndmask_b32_e32 v5, v11, v20, vcc
	v_cmp_o_f32_e32 vcc, v4, v4
	v_add3_u32 v21, v7, v21, s16
	v_cndmask_b32_e32 v4, v11, v19, vcc
	v_mul_f32_e32 v6, v2, v6
	v_and_b32_e32 v18, 0xffff0000, v21
	v_cmp_o_f32_e32 vcc, v7, v7
	v_pk_mul_f32 v[4:5], v[2:3], v[4:5]
	v_rndne_f32_e32 v6, v6
	v_cndmask_b32_e32 v7, v11, v18, vcc
	v_rndne_f32_e32 v4, v4
	v_cmp_nlt_f32_e32 vcc, s17, v6
	v_rndne_f32_e32 v5, v5
	v_cndmask_b32_e32 v18, v12, v6, vcc
	v_cmp_nlt_f32_e32 vcc, s17, v4
	v_mul_f32_e32 v7, v2, v7
	v_cndmask_b32_e32 v19, v12, v4, vcc
	v_cmp_nlt_f32_e32 vcc, s17, v5
	v_rndne_f32_e32 v7, v7
	v_cndmask_b32_e32 v20, v12, v5, vcc
	v_cmp_ngt_f32_e32 vcc, s18, v6
	v_cndmask_b32_e32 v6, v13, v18, vcc
	v_cmp_nlt_f32_e32 vcc, s17, v7
	v_cndmask_b32_e32 v18, v12, v7, vcc
	v_cmp_ngt_f32_e32 vcc, s18, v5
	v_cndmask_b32_e32 v5, v13, v20, vcc
	v_cmp_ngt_f32_e32 vcc, s18, v4
	;; [unrolled: 2-line block ×3, first 2 shown]
	v_cndmask_b32_e32 v7, v13, v18, vcc
	v_cvt_i32_f32_e32 v7, v7
	v_cvt_i32_f32_e32 v6, v6
	;; [unrolled: 1-line block ×4, first 2 shown]
	v_and_b32_e32 v7, 0xff, v7
	v_lshlrev_b32_e32 v7, 16, v7
	v_lshlrev_b32_sdwa v5, v15, v5 dst_sel:DWORD dst_unused:UNUSED_PAD src0_sel:DWORD src1_sel:BYTE_0
	v_and_b32_e32 v6, 0xff, v6
	v_lshl_or_b32 v4, v4, 24, v7
	v_or3_b32 v4, v4, v5, v6
	global_store_dword v[16:17], v4, off
	v_add_u32_e32 v4, s50, v0
	v_cmp_gt_u32_e32 vcc, s49, v4
	s_and_saveexec_b64 s[4:5], vcc
	s_cbranch_execz .LBB17_70
; %bb.72:                               ;   in Loop: Header=BB17_71 Depth=1
	v_mov_b32_e32 v5, v1
	v_lshlrev_b64 v[6:7], 3, v[4:5]
	v_add_co_u32_e32 v16, vcc, s33, v6
	v_addc_co_u32_e32 v17, vcc, v9, v7, vcc
	v_add_co_u32_e32 v6, vcc, s30, v6
	global_load_dwordx2 v[16:17], v[16:17], off
	v_addc_co_u32_e32 v7, vcc, v10, v7, vcc
	global_load_dwordx2 v[6:7], v[6:7], off
	v_lshlrev_b64 v[18:19], 2, v[4:5]
	v_add_co_u32_e32 v18, vcc, s12, v18
	v_addc_co_u32_e32 v19, vcc, v14, v19, vcc
	s_mov_b64 s[8:9], -1
	s_waitcnt vmcnt(1)
	v_lshlrev_b32_e32 v20, 16, v16
	v_and_b32_e32 v5, 0xffff0000, v16
	v_alignbit_b32 v21, v17, v16, 16
	v_and_b32_e32 v22, 0xffff0000, v17
	s_waitcnt vmcnt(0)
	v_alignbit_b32 v24, v7, v6, 16
	v_and_b32_e32 v16, 0xffff0000, v7
	v_mul_f32_e32 v7, v8, v20
	v_lshlrev_b32_e32 v23, 16, v6
	v_and_b32_e32 v17, 0xffff0000, v6
	v_and_b32_e32 v6, 0xffff0000, v21
	v_mul_f32_e32 v5, v8, v5
	v_mul_f32_e32 v21, v8, v22
	v_bfe_u32 v22, v7, 16, 1
	v_and_b32_e32 v20, 0xffff0000, v24
	v_bfe_u32 v24, v5, 16, 1
	v_add3_u32 v22, v7, v22, s16
	v_mul_f32_e32 v25, v8, v6
	v_bfe_u32 v6, v21, 16, 1
	v_add3_u32 v24, v5, v24, s16
	v_and_b32_e32 v22, 0xffff0000, v22
	v_cmp_o_f32_e32 vcc, v7, v7
	v_bfe_u32 v26, v25, 16, 1
	v_add3_u32 v6, v21, v6, s16
	v_and_b32_e32 v24, 0xffff0000, v24
	v_cndmask_b32_e32 v22, v11, v22, vcc
	v_cmp_o_f32_e32 vcc, v5, v5
	v_add3_u32 v26, v25, v26, s16
	v_and_b32_e32 v6, 0xffff0000, v6
	v_cndmask_b32_e32 v7, v11, v24, vcc
	v_cmp_o_f32_e32 vcc, v21, v21
	v_and_b32_e32 v26, 0xffff0000, v26
	v_cndmask_b32_e32 v6, v11, v6, vcc
	v_mul_f32_e32 v5, v22, v23
	v_cmp_o_f32_e32 vcc, v25, v25
	v_cndmask_b32_e32 v21, v11, v26, vcc
	v_pk_mul_f32 v[6:7], v[6:7], v[16:17]
	v_bfe_u32 v16, v5, 16, 1
	v_mul_f32_e32 v17, v21, v20
	v_bfe_u32 v21, v7, 16, 1
	v_add3_u32 v16, v5, v16, s16
	v_bfe_u32 v20, v6, 16, 1
	v_add3_u32 v21, v7, v21, s16
	v_and_b32_e32 v16, 0xffff0000, v16
	v_cmp_o_f32_e32 vcc, v5, v5
	v_add3_u32 v20, v6, v20, s16
	v_and_b32_e32 v21, 0xffff0000, v21
	v_cndmask_b32_e32 v5, v11, v16, vcc
	v_cmp_o_f32_e32 vcc, v7, v7
	v_bfe_u32 v22, v17, 16, 1
	v_and_b32_e32 v20, 0xffff0000, v20
	v_cndmask_b32_e32 v7, v11, v21, vcc
	v_cmp_o_f32_e32 vcc, v6, v6
	v_add3_u32 v22, v17, v22, s16
	v_cndmask_b32_e32 v6, v11, v20, vcc
	v_mul_f32_e32 v5, v2, v5
	v_and_b32_e32 v16, 0xffff0000, v22
	v_cmp_o_f32_e32 vcc, v17, v17
	v_pk_mul_f32 v[6:7], v[2:3], v[6:7]
	v_rndne_f32_e32 v5, v5
	v_cndmask_b32_e32 v16, v11, v16, vcc
	v_rndne_f32_e32 v6, v6
	v_cmp_nlt_f32_e32 vcc, s17, v5
	v_rndne_f32_e32 v7, v7
	v_cndmask_b32_e32 v17, v12, v5, vcc
	v_cmp_nlt_f32_e32 vcc, s17, v6
	v_mul_f32_e32 v16, v2, v16
	v_cndmask_b32_e32 v20, v12, v6, vcc
	v_cmp_nlt_f32_e32 vcc, s17, v7
	v_rndne_f32_e32 v16, v16
	v_cndmask_b32_e32 v21, v12, v7, vcc
	v_cmp_ngt_f32_e32 vcc, s18, v5
	v_cndmask_b32_e32 v5, v13, v17, vcc
	v_cmp_nlt_f32_e32 vcc, s17, v16
	v_cndmask_b32_e32 v17, v12, v16, vcc
	v_cmp_ngt_f32_e32 vcc, s18, v7
	v_cndmask_b32_e32 v7, v13, v21, vcc
	v_cmp_ngt_f32_e32 vcc, s18, v6
	v_cndmask_b32_e32 v6, v13, v20, vcc
	v_cmp_ngt_f32_e32 vcc, s18, v16
	v_cndmask_b32_e32 v16, v13, v17, vcc
	v_cvt_i32_f32_e32 v16, v16
	v_cvt_i32_f32_e32 v5, v5
	;; [unrolled: 1-line block ×4, first 2 shown]
	v_and_b32_e32 v16, 0xff, v16
	v_lshlrev_b32_e32 v16, 16, v16
	v_lshlrev_b32_sdwa v7, v15, v7 dst_sel:DWORD dst_unused:UNUSED_PAD src0_sel:DWORD src1_sel:BYTE_0
	v_and_b32_e32 v5, 0xff, v5
	v_lshl_or_b32 v6, v6, 24, v16
	v_or3_b32 v5, v6, v7, v5
	v_add_u32_e32 v6, s15, v0
	v_cmp_gt_u32_e32 vcc, s49, v6
	global_store_dword v[18:19], v5, off
	s_and_saveexec_b64 s[6:7], vcc
	s_cbranch_execz .LBB17_69
; %bb.73:                               ;   in Loop: Header=BB17_71 Depth=1
	v_mov_b32_e32 v7, v1
	v_lshlrev_b64 v[16:17], 3, v[6:7]
	v_mov_b32_e32 v5, s48
	v_add_co_u32_e32 v18, vcc, s33, v16
	v_addc_co_u32_e32 v19, vcc, v5, v17, vcc
	v_mov_b32_e32 v5, s31
	v_add_co_u32_e32 v16, vcc, s30, v16
	global_load_dwordx2 v[18:19], v[18:19], off
	v_addc_co_u32_e32 v17, vcc, v5, v17, vcc
	global_load_dwordx2 v[16:17], v[16:17], off
	v_lshlrev_b64 v[6:7], 2, v[6:7]
	v_mov_b32_e32 v5, s13
	v_add_co_u32_e32 v6, vcc, s12, v6
	v_addc_co_u32_e32 v7, vcc, v5, v7, vcc
	v_add_u32_e32 v0, s14, v0
	s_mov_b64 s[10:11], -1
	s_waitcnt vmcnt(1)
	v_lshlrev_b32_e32 v20, 16, v18
	v_and_b32_e32 v5, 0xffff0000, v18
	v_alignbit_b32 v21, v19, v18, 16
	v_and_b32_e32 v22, 0xffff0000, v19
	s_waitcnt vmcnt(0)
	v_alignbit_b32 v24, v17, v16, 16
	v_and_b32_e32 v18, 0xffff0000, v17
	v_mul_f32_e32 v17, v8, v20
	v_lshlrev_b32_e32 v23, 16, v16
	v_and_b32_e32 v19, 0xffff0000, v16
	v_and_b32_e32 v16, 0xffff0000, v21
	v_mul_f32_e32 v5, v8, v5
	v_mul_f32_e32 v21, v8, v22
	v_bfe_u32 v22, v17, 16, 1
	v_and_b32_e32 v20, 0xffff0000, v24
	v_bfe_u32 v24, v5, 16, 1
	v_add3_u32 v22, v17, v22, s16
	v_mul_f32_e32 v25, v8, v16
	v_bfe_u32 v16, v21, 16, 1
	v_add3_u32 v24, v5, v24, s16
	v_and_b32_e32 v22, 0xffff0000, v22
	v_cmp_o_f32_e32 vcc, v17, v17
	v_bfe_u32 v26, v25, 16, 1
	v_add3_u32 v16, v21, v16, s16
	v_and_b32_e32 v24, 0xffff0000, v24
	v_cndmask_b32_e32 v22, v11, v22, vcc
	v_cmp_o_f32_e32 vcc, v5, v5
	v_add3_u32 v26, v25, v26, s16
	v_and_b32_e32 v16, 0xffff0000, v16
	v_cndmask_b32_e32 v17, v11, v24, vcc
	v_cmp_o_f32_e32 vcc, v21, v21
	v_and_b32_e32 v26, 0xffff0000, v26
	v_cndmask_b32_e32 v16, v11, v16, vcc
	v_mul_f32_e32 v5, v22, v23
	v_cmp_o_f32_e32 vcc, v25, v25
	v_cndmask_b32_e32 v21, v11, v26, vcc
	v_pk_mul_f32 v[16:17], v[16:17], v[18:19]
	v_bfe_u32 v18, v5, 16, 1
	v_mul_f32_e32 v19, v21, v20
	v_bfe_u32 v21, v17, 16, 1
	v_add3_u32 v18, v5, v18, s16
	v_bfe_u32 v20, v16, 16, 1
	v_add3_u32 v21, v17, v21, s16
	v_and_b32_e32 v18, 0xffff0000, v18
	v_cmp_o_f32_e32 vcc, v5, v5
	v_add3_u32 v20, v16, v20, s16
	v_and_b32_e32 v21, 0xffff0000, v21
	v_cndmask_b32_e32 v5, v11, v18, vcc
	v_cmp_o_f32_e32 vcc, v17, v17
	v_bfe_u32 v22, v19, 16, 1
	v_and_b32_e32 v20, 0xffff0000, v20
	v_cndmask_b32_e32 v17, v11, v21, vcc
	v_cmp_o_f32_e32 vcc, v16, v16
	v_add3_u32 v22, v19, v22, s16
	v_cndmask_b32_e32 v16, v11, v20, vcc
	v_mul_f32_e32 v5, v2, v5
	v_and_b32_e32 v18, 0xffff0000, v22
	v_cmp_o_f32_e32 vcc, v19, v19
	v_pk_mul_f32 v[16:17], v[2:3], v[16:17]
	v_rndne_f32_e32 v5, v5
	v_cndmask_b32_e32 v18, v11, v18, vcc
	v_rndne_f32_e32 v16, v16
	v_cmp_nlt_f32_e32 vcc, s17, v5
	v_rndne_f32_e32 v17, v17
	v_cndmask_b32_e32 v19, v12, v5, vcc
	v_cmp_nlt_f32_e32 vcc, s17, v16
	v_mul_f32_e32 v18, v2, v18
	v_cndmask_b32_e32 v20, v12, v16, vcc
	v_cmp_nlt_f32_e32 vcc, s17, v17
	v_rndne_f32_e32 v18, v18
	v_cndmask_b32_e32 v21, v12, v17, vcc
	v_cmp_ngt_f32_e32 vcc, s18, v5
	v_cndmask_b32_e32 v5, v13, v19, vcc
	v_cmp_nlt_f32_e32 vcc, s17, v18
	v_cndmask_b32_e32 v19, v12, v18, vcc
	v_cmp_ngt_f32_e32 vcc, s18, v17
	v_cndmask_b32_e32 v17, v13, v21, vcc
	v_cmp_ngt_f32_e32 vcc, s18, v18
	v_cndmask_b32_e32 v18, v13, v19, vcc
	v_cvt_i32_f32_e32 v18, v18
	v_cmp_ngt_f32_e32 vcc, s18, v16
	v_cndmask_b32_e32 v16, v13, v20, vcc
	v_cvt_i32_f32_e32 v5, v5
	v_cvt_i32_f32_e32 v17, v17
	;; [unrolled: 1-line block ×3, first 2 shown]
	v_and_b32_e32 v18, 0xff, v18
	v_lshlrev_b32_e32 v18, 16, v18
	v_lshlrev_b32_sdwa v17, v15, v17 dst_sel:DWORD dst_unused:UNUSED_PAD src0_sel:DWORD src1_sel:BYTE_0
	v_lshl_or_b32 v16, v16, 24, v18
	v_and_b32_e32 v5, 0xff, v5
	v_or3_b32 v5, v16, v17, v5
	v_cmp_gt_u32_e32 vcc, s49, v0
	global_store_dword v[6:7], v5, off
	s_and_saveexec_b64 s[8:9], vcc
	s_cbranch_execz .LBB17_68
; %bb.74:                               ;   in Loop: Header=BB17_71 Depth=1
	v_lshlrev_b64 v[6:7], 3, v[0:1]
	v_mov_b32_e32 v5, s48
	v_add_co_u32_e32 v16, vcc, s33, v6
	v_addc_co_u32_e32 v17, vcc, v5, v7, vcc
	global_load_dwordx2 v[16:17], v[16:17], off
	v_mov_b32_e32 v5, s31
	v_add_co_u32_e32 v6, vcc, s30, v6
	v_addc_co_u32_e32 v7, vcc, v5, v7, vcc
	global_load_dwordx2 v[6:7], v[6:7], off
	v_lshlrev_b64 v[18:19], 2, v[0:1]
	v_mov_b32_e32 v0, s13
	v_add_co_u32_e32 v18, vcc, s12, v18
	v_addc_co_u32_e32 v19, vcc, v0, v19, vcc
	s_waitcnt vmcnt(1)
	v_lshlrev_b32_e32 v5, 16, v16
	v_and_b32_e32 v0, 0xffff0000, v16
	v_mul_f32_e32 v5, v8, v5
	v_alignbit_b32 v20, v17, v16, 16
	v_and_b32_e32 v21, 0xffff0000, v17
	v_mul_f32_e32 v0, v8, v0
	s_waitcnt vmcnt(0)
	v_alignbit_b32 v23, v7, v6, 16
	v_and_b32_e32 v16, 0xffff0000, v7
	v_bfe_u32 v7, v5, 16, 1
	v_lshlrev_b32_e32 v22, 16, v6
	v_and_b32_e32 v17, 0xffff0000, v6
	v_and_b32_e32 v6, 0xffff0000, v20
	;; [unrolled: 1-line block ×3, first 2 shown]
	v_mul_f32_e32 v21, v8, v21
	v_bfe_u32 v23, v0, 16, 1
	v_add3_u32 v7, v5, v7, s16
	v_mul_f32_e32 v24, v8, v6
	v_bfe_u32 v6, v21, 16, 1
	v_add3_u32 v23, v0, v23, s16
	v_and_b32_e32 v7, 0xffff0000, v7
	v_cmp_o_f32_e32 vcc, v5, v5
	v_bfe_u32 v25, v24, 16, 1
	v_add3_u32 v6, v21, v6, s16
	v_and_b32_e32 v23, 0xffff0000, v23
	v_cndmask_b32_e32 v5, v11, v7, vcc
	v_cmp_o_f32_e32 vcc, v0, v0
	v_add3_u32 v25, v24, v25, s16
	v_and_b32_e32 v6, 0xffff0000, v6
	v_cndmask_b32_e32 v7, v11, v23, vcc
	v_cmp_o_f32_e32 vcc, v21, v21
	v_and_b32_e32 v25, 0xffff0000, v25
	v_cndmask_b32_e32 v6, v11, v6, vcc
	v_mul_f32_e32 v0, v5, v22
	v_cmp_o_f32_e32 vcc, v24, v24
	v_cndmask_b32_e32 v5, v11, v25, vcc
	v_pk_mul_f32 v[6:7], v[6:7], v[16:17]
	v_bfe_u32 v16, v0, 16, 1
	v_mul_f32_e32 v5, v5, v20
	v_bfe_u32 v20, v7, 16, 1
	v_add3_u32 v16, v0, v16, s16
	v_bfe_u32 v17, v6, 16, 1
	v_add3_u32 v20, v7, v20, s16
	v_and_b32_e32 v16, 0xffff0000, v16
	v_cmp_o_f32_e32 vcc, v0, v0
	v_add3_u32 v17, v6, v17, s16
	v_and_b32_e32 v20, 0xffff0000, v20
	v_cndmask_b32_e32 v0, v11, v16, vcc
	v_cmp_o_f32_e32 vcc, v7, v7
	v_bfe_u32 v21, v5, 16, 1
	v_and_b32_e32 v17, 0xffff0000, v17
	v_cndmask_b32_e32 v7, v11, v20, vcc
	v_cmp_o_f32_e32 vcc, v6, v6
	v_add3_u32 v21, v5, v21, s16
	v_cndmask_b32_e32 v6, v11, v17, vcc
	v_mul_f32_e32 v0, v2, v0
	v_and_b32_e32 v16, 0xffff0000, v21
	v_cmp_o_f32_e32 vcc, v5, v5
	v_pk_mul_f32 v[6:7], v[2:3], v[6:7]
	v_rndne_f32_e32 v0, v0
	v_cndmask_b32_e32 v5, v11, v16, vcc
	v_rndne_f32_e32 v6, v6
	v_cmp_nlt_f32_e32 vcc, s17, v0
	v_rndne_f32_e32 v7, v7
	v_cndmask_b32_e32 v16, v12, v0, vcc
	v_cmp_nlt_f32_e32 vcc, s17, v6
	v_mul_f32_e32 v5, v2, v5
	v_cndmask_b32_e32 v17, v12, v6, vcc
	v_cmp_nlt_f32_e32 vcc, s17, v7
	v_rndne_f32_e32 v5, v5
	v_cndmask_b32_e32 v20, v12, v7, vcc
	v_cmp_ngt_f32_e32 vcc, s18, v0
	v_cndmask_b32_e32 v0, v13, v16, vcc
	v_cmp_nlt_f32_e32 vcc, s17, v5
	v_cndmask_b32_e32 v16, v12, v5, vcc
	v_cmp_ngt_f32_e32 vcc, s18, v7
	v_cndmask_b32_e32 v7, v13, v20, vcc
	v_cmp_ngt_f32_e32 vcc, s18, v5
	v_cndmask_b32_e32 v5, v13, v16, vcc
	v_cvt_i32_f32_e32 v5, v5
	v_cmp_ngt_f32_e32 vcc, s18, v6
	v_cndmask_b32_e32 v6, v13, v17, vcc
	v_cvt_i32_f32_e32 v0, v0
	v_cvt_i32_f32_e32 v7, v7
	;; [unrolled: 1-line block ×3, first 2 shown]
	v_and_b32_e32 v5, 0xff, v5
	v_lshlrev_b32_e32 v5, 16, v5
	v_lshlrev_b32_sdwa v7, v15, v7 dst_sel:DWORD dst_unused:UNUSED_PAD src0_sel:DWORD src1_sel:BYTE_0
	v_lshl_or_b32 v5, v6, 24, v5
	v_and_b32_e32 v0, 0xff, v0
	v_or3_b32 v0, v5, v7, v0
	global_store_dword v[18:19], v0, off
	v_add_u32_e32 v0, s19, v4
	v_cmp_le_u32_e32 vcc, s49, v0
	s_orn2_b64 s[10:11], vcc, exec
	s_branch .LBB17_68
.LBB17_75:
	s_endpgm
	.section	.rodata,"a",@progbits
	.p2align	6, 0x0
	.amdhsa_kernel _ZN4vllm39rms_norm_dynamic_per_token_quant_kernelIN3c108BFloat16EaLb0EEEvPT0_PfPKT_S8_PKffiiPS6_
		.amdhsa_group_segment_fixed_size 272
		.amdhsa_private_segment_fixed_size 0
		.amdhsa_kernarg_size 320
		.amdhsa_user_sgpr_count 6
		.amdhsa_user_sgpr_private_segment_buffer 1
		.amdhsa_user_sgpr_dispatch_ptr 0
		.amdhsa_user_sgpr_queue_ptr 0
		.amdhsa_user_sgpr_kernarg_segment_ptr 1
		.amdhsa_user_sgpr_dispatch_id 0
		.amdhsa_user_sgpr_flat_scratch_init 0
		.amdhsa_user_sgpr_kernarg_preload_length 0
		.amdhsa_user_sgpr_kernarg_preload_offset 0
		.amdhsa_user_sgpr_private_segment_size 0
		.amdhsa_uses_dynamic_stack 0
		.amdhsa_system_sgpr_private_segment_wavefront_offset 0
		.amdhsa_system_sgpr_workgroup_id_x 1
		.amdhsa_system_sgpr_workgroup_id_y 0
		.amdhsa_system_sgpr_workgroup_id_z 0
		.amdhsa_system_sgpr_workgroup_info 0
		.amdhsa_system_vgpr_workitem_id 0
		.amdhsa_next_free_vgpr 30
		.amdhsa_next_free_sgpr 54
		.amdhsa_accum_offset 32
		.amdhsa_reserve_vcc 1
		.amdhsa_reserve_flat_scratch 0
		.amdhsa_float_round_mode_32 0
		.amdhsa_float_round_mode_16_64 0
		.amdhsa_float_denorm_mode_32 3
		.amdhsa_float_denorm_mode_16_64 3
		.amdhsa_dx10_clamp 1
		.amdhsa_ieee_mode 1
		.amdhsa_fp16_overflow 0
		.amdhsa_tg_split 0
		.amdhsa_exception_fp_ieee_invalid_op 0
		.amdhsa_exception_fp_denorm_src 0
		.amdhsa_exception_fp_ieee_div_zero 0
		.amdhsa_exception_fp_ieee_overflow 0
		.amdhsa_exception_fp_ieee_underflow 0
		.amdhsa_exception_fp_ieee_inexact 0
		.amdhsa_exception_int_div_zero 0
	.end_amdhsa_kernel
	.section	.text._ZN4vllm39rms_norm_dynamic_per_token_quant_kernelIN3c108BFloat16EaLb0EEEvPT0_PfPKT_S8_PKffiiPS6_,"axG",@progbits,_ZN4vllm39rms_norm_dynamic_per_token_quant_kernelIN3c108BFloat16EaLb0EEEvPT0_PfPKT_S8_PKffiiPS6_,comdat
.Lfunc_end17:
	.size	_ZN4vllm39rms_norm_dynamic_per_token_quant_kernelIN3c108BFloat16EaLb0EEEvPT0_PfPKT_S8_PKffiiPS6_, .Lfunc_end17-_ZN4vllm39rms_norm_dynamic_per_token_quant_kernelIN3c108BFloat16EaLb0EEEvPT0_PfPKT_S8_PKffiiPS6_
                                        ; -- End function
	.section	.AMDGPU.csdata,"",@progbits
; Kernel info:
; codeLenInByte = 9864
; NumSgprs: 58
; NumVgprs: 30
; NumAgprs: 0
; TotalNumVgprs: 30
; ScratchSize: 0
; MemoryBound: 0
; FloatMode: 240
; IeeeMode: 1
; LDSByteSize: 272 bytes/workgroup (compile time only)
; SGPRBlocks: 7
; VGPRBlocks: 3
; NumSGPRsForWavesPerEU: 58
; NumVGPRsForWavesPerEU: 30
; AccumOffset: 32
; Occupancy: 8
; WaveLimiterHint : 0
; COMPUTE_PGM_RSRC2:SCRATCH_EN: 0
; COMPUTE_PGM_RSRC2:USER_SGPR: 6
; COMPUTE_PGM_RSRC2:TRAP_HANDLER: 0
; COMPUTE_PGM_RSRC2:TGID_X_EN: 1
; COMPUTE_PGM_RSRC2:TGID_Y_EN: 0
; COMPUTE_PGM_RSRC2:TGID_Z_EN: 0
; COMPUTE_PGM_RSRC2:TIDIG_COMP_CNT: 0
; COMPUTE_PGM_RSRC3_GFX90A:ACCUM_OFFSET: 7
; COMPUTE_PGM_RSRC3_GFX90A:TG_SPLIT: 0
	.section	.text._ZN4vllm31rms_norm_per_block_quant_kernelIfN3c1013Float8_e4m3fnELb1ELb1ELi128EEEvPT0_PfPKT_S8_PKffiiPS6_l,"axG",@progbits,_ZN4vllm31rms_norm_per_block_quant_kernelIfN3c1013Float8_e4m3fnELb1ELb1ELi128EEEvPT0_PfPKT_S8_PKffiiPS6_l,comdat
	.protected	_ZN4vllm31rms_norm_per_block_quant_kernelIfN3c1013Float8_e4m3fnELb1ELb1ELi128EEEvPT0_PfPKT_S8_PKffiiPS6_l ; -- Begin function _ZN4vllm31rms_norm_per_block_quant_kernelIfN3c1013Float8_e4m3fnELb1ELb1ELi128EEEvPT0_PfPKT_S8_PKffiiPS6_l
	.globl	_ZN4vllm31rms_norm_per_block_quant_kernelIfN3c1013Float8_e4m3fnELb1ELb1ELi128EEEvPT0_PfPKT_S8_PKffiiPS6_l
	.p2align	8
	.type	_ZN4vllm31rms_norm_per_block_quant_kernelIfN3c1013Float8_e4m3fnELb1ELb1ELi128EEEvPT0_PfPKT_S8_PKffiiPS6_l,@function
_ZN4vllm31rms_norm_per_block_quant_kernelIfN3c1013Float8_e4m3fnELb1ELb1ELi128EEEvPT0_PfPKT_S8_PKffiiPS6_l: ; @_ZN4vllm31rms_norm_per_block_quant_kernelIfN3c1013Float8_e4m3fnELb1ELb1ELi128EEEvPT0_PfPKT_S8_PKffiiPS6_l
; %bb.0:
	s_load_dwordx4 s[16:19], s[4:5], 0x28
	s_load_dwordx8 s[8:15], s[4:5], 0x0
	s_load_dwordx2 s[0:1], s[4:5], 0x38
	s_load_dword s48, s[4:5], 0x48
	s_mov_b32 s7, 0
	s_waitcnt lgkmcnt(0)
	s_ashr_i32 s2, s18, 31
	s_mul_hi_u32 s3, s18, s6
	s_mul_i32 s2, s2, s6
	s_ashr_i32 s21, s17, 31
	s_add_i32 s3, s3, s2
	s_mul_i32 s2, s18, s6
	s_mul_hi_u32 s18, s17, s6
	s_mul_i32 s19, s21, s6
	s_add_i32 s19, s18, s19
	s_lshl_b64 s[2:3], s[2:3], 2
	s_mul_i32 s18, s17, s6
	s_add_u32 s33, s12, s2
	s_addc_u32 s44, s13, s3
	s_lshl_b64 s[2:3], s[18:19], 2
	s_add_u32 s45, s0, s2
	s_addc_u32 s46, s1, s3
	s_ashr_i32 s12, s17, 2
	s_add_u32 s22, s4, 0x48
	s_mov_b32 s20, s17
	v_cmp_gt_u32_e64 s[0:1], s12, v0
	s_addc_u32 s23, s5, 0
	v_mov_b32_e32 v1, 0
	s_and_saveexec_b64 s[2:3], s[0:1]
	s_cbranch_execz .LBB18_10
; %bb.1:
	s_cmp_lt_u32 s6, s48
	s_cselect_b32 s13, 12, 18
	s_add_u32 s24, s22, s13
	s_addc_u32 s25, s23, 0
	v_mov_b32_e32 v3, 0
	global_load_ushort v8, v3, s[24:25]
	s_mov_b64 s[24:25], 0
	v_mov_b32_e32 v9, s44
	v_mov_b32_e32 v10, s46
	;; [unrolled: 1-line block ×4, first 2 shown]
                                        ; implicit-def: $sgpr26_sgpr27
	s_waitcnt vmcnt(0)
	v_mul_lo_u32 v11, v8, 3
	v_lshlrev_b32_e32 v12, 1, v8
	s_branch .LBB18_5
.LBB18_2:                               ;   in Loop: Header=BB18_5 Depth=1
	s_or_b64 exec, exec, s[34:35]
	s_orn2_b64 s[34:35], s[36:37], exec
.LBB18_3:                               ;   in Loop: Header=BB18_5 Depth=1
	s_or_b64 exec, exec, s[30:31]
	s_andn2_b64 s[26:27], s[26:27], exec
	s_and_b64 s[30:31], s[34:35], exec
	s_or_b64 s[26:27], s[26:27], s[30:31]
.LBB18_4:                               ;   in Loop: Header=BB18_5 Depth=1
	s_or_b64 exec, exec, s[28:29]
	s_and_b64 s[28:29], exec, s[26:27]
	s_or_b64 s[24:25], s[28:29], s[24:25]
	s_andn2_b64 exec, exec, s[24:25]
	s_cbranch_execz .LBB18_9
.LBB18_5:                               ; =>This Inner Loop Header: Depth=1
	v_lshlrev_b64 v[4:5], 4, v[2:3]
	v_add_co_u32_e32 v6, vcc, s33, v4
	v_addc_co_u32_e32 v7, vcc, v9, v5, vcc
	v_add_co_u32_e32 v4, vcc, s45, v4
	v_addc_co_u32_e32 v5, vcc, v10, v5, vcc
	global_load_dwordx4 v[14:17], v[6:7], off
	global_load_dwordx4 v[18:21], v[4:5], off
	v_add_u32_e32 v4, v2, v8
	v_cmp_gt_u32_e32 vcc, s12, v4
	s_or_b64 s[26:27], s[26:27], exec
	s_waitcnt vmcnt(0)
	v_pk_add_f32 v[6:7], v[14:15], v[18:19]
	v_pk_mul_f32 v[6:7], v[6:7], v[6:7]
	v_pk_add_f32 v[14:15], v[16:17], v[20:21]
	v_add_f32_e32 v1, v1, v6
	v_pk_mul_f32 v[14:15], v[14:15], v[14:15]
	v_add_f32_e32 v1, v1, v7
	v_add_f32_e32 v1, v1, v14
	;; [unrolled: 1-line block ×3, first 2 shown]
	s_and_saveexec_b64 s[28:29], vcc
	s_cbranch_execz .LBB18_4
; %bb.6:                                ;   in Loop: Header=BB18_5 Depth=1
	v_mov_b32_e32 v5, v3
	v_lshlrev_b64 v[6:7], 4, v[4:5]
	v_add_co_u32_e32 v22, vcc, s33, v6
	v_addc_co_u32_e32 v23, vcc, v9, v7, vcc
	v_add_co_u32_e32 v6, vcc, s45, v6
	v_addc_co_u32_e32 v7, vcc, v10, v7, vcc
	global_load_dwordx4 v[14:17], v[22:23], off
	global_load_dwordx4 v[18:21], v[6:7], off
	v_add_u32_e32 v6, v12, v2
	v_cmp_gt_u32_e32 vcc, s12, v6
	s_mov_b64 s[34:35], -1
	s_waitcnt vmcnt(0)
	v_pk_add_f32 v[14:15], v[14:15], v[18:19]
	v_pk_mul_f32 v[14:15], v[14:15], v[14:15]
	v_pk_add_f32 v[16:17], v[16:17], v[20:21]
	v_add_f32_e32 v1, v1, v14
	v_pk_mul_f32 v[16:17], v[16:17], v[16:17]
	v_add_f32_e32 v1, v1, v15
	v_add_f32_e32 v1, v1, v16
	;; [unrolled: 1-line block ×3, first 2 shown]
	s_and_saveexec_b64 s[30:31], vcc
	s_cbranch_execz .LBB18_3
; %bb.7:                                ;   in Loop: Header=BB18_5 Depth=1
	v_mov_b32_e32 v7, v3
	v_lshlrev_b64 v[6:7], 4, v[6:7]
	v_add_co_u32_e32 v22, vcc, s33, v6
	v_addc_co_u32_e32 v23, vcc, v9, v7, vcc
	v_add_co_u32_e32 v6, vcc, s45, v6
	v_addc_co_u32_e32 v7, vcc, v10, v7, vcc
	global_load_dwordx4 v[14:17], v[22:23], off
	global_load_dwordx4 v[18:21], v[6:7], off
	v_add_u32_e32 v2, v11, v2
	v_cmp_gt_u32_e32 vcc, s12, v2
	s_mov_b64 s[36:37], -1
	s_waitcnt vmcnt(0)
	v_pk_add_f32 v[6:7], v[14:15], v[18:19]
	v_pk_mul_f32 v[6:7], v[6:7], v[6:7]
	v_pk_add_f32 v[14:15], v[16:17], v[20:21]
	v_add_f32_e32 v1, v1, v6
	v_pk_mul_f32 v[14:15], v[14:15], v[14:15]
	v_add_f32_e32 v1, v1, v7
	v_add_f32_e32 v1, v1, v14
	;; [unrolled: 1-line block ×3, first 2 shown]
	s_and_saveexec_b64 s[34:35], vcc
	s_xor_b64 s[34:35], exec, s[34:35]
	s_cbranch_execz .LBB18_2
; %bb.8:                                ;   in Loop: Header=BB18_5 Depth=1
	v_lshlrev_b64 v[6:7], 4, v[2:3]
	v_mov_b32_e32 v2, s44
	v_add_co_u32_e32 v22, vcc, s33, v6
	v_addc_co_u32_e32 v23, vcc, v2, v7, vcc
	v_mov_b32_e32 v2, s46
	v_add_co_u32_e32 v6, vcc, s45, v6
	v_addc_co_u32_e32 v7, vcc, v2, v7, vcc
	global_load_dwordx4 v[14:17], v[22:23], off
	global_load_dwordx4 v[18:21], v[6:7], off
	v_add_u32_e32 v2, v8, v8
	v_add_u32_e32 v2, v2, v8
	v_add_u32_e32 v2, v2, v4
	v_cmp_le_u32_e32 vcc, s12, v2
	s_orn2_b64 s[36:37], vcc, exec
	s_waitcnt vmcnt(0)
	v_pk_add_f32 v[4:5], v[14:15], v[18:19]
	v_pk_mul_f32 v[4:5], v[4:5], v[4:5]
	v_pk_add_f32 v[6:7], v[16:17], v[20:21]
	v_add_f32_e32 v1, v1, v4
	v_pk_mul_f32 v[6:7], v[6:7], v[6:7]
	v_add_f32_e32 v1, v1, v5
	v_add_f32_e32 v1, v1, v6
	;; [unrolled: 1-line block ×3, first 2 shown]
	s_branch .LBB18_2
.LBB18_9:
	s_or_b64 exec, exec, s[24:25]
.LBB18_10:
	s_or_b64 exec, exec, s[2:3]
	v_mbcnt_lo_u32_b32 v2, -1, 0
	v_mbcnt_hi_u32_b32 v2, -1, v2
	v_and_b32_e32 v3, 63, v2
	v_cmp_ne_u32_e32 vcc, 63, v3
	s_load_dword s2, s[22:23], 0xc
	v_addc_co_u32_e32 v4, vcc, 0, v2, vcc
	v_lshlrev_b32_e32 v4, 2, v4
	ds_bpermute_b32 v4, v4, v1
	s_waitcnt lgkmcnt(0)
	s_and_b32 s13, s2, 0xffff
	v_and_b32_e32 v5, 0x3c0, v0
	v_sub_u32_e64 v5, s13, v5 clamp
	v_add_u32_e32 v6, 1, v2
	v_add_f32_e32 v4, v1, v4
	v_cmp_lt_u32_e32 vcc, v6, v5
	v_cndmask_b32_e32 v1, v1, v4, vcc
	v_cmp_gt_u32_e32 vcc, 62, v3
	v_cndmask_b32_e64 v4, 0, 1, vcc
	v_lshlrev_b32_e32 v4, 1, v4
	v_add_lshl_u32 v4, v4, v2, 2
	ds_bpermute_b32 v4, v4, v1
	v_add_u32_e32 v6, 2, v2
	v_cmp_lt_u32_e32 vcc, v6, v5
	v_add_u32_e32 v6, 4, v2
	s_waitcnt lgkmcnt(0)
	v_add_f32_e32 v4, v1, v4
	v_cndmask_b32_e32 v1, v1, v4, vcc
	v_cmp_gt_u32_e32 vcc, 60, v3
	v_cndmask_b32_e64 v4, 0, 1, vcc
	v_lshlrev_b32_e32 v4, 2, v4
	v_add_lshl_u32 v4, v4, v2, 2
	ds_bpermute_b32 v4, v4, v1
	v_cmp_lt_u32_e32 vcc, v6, v5
	v_add_u32_e32 v6, 8, v2
	s_waitcnt lgkmcnt(0)
	v_add_f32_e32 v4, v1, v4
	v_cndmask_b32_e32 v1, v1, v4, vcc
	v_cmp_gt_u32_e32 vcc, 56, v3
	v_cndmask_b32_e64 v4, 0, 1, vcc
	v_lshlrev_b32_e32 v4, 3, v4
	v_add_lshl_u32 v4, v4, v2, 2
	ds_bpermute_b32 v4, v4, v1
	;; [unrolled: 10-line block ×3, first 2 shown]
	v_cmp_lt_u32_e32 vcc, v6, v5
	s_waitcnt lgkmcnt(0)
	v_add_f32_e32 v4, v1, v4
	v_cndmask_b32_e32 v1, v1, v4, vcc
	v_cmp_gt_u32_e32 vcc, 32, v3
	v_cndmask_b32_e64 v3, 0, 1, vcc
	v_lshlrev_b32_e32 v3, 5, v3
	v_add_lshl_u32 v3, v3, v2, 2
	ds_bpermute_b32 v3, v3, v1
	v_add_u32_e32 v4, 32, v2
	v_cmp_lt_u32_e32 vcc, v4, v5
	s_waitcnt lgkmcnt(0)
	v_add_f32_e32 v3, v1, v3
	v_cndmask_b32_e32 v1, v1, v3, vcc
	v_cmp_eq_u32_e32 vcc, 0, v2
	s_and_saveexec_b64 s[2:3], vcc
	s_cbranch_execz .LBB18_12
; %bb.11:
	v_lshrrev_b32_e32 v3, 4, v0
	v_and_b32_e32 v3, 60, v3
	ds_write_b32 v3, v1 offset:4096
.LBB18_12:
	s_or_b64 exec, exec, s[2:3]
	v_cmp_gt_u32_e32 vcc, 16, v0
	s_waitcnt lgkmcnt(0)
	s_barrier
	s_and_saveexec_b64 s[24:25], vcc
	s_cbranch_execz .LBB18_14
; %bb.13:
	v_lshlrev_b32_e32 v1, 2, v2
	ds_read_b32 v1, v1 offset:4096
	v_and_b32_e32 v3, 15, v2
	v_cmp_ne_u32_e32 vcc, 15, v3
	v_addc_co_u32_e32 v4, vcc, 0, v2, vcc
	v_lshlrev_b32_e32 v4, 2, v4
	s_waitcnt lgkmcnt(0)
	ds_bpermute_b32 v4, v4, v1
	s_add_i32 s13, s13, 63
	s_lshr_b32 s13, s13, 6
	v_add_u32_e32 v5, 1, v3
	v_cmp_gt_u32_e64 s[2:3], 14, v3
	v_cmp_gt_u32_e32 vcc, s13, v5
	v_cndmask_b32_e64 v5, 0, 1, s[2:3]
	s_waitcnt lgkmcnt(0)
	v_add_f32_e32 v4, v1, v4
	v_lshlrev_b32_e32 v5, 1, v5
	v_cndmask_b32_e32 v4, v1, v4, vcc
	v_add_lshl_u32 v5, v5, v2, 2
	ds_bpermute_b32 v5, v5, v4
	v_add_u32_e32 v6, 2, v3
	v_cmp_gt_u32_e64 s[2:3], s13, v6
	v_add_u32_e32 v6, 4, v3
	s_waitcnt lgkmcnt(0)
	v_add_f32_e32 v5, v4, v5
	v_cndmask_b32_e64 v4, v4, v5, s[2:3]
	v_cmp_gt_u32_e64 s[2:3], 12, v3
	v_cndmask_b32_e64 v5, 0, 1, s[2:3]
	v_lshlrev_b32_e32 v5, 2, v5
	v_add_lshl_u32 v5, v5, v2, 2
	ds_bpermute_b32 v5, v5, v4
	v_cmp_gt_u32_e64 s[2:3], s13, v6
	s_waitcnt lgkmcnt(0)
	v_add_f32_e32 v5, v4, v5
	v_cndmask_b32_e64 v4, v4, v5, s[2:3]
	v_cmp_gt_u32_e64 s[2:3], 8, v3
	v_cndmask_b32_e64 v5, 0, 1, s[2:3]
	v_lshlrev_b32_e32 v5, 3, v5
	v_add_lshl_u32 v2, v5, v2, 2
	ds_bpermute_b32 v2, v2, v4
	v_add_u32_e32 v3, 8, v3
	v_cmp_gt_u32_e64 s[2:3], s13, v3
	s_waitcnt lgkmcnt(0)
	v_add_f32_e32 v2, v4, v2
	v_cndmask_b32_e64 v2, v4, v2, s[2:3]
	v_cndmask_b32_e32 v1, v1, v2, vcc
.LBB18_14:
	s_or_b64 exec, exec, s[24:25]
	v_cmp_eq_u32_e32 vcc, 0, v0
	s_and_saveexec_b64 s[2:3], vcc
	s_cbranch_execz .LBB18_16
; %bb.15:
	v_cvt_f32_i32_e32 v2, s20
	s_mov_b32 s13, 0x800000
	v_div_scale_f32 v3, s[24:25], v2, v2, v1
	v_rcp_f32_e32 v4, v3
	v_div_scale_f32 v5, vcc, v1, v2, v1
	v_fma_f32 v6, -v3, v4, 1.0
	v_fmac_f32_e32 v4, v6, v4
	v_mul_f32_e32 v6, v5, v4
	v_fma_f32 v7, -v3, v6, v5
	v_fmac_f32_e32 v6, v7, v4
	v_fma_f32 v3, -v3, v6, v5
	v_div_fmas_f32 v3, v3, v4, v6
	v_div_fixup_f32 v1, v3, v2, v1
	v_add_f32_e32 v1, s16, v1
	v_mul_f32_e32 v2, 0x4b800000, v1
	v_cmp_gt_f32_e32 vcc, s13, v1
	v_cndmask_b32_e32 v1, v1, v2, vcc
	v_rsq_f32_e32 v1, v1
	v_mul_f32_e32 v2, 0x45800000, v1
	v_cndmask_b32_e32 v1, v1, v2, vcc
	v_mov_b32_e32 v2, 0
	ds_write_b32 v2, v1 offset:4160
.LBB18_16:
	s_or_b64 exec, exec, s[2:3]
	s_ashr_i32 s2, s20, 31
	s_lshr_b32 s2, s2, 25
	s_add_i32 s3, s20, s2
	s_ashr_i32 s2, s3, 7
	s_cmp_lt_u32 s6, s48
	s_cselect_b32 s13, 12, 18
	s_add_u32 s16, s22, s13
	v_mov_b32_e32 v5, 0
	s_addc_u32 s17, s23, 0
	s_waitcnt lgkmcnt(0)
	s_barrier
	global_load_ushort v1, v5, s[16:17]
	ds_read_b32 v36, v5 offset:4160
	s_abs_i32 s13, s2
	v_cvt_f32_u32_e32 v2, s13
	s_sub_i32 s16, 0, s13
	s_ashr_i32 s3, s3, 31
	v_mov_b32_e32 v10, s12
	v_rcp_iflag_f32_e32 v2, v2
	v_mul_f32_e32 v2, 0x4f7ffffe, v2
	v_cvt_u32_f32_e32 v2, v2
	v_readfirstlane_b32 s17, v2
	s_mul_i32 s16, s16, s17
	s_mul_hi_u32 s16, s17, s16
	s_add_i32 s17, s17, s16
	s_waitcnt vmcnt(0)
	v_readfirstlane_b32 s47, v1
	s_mul_hi_u32 s16, s47, s17
	s_mul_i32 s17, s16, s13
	s_sub_i32 s17, s47, s17
	s_add_i32 s22, s16, 1
	s_sub_i32 s23, s17, s13
	s_cmp_ge_u32 s17, s13
	s_cselect_b32 s16, s22, s16
	s_cselect_b32 s17, s23, s17
	s_add_i32 s22, s16, 1
	s_cmp_ge_u32 s17, s13
	s_cselect_b32 s13, s22, s16
	s_xor_b32 s13, s13, s3
	s_sub_i32 s16, s13, s3
	s_abs_i32 s3, s16
	v_cvt_f32_u32_e32 v1, s3
	s_sub_i32 s22, 0, s3
	s_ashr_i32 s17, s16, 31
	s_ashr_i32 s13, s12, 31
	v_rcp_iflag_f32_e32 v1, v1
	v_mov_b32_e32 v11, s13
	v_mul_f32_e32 v1, 0x4f7ffffe, v1
	v_cvt_u32_f32_e32 v1, v1
	v_mul_lo_u32 v2, s22, v1
	v_mul_hi_u32 v2, v1, v2
	v_add_u32_e32 v1, v1, v2
	v_mul_hi_u32 v1, v0, v1
	v_mul_lo_u32 v2, v1, s3
	v_sub_u32_e32 v2, v0, v2
	v_add_u32_e32 v3, 1, v1
	v_cmp_le_u32_e32 vcc, s3, v2
	v_cndmask_b32_e32 v1, v1, v3, vcc
	v_subrev_u32_e32 v3, s3, v2
	v_cndmask_b32_e32 v2, v2, v3, vcc
	v_add_u32_e32 v3, 1, v1
	v_cmp_le_u32_e32 vcc, s3, v2
	v_cndmask_b32_e32 v1, v1, v3, vcc
	v_xor_b32_e32 v1, s17, v1
	v_subrev_u32_e32 v2, s17, v1
	v_mul_lo_u32 v1, v2, s16
	v_ashrrev_i32_e32 v3, 31, v2
	v_sub_u32_e32 v4, v0, v1
	v_lshlrev_b64 v[8:9], 5, v[2:3]
	v_add_co_u32_e32 v6, vcc, v8, v4
	v_addc_co_u32_e32 v7, vcc, 0, v9, vcc
	v_add_co_u32_e32 v8, vcc, 32, v8
	v_addc_co_u32_e32 v9, vcc, 0, v9, vcc
	v_cmp_gt_i64_e32 vcc, s[12:13], v[8:9]
	v_cndmask_b32_e32 v8, v10, v8, vcc
	v_cndmask_b32_e32 v9, v11, v9, vcc
	v_ashrrev_i32_e32 v11, 31, v8
	v_mov_b32_e32 v10, v8
	v_cmp_lt_i64_e32 vcc, v[6:7], v[10:11]
	s_and_saveexec_b64 s[22:23], vcc
	s_cbranch_execz .LBB18_26
; %bb.17:
	v_lshlrev_b64 v[12:13], 9, v[2:3]
	v_lshlrev_b64 v[14:15], 4, v[4:5]
	v_add_co_u32_e32 v12, vcc, v12, v14
	v_addc_co_u32_e32 v1, vcc, v13, v15, vcc
	s_lshl_b64 s[24:25], s[16:17], 6
	s_mul_hi_i32 s3, s16, 3
	s_mul_i32 s13, s16, 3
	s_lshl_b64 s[26:27], s[16:17], 1
	s_lshl_b64 s[30:31], s[16:17], 4
	s_mov_b64 s[28:29], 0
	v_mov_b32_e32 v5, 0
	v_mov_b32_e32 v13, s44
	;; [unrolled: 1-line block ×5, first 2 shown]
	v_pk_mov_b32 v[14:15], v[6:7], v[6:7] op_sel:[0,1]
                                        ; implicit-def: $sgpr34_sgpr35
	s_branch .LBB18_21
.LBB18_18:                              ;   in Loop: Header=BB18_21 Depth=1
	s_or_b64 exec, exec, s[40:41]
	s_orn2_b64 s[40:41], s[42:43], exec
.LBB18_19:                              ;   in Loop: Header=BB18_21 Depth=1
	s_or_b64 exec, exec, s[38:39]
	s_andn2_b64 s[34:35], s[34:35], exec
	s_and_b64 s[38:39], s[40:41], exec
	s_or_b64 s[34:35], s[34:35], s[38:39]
.LBB18_20:                              ;   in Loop: Header=BB18_21 Depth=1
	s_or_b64 exec, exec, s[36:37]
	s_and_b64 s[36:37], exec, s[34:35]
	s_or_b64 s[28:29], s[36:37], s[28:29]
	s_andn2_b64 exec, exec, s[28:29]
	s_cbranch_execz .LBB18_25
.LBB18_21:                              ; =>This Inner Loop Header: Depth=1
	v_add_co_u32_e32 v18, vcc, s33, v12
	v_addc_co_u32_e32 v19, vcc, v13, v1, vcc
	v_add_co_u32_e32 v22, vcc, s45, v12
	v_addc_co_u32_e32 v23, vcc, v25, v1, vcc
	global_load_dwordx4 v[28:31], v[18:19], off
	global_load_dwordx4 v[32:35], v[22:23], off
	v_add_co_u32_e32 v20, vcc, s14, v12
	v_addc_co_u32_e32 v21, vcc, v24, v1, vcc
	global_load_dwordx4 v[38:41], v[20:21], off
	v_add_co_u32_e32 v16, vcc, s16, v14
	v_addc_co_u32_e32 v17, vcc, v15, v26, vcc
	v_cmp_lt_i64_e32 vcc, v[16:17], v[10:11]
	s_or_b64 s[34:35], s[34:35], exec
	s_waitcnt vmcnt(1)
	v_add_f32_e32 v27, v28, v32
	v_add_f32_e32 v28, v29, v33
	v_add_f32_e32 v29, v30, v34
	v_add_f32_e32 v30, v31, v35
	s_waitcnt lgkmcnt(0)
	v_mul_f32_e32 v27, v36, v27
	v_mul_f32_e32 v28, v36, v28
	;; [unrolled: 1-line block ×4, first 2 shown]
	s_waitcnt vmcnt(0)
	v_mul_f32_e32 v27, v38, v27
	v_mul_f32_e32 v28, v39, v28
	;; [unrolled: 1-line block ×4, first 2 shown]
	v_max3_f32 v5, v5, |v27|, |v28|
	v_max3_f32 v5, v5, |v29|, |v30|
	s_and_saveexec_b64 s[36:37], vcc
	s_cbranch_execz .LBB18_20
; %bb.22:                               ;   in Loop: Header=BB18_21 Depth=1
	v_mov_b32_e32 v27, s31
	v_add_co_u32_e32 v18, vcc, s30, v18
	v_addc_co_u32_e32 v19, vcc, v19, v27, vcc
	v_add_co_u32_e32 v22, vcc, s30, v22
	v_addc_co_u32_e32 v23, vcc, v23, v27, vcc
	global_load_dwordx4 v[28:31], v[18:19], off
	global_load_dwordx4 v[32:35], v[22:23], off
	v_add_co_u32_e32 v20, vcc, s30, v20
	v_addc_co_u32_e32 v21, vcc, v21, v27, vcc
	global_load_dwordx4 v[38:41], v[20:21], off
	v_mov_b32_e32 v27, s27
	v_add_co_u32_e32 v42, vcc, s26, v14
	v_addc_co_u32_e32 v43, vcc, v27, v15, vcc
	v_cmp_lt_i64_e32 vcc, v[42:43], v[10:11]
	s_mov_b64 s[40:41], -1
	s_waitcnt vmcnt(1)
	v_add_f32_e32 v27, v28, v32
	v_add_f32_e32 v28, v29, v33
	;; [unrolled: 1-line block ×4, first 2 shown]
	v_mul_f32_e32 v27, v36, v27
	v_mul_f32_e32 v28, v36, v28
	v_mul_f32_e32 v29, v36, v29
	v_mul_f32_e32 v30, v36, v30
	s_waitcnt vmcnt(0)
	v_mul_f32_e32 v27, v38, v27
	v_mul_f32_e32 v28, v39, v28
	;; [unrolled: 1-line block ×4, first 2 shown]
	v_max3_f32 v5, v5, |v27|, |v28|
	v_max3_f32 v5, v5, |v29|, |v30|
	s_and_saveexec_b64 s[38:39], vcc
	s_cbranch_execz .LBB18_19
; %bb.23:                               ;   in Loop: Header=BB18_21 Depth=1
	v_mov_b32_e32 v27, s31
	v_add_co_u32_e32 v18, vcc, s30, v18
	v_addc_co_u32_e32 v19, vcc, v19, v27, vcc
	v_add_co_u32_e32 v22, vcc, s30, v22
	v_addc_co_u32_e32 v23, vcc, v23, v27, vcc
	global_load_dwordx4 v[28:31], v[18:19], off
	global_load_dwordx4 v[32:35], v[22:23], off
	v_add_co_u32_e32 v20, vcc, s30, v20
	v_addc_co_u32_e32 v21, vcc, v21, v27, vcc
	global_load_dwordx4 v[38:41], v[20:21], off
	v_mov_b32_e32 v27, s3
	v_add_co_u32_e32 v14, vcc, s13, v14
	v_addc_co_u32_e32 v15, vcc, v27, v15, vcc
	v_cmp_lt_i64_e32 vcc, v[14:15], v[10:11]
	s_mov_b64 s[42:43], -1
	s_waitcnt vmcnt(1)
	v_add_f32_e32 v14, v28, v32
	v_add_f32_e32 v15, v29, v33
	;; [unrolled: 1-line block ×4, first 2 shown]
	v_mul_f32_e32 v14, v36, v14
	v_mul_f32_e32 v15, v36, v15
	;; [unrolled: 1-line block ×4, first 2 shown]
	s_waitcnt vmcnt(0)
	v_mul_f32_e32 v14, v38, v14
	v_mul_f32_e32 v15, v39, v15
	v_mul_f32_e32 v27, v40, v27
	v_mul_f32_e32 v28, v41, v28
	v_max3_f32 v5, v5, |v14|, |v15|
	v_max3_f32 v5, v5, |v27|, |v28|
                                        ; implicit-def: $vgpr14_vgpr15
	s_and_saveexec_b64 s[40:41], vcc
	s_xor_b64 s[40:41], exec, s[40:41]
	s_cbranch_execz .LBB18_18
; %bb.24:                               ;   in Loop: Header=BB18_21 Depth=1
	v_mov_b32_e32 v27, s31
	v_add_co_u32_e32 v14, vcc, s30, v18
	v_addc_co_u32_e32 v15, vcc, v19, v27, vcc
	global_load_dwordx4 v[28:31], v[14:15], off
	v_add_co_u32_e32 v14, vcc, s30, v22
	v_addc_co_u32_e32 v15, vcc, v23, v27, vcc
	global_load_dwordx4 v[32:35], v[14:15], off
	;; [unrolled: 3-line block ×3, first 2 shown]
	s_add_u32 s42, s16, s16
	s_addc_u32 s43, s17, s17
	v_mov_b32_e32 v14, s25
	v_add_co_u32_e32 v12, vcc, s24, v12
	s_add_u32 s42, s42, s16
	v_addc_co_u32_e32 v1, vcc, v1, v14, vcc
	s_addc_u32 s43, s43, s17
	v_mov_b32_e32 v15, s43
	v_add_co_u32_e32 v14, vcc, s42, v16
	v_addc_co_u32_e32 v15, vcc, v15, v17, vcc
	v_cmp_ge_i64_e32 vcc, v[14:15], v[10:11]
	s_orn2_b64 s[42:43], vcc, exec
	s_waitcnt vmcnt(1)
	v_add_f32_e32 v16, v28, v32
	v_add_f32_e32 v17, v29, v33
	;; [unrolled: 1-line block ×4, first 2 shown]
	v_mul_f32_e32 v16, v36, v16
	v_mul_f32_e32 v17, v36, v17
	;; [unrolled: 1-line block ×4, first 2 shown]
	s_waitcnt vmcnt(0)
	v_mul_f32_e32 v16, v18, v16
	v_mul_f32_e32 v17, v19, v17
	;; [unrolled: 1-line block ×4, first 2 shown]
	v_max3_f32 v5, v5, |v16|, |v17|
	v_max3_f32 v5, v5, |v18|, |v19|
	s_branch .LBB18_18
.LBB18_25:
	s_or_b64 exec, exec, s[28:29]
.LBB18_26:
	s_or_b64 exec, exec, s[22:23]
	s_lshr_b32 s13, s47, 6
	v_cvt_f32_u32_e32 v10, s13
	v_lshlrev_b32_e32 v1, 2, v0
	ds_write_b32 v1, v5
	s_sub_i32 s23, 0, s13
	v_rcp_iflag_f32_e32 v5, v10
	s_add_i32 s3, s2, s13
	s_add_i32 s3, s3, -1
	s_ashr_i32 s22, s3, 31
	v_mul_f32_e32 v5, 0x4f7ffffe, v5
	v_cvt_u32_f32_e32 v5, v5
	s_abs_i32 s3, s3
	s_waitcnt lgkmcnt(0)
	s_barrier
	v_readfirstlane_b32 s24, v5
	s_mul_i32 s23, s23, s24
	s_mul_hi_u32 s23, s24, s23
	s_add_i32 s24, s24, s23
	s_mul_hi_u32 s23, s3, s24
	s_mul_i32 s24, s23, s13
	s_sub_i32 s3, s3, s24
	s_add_i32 s24, s23, 1
	s_sub_i32 s25, s3, s13
	s_cmp_ge_u32 s3, s13
	s_cselect_b32 s23, s24, s23
	s_cselect_b32 s3, s25, s3
	s_add_i32 s24, s23, 1
	s_cmp_ge_u32 s3, s13
	s_cselect_b32 s3, s24, s23
	s_xor_b32 s3, s3, s22
	s_sub_i32 s22, s3, s22
	s_ashr_i32 s23, s22, 31
	v_cmp_lt_i64_e64 s[24:25], s[22:23], 1
	s_and_b64 vcc, exec, s[24:25]
	s_cbranch_vccnz .LBB18_48
; %bb.27:
	v_and_b32_e32 v12, 63, v0
	v_add_co_u32_e32 v14, vcc, 32, v12
	v_addc_co_u32_e64 v15, s[24:25], 0, 0, vcc
	v_add_co_u32_e32 v16, vcc, 16, v12
	v_addc_co_u32_e64 v17, s[24:25], 0, 0, vcc
	;; [unrolled: 2-line block ×4, first 2 shown]
	v_add_co_u32_e32 v22, vcc, 2, v12
	v_lshrrev_b32_e32 v10, 6, v0
	v_addc_co_u32_e64 v23, s[24:25], 0, 0, vcc
	v_add_co_u32_e32 v24, vcc, 1, v12
	v_addc_co_u32_e64 v25, s[24:25], 0, 0, vcc
	v_mul_lo_u32 v5, s16, v10
	v_lshlrev_b32_e32 v5, 2, v5
	v_lshlrev_b32_e32 v26, 2, v12
	s_movk_i32 s24, 0x100
	v_mov_b32_e32 v11, 0
	v_add3_u32 v5, v5, v26, s24
	s_mul_i32 s24, s16, s13
	s_ashr_i32 s3, s2, 31
	v_mov_b32_e32 v13, v11
	s_lshl_b32 s36, s24, 2
	s_mov_b64 s[24:25], 0
	v_mov_b32_e32 v37, s13
	s_mov_b64 s[26:27], src_shared_base
	s_branch .LBB18_30
.LBB18_28:                              ;   in Loop: Header=BB18_30 Depth=1
	s_or_b64 exec, exec, s[30:31]
	v_mov_b32_e32 v27, s27
	flat_load_dword v26, v[26:27] glc
	s_waitcnt vmcnt(0)
.LBB18_29:                              ;   in Loop: Header=BB18_30 Depth=1
	s_or_b64 exec, exec, s[28:29]
	s_add_u32 s24, s24, 1
	s_addc_u32 s25, s25, 0
	s_cmp_eq_u64 s[24:25], s[22:23]
	v_add_u32_e32 v5, s36, v5
	s_cbranch_scc1 .LBB18_48
.LBB18_30:                              ; =>This Loop Header: Depth=1
                                        ;     Child Loop BB18_33 Depth 2
	v_mad_u64_u32 v[30:31], s[28:29], s24, v37, v[10:11]
	s_mul_i32 s26, s25, s13
	v_add_u32_e32 v31, s26, v31
	v_cmp_gt_i64_e32 vcc, s[2:3], v[30:31]
	s_and_saveexec_b64 s[28:29], vcc
	s_cbranch_execz .LBB18_29
; %bb.31:                               ;   in Loop: Header=BB18_30 Depth=1
	v_pk_mov_b32 v[32:33], s[16:17], s[16:17] op_sel:[0,1]
	v_mul_lo_u32 v29, v31, s16
	v_mul_lo_u32 v38, v30, s17
	v_mad_u64_u32 v[32:33], s[30:31], v30, s16, v[32:33]
	v_add3_u32 v33, v29, v33, v38
	v_mov_b32_e32 v28, s21
	v_cmp_gt_i64_e32 vcc, s[20:21], v[32:33]
	s_waitcnt lgkmcnt(0)
	v_mad_u64_u32 v[26:27], s[30:31], v30, s16, v[12:13]
	v_cndmask_b32_e32 v33, v28, v33, vcc
	v_mov_b32_e32 v28, s20
	v_add3_u32 v27, v29, v27, v38
	v_cndmask_b32_e32 v32, v28, v32, vcc
	v_add_co_u32_e32 v34, vcc, 64, v26
	v_addc_co_u32_e32 v35, vcc, 0, v27, vcc
	v_cmp_lt_i64_e32 vcc, v[34:35], v[32:33]
	v_lshlrev_b32_e32 v28, 2, v26
	s_and_saveexec_b64 s[30:31], vcc
	s_cbranch_execz .LBB18_34
; %bb.32:                               ;   in Loop: Header=BB18_30 Depth=1
	ds_read_b32 v31, v28
	s_mov_b64 s[34:35], 0
	v_mov_b32_e32 v27, v5
.LBB18_33:                              ;   Parent Loop BB18_30 Depth=1
                                        ; =>  This Inner Loop Header: Depth=2
	ds_read_b32 v39, v27
	v_add_co_u32_e32 v34, vcc, 64, v34
	v_addc_co_u32_e32 v35, vcc, 0, v35, vcc
	s_waitcnt lgkmcnt(1)
	v_max_f32_e32 v31, v31, v31
	v_cmp_ge_i64_e32 vcc, v[34:35], v[32:33]
	s_waitcnt lgkmcnt(0)
	v_max_f32_e32 v39, v39, v39
	v_add_u32_e32 v27, 0x100, v27
	s_or_b64 s[34:35], vcc, s[34:35]
	v_max_f32_e32 v31, v31, v39
	ds_write_b32 v28, v31
	s_andn2_b64 exec, exec, s[34:35]
	s_cbranch_execnz .LBB18_33
.LBB18_34:                              ;   in Loop: Header=BB18_30 Depth=1
	s_or_b64 exec, exec, s[30:31]
	v_mad_u64_u32 v[30:31], s[30:31], v30, s16, 0
	v_add3_u32 v27, v31, v38, v29
	v_sub_co_u32_e32 v30, vcc, v32, v30
	v_subb_co_u32_e32 v31, vcc, v33, v27, vcc
	v_cmp_gt_i64_e32 vcc, 64, v[30:31]
	v_cndmask_b32_e32 v31, 0, v31, vcc
	v_cndmask_b32_e32 v30, 64, v30, vcc
	v_cmp_lt_i64_e32 vcc, v[14:15], v[30:31]
	s_and_saveexec_b64 s[30:31], vcc
	s_cbranch_execnz .LBB18_46
; %bb.35:                               ;   in Loop: Header=BB18_30 Depth=1
	s_or_b64 exec, exec, s[30:31]
	v_cmp_lt_i64_e32 vcc, v[16:17], v[30:31]
	s_and_saveexec_b64 s[30:31], vcc
	s_cbranch_execnz .LBB18_47
.LBB18_36:                              ;   in Loop: Header=BB18_30 Depth=1
	s_or_b64 exec, exec, s[30:31]
	v_cmp_lt_i64_e32 vcc, v[18:19], v[30:31]
	s_and_saveexec_b64 s[30:31], vcc
	s_cbranch_execz .LBB18_38
.LBB18_37:                              ;   in Loop: Header=BB18_30 Depth=1
	v_mov_b32_e32 v29, s27
	v_add_u32_e32 v32, 32, v28
	v_mov_b32_e32 v33, s27
	flat_load_dword v27, v[28:29] glc
	s_waitcnt vmcnt(0)
	flat_load_dword v34, v[32:33] glc
	s_waitcnt vmcnt(0) lgkmcnt(0)
	v_max_f32_e32 v27, v27, v27
	v_max_f32_e32 v32, v34, v34
	;; [unrolled: 1-line block ×3, first 2 shown]
	flat_store_dword v[28:29], v27
	s_waitcnt vmcnt(0)
.LBB18_38:                              ;   in Loop: Header=BB18_30 Depth=1
	s_or_b64 exec, exec, s[30:31]
	v_cmp_ge_i64_e32 vcc, v[20:21], v[30:31]
	s_and_saveexec_b64 s[30:31], vcc
	s_xor_b64 s[30:31], exec, s[30:31]
; %bb.39:                               ;   in Loop: Header=BB18_30 Depth=1
                                        ; implicit-def: $vgpr28
; %bb.40:                               ;   in Loop: Header=BB18_30 Depth=1
	s_andn2_saveexec_b64 s[30:31], s[30:31]
	s_cbranch_execz .LBB18_42
; %bb.41:                               ;   in Loop: Header=BB18_30 Depth=1
	v_mov_b32_e32 v29, s27
	v_add_u32_e32 v32, 16, v28
	v_mov_b32_e32 v33, s27
	flat_load_dword v27, v[28:29] glc
	s_waitcnt vmcnt(0)
	flat_load_dword v34, v[32:33] glc
	s_waitcnt vmcnt(0) lgkmcnt(0)
	v_max_f32_e32 v27, v27, v27
	v_max_f32_e32 v32, v34, v34
	;; [unrolled: 1-line block ×3, first 2 shown]
	flat_store_dword v[28:29], v27
	s_waitcnt vmcnt(0)
.LBB18_42:                              ;   in Loop: Header=BB18_30 Depth=1
	s_or_b64 exec, exec, s[30:31]
	v_cmp_lt_i64_e32 vcc, v[22:23], v[30:31]
	v_lshlrev_b32_e32 v26, 2, v26
	s_and_saveexec_b64 s[30:31], vcc
	s_cbranch_execz .LBB18_44
; %bb.43:                               ;   in Loop: Header=BB18_30 Depth=1
	v_mov_b32_e32 v27, s27
	v_add_u32_e32 v28, 8, v26
	v_mov_b32_e32 v29, s27
	flat_load_dword v32, v[26:27] glc
	s_waitcnt vmcnt(0)
	flat_load_dword v33, v[28:29] glc
	s_waitcnt vmcnt(0) lgkmcnt(0)
	v_max_f32_e32 v28, v32, v32
	v_max_f32_e32 v29, v33, v33
	;; [unrolled: 1-line block ×3, first 2 shown]
	flat_store_dword v[26:27], v28
	s_waitcnt vmcnt(0)
.LBB18_44:                              ;   in Loop: Header=BB18_30 Depth=1
	s_or_b64 exec, exec, s[30:31]
	v_cmp_lt_i64_e32 vcc, v[24:25], v[30:31]
	s_and_saveexec_b64 s[30:31], vcc
	s_cbranch_execz .LBB18_28
; %bb.45:                               ;   in Loop: Header=BB18_30 Depth=1
	v_mov_b32_e32 v27, s27
	v_add_u32_e32 v28, 4, v26
	v_mov_b32_e32 v29, s27
	flat_load_dword v30, v[26:27] glc
	s_waitcnt vmcnt(0)
	flat_load_dword v31, v[28:29] glc
	s_waitcnt vmcnt(0) lgkmcnt(0)
	v_max_f32_e32 v28, v30, v30
	v_max_f32_e32 v29, v31, v31
	;; [unrolled: 1-line block ×3, first 2 shown]
	flat_store_dword v[26:27], v28
	s_waitcnt vmcnt(0)
	s_branch .LBB18_28
.LBB18_46:                              ;   in Loop: Header=BB18_30 Depth=1
	v_mov_b32_e32 v29, s27
	v_add_u32_e32 v32, 0x80, v28
	v_mov_b32_e32 v33, s27
	flat_load_dword v27, v[28:29] glc
	s_waitcnt vmcnt(0)
	flat_load_dword v34, v[32:33] glc
	s_waitcnt vmcnt(0) lgkmcnt(0)
	v_max_f32_e32 v27, v27, v27
	v_max_f32_e32 v32, v34, v34
	;; [unrolled: 1-line block ×3, first 2 shown]
	flat_store_dword v[28:29], v27
	s_waitcnt vmcnt(0)
	s_or_b64 exec, exec, s[30:31]
	v_cmp_lt_i64_e32 vcc, v[16:17], v[30:31]
	s_and_saveexec_b64 s[30:31], vcc
	s_cbranch_execz .LBB18_36
.LBB18_47:                              ;   in Loop: Header=BB18_30 Depth=1
	v_mov_b32_e32 v29, s27
	v_add_u32_e32 v32, 64, v28
	v_mov_b32_e32 v33, s27
	flat_load_dword v27, v[28:29] glc
	s_waitcnt vmcnt(0)
	flat_load_dword v34, v[32:33] glc
	s_waitcnt vmcnt(0) lgkmcnt(0)
	v_max_f32_e32 v27, v27, v27
	v_max_f32_e32 v32, v34, v34
	;; [unrolled: 1-line block ×3, first 2 shown]
	flat_store_dword v[28:29], v27
	s_waitcnt vmcnt(0)
	s_or_b64 exec, exec, s[30:31]
	v_cmp_lt_i64_e32 vcc, v[18:19], v[30:31]
	s_and_saveexec_b64 s[30:31], vcc
	s_cbranch_execnz .LBB18_37
	s_branch .LBB18_38
.LBB18_48:
	s_load_dwordx2 s[16:17], s[4:5], 0x40
	v_cmp_eq_u32_e32 vcc, 0, v4
	v_cmp_lt_i64_e64 s[2:3], v[6:7], v[8:9]
	s_and_b64 s[2:3], vcc, s[2:3]
	s_waitcnt lgkmcnt(0)
	s_barrier
	s_and_saveexec_b64 s[20:21], s[2:3]
	s_cbranch_execz .LBB18_55
; %bb.49:
	s_load_dwordx2 s[2:3], s[4:5], 0x20
	ds_read_b32 v1, v1
	s_waitcnt lgkmcnt(0)
	s_cmp_eq_u64 s[2:3], 0
	s_cbranch_scc1 .LBB18_51
; %bb.50:
	s_load_dword s2, s[2:3], 0x0
	v_max_f32_e32 v1, v1, v1
	s_waitcnt lgkmcnt(0)
	v_max_f32_e64 v4, s2, s2
	v_min_f32_e32 v1, v1, v4
.LBB18_51:
	s_add_u32 s3, s16, s48
	s_addc_u32 s4, s17, 0
	s_add_u32 s22, s3, -1
	s_addc_u32 s23, s4, -1
	s_or_b64 s[4:5], s[22:23], s[16:17]
	s_mov_b32 s2, 0
	s_mov_b32 s3, s5
	s_cmp_lg_u64 s[2:3], 0
	s_mov_b64 s[24:25], -1
	s_cbranch_scc0 .LBB18_164
; %bb.52:
	s_ashr_i32 s2, s17, 31
	s_add_u32 s4, s16, s2
	s_mov_b32 s3, s2
	s_addc_u32 s5, s17, s2
	s_xor_b64 s[26:27], s[4:5], s[2:3]
	v_cvt_f32_u32_e32 v4, s26
	v_cvt_f32_u32_e32 v5, s27
	s_sub_u32 s2, 0, s26
	s_subb_u32 s3, 0, s27
	v_madmk_f32 v4, v5, 0x4f800000, v4
	v_rcp_f32_e32 v4, v4
	v_mul_f32_e32 v4, 0x5f7ffffc, v4
	v_mul_f32_e32 v5, 0x2f800000, v4
	v_trunc_f32_e32 v5, v5
	v_madmk_f32 v4, v5, 0xcf800000, v4
	v_cvt_u32_f32_e32 v5, v5
	v_cvt_u32_f32_e32 v4, v4
	v_readfirstlane_b32 s4, v5
	v_readfirstlane_b32 s5, v4
	s_mul_i32 s13, s2, s4
	s_mul_hi_u32 s29, s2, s5
	s_mul_i32 s28, s3, s5
	s_add_i32 s13, s29, s13
	s_add_i32 s13, s13, s28
	s_mul_i32 s30, s2, s5
	s_mul_hi_u32 s28, s5, s13
	s_mul_i32 s29, s5, s13
	s_mul_hi_u32 s5, s5, s30
	s_add_u32 s5, s5, s29
	s_addc_u32 s28, 0, s28
	s_mul_hi_u32 s31, s4, s30
	s_mul_i32 s30, s4, s30
	s_add_u32 s5, s5, s30
	s_mul_hi_u32 s29, s4, s13
	s_addc_u32 s5, s28, s31
	s_addc_u32 s28, s29, 0
	s_mul_i32 s13, s4, s13
	s_add_u32 s5, s5, s13
	s_addc_u32 s13, 0, s28
	v_add_co_u32_e32 v4, vcc, s5, v4
	s_cmp_lg_u64 vcc, 0
	s_addc_u32 s4, s4, s13
	v_readfirstlane_b32 s13, v4
	s_mul_i32 s5, s2, s4
	s_mul_hi_u32 s28, s2, s13
	s_add_i32 s5, s28, s5
	s_mul_i32 s3, s3, s13
	s_add_i32 s5, s5, s3
	s_mul_i32 s2, s2, s13
	s_mul_hi_u32 s28, s4, s2
	s_mul_i32 s29, s4, s2
	s_mul_i32 s31, s13, s5
	s_mul_hi_u32 s2, s13, s2
	s_mul_hi_u32 s30, s13, s5
	s_add_u32 s2, s2, s31
	s_addc_u32 s13, 0, s30
	s_add_u32 s2, s2, s29
	s_mul_hi_u32 s3, s4, s5
	s_addc_u32 s2, s13, s28
	s_addc_u32 s3, s3, 0
	s_mul_i32 s5, s4, s5
	s_add_u32 s2, s2, s5
	s_addc_u32 s3, 0, s3
	v_add_co_u32_e32 v4, vcc, s2, v4
	s_cmp_lg_u64 vcc, 0
	s_addc_u32 s4, s4, s3
	s_ashr_i32 s28, s23, 31
	s_add_u32 s2, s22, s28
	s_mov_b32 s29, s28
	s_addc_u32 s3, s23, s28
	s_xor_b64 s[30:31], s[2:3], s[28:29]
	v_readfirstlane_b32 s5, v4
	s_mul_i32 s3, s30, s4
	s_mul_hi_u32 s13, s30, s5
	s_mul_hi_u32 s2, s30, s4
	s_add_u32 s3, s13, s3
	s_addc_u32 s2, 0, s2
	s_mul_hi_u32 s29, s31, s5
	s_mul_i32 s5, s31, s5
	s_add_u32 s3, s3, s5
	s_mul_hi_u32 s13, s31, s4
	s_addc_u32 s2, s2, s29
	s_addc_u32 s3, s13, 0
	s_mul_i32 s4, s31, s4
	s_add_u32 s2, s2, s4
	s_addc_u32 s3, 0, s3
	s_mul_i32 s3, s26, s3
	s_mul_hi_u32 s4, s26, s2
	s_add_i32 s3, s4, s3
	s_mul_i32 s4, s27, s2
	s_mul_i32 s2, s26, s2
	s_add_i32 s13, s3, s4
	v_mov_b32_e32 v4, s2
	s_sub_i32 s3, s31, s13
	v_sub_co_u32_e32 v4, vcc, s30, v4
	s_cmp_lg_u64 vcc, 0
	s_subb_u32 s29, s3, s27
	v_subrev_co_u32_e64 v5, s[2:3], s26, v4
	s_cmp_lg_u64 s[2:3], 0
	s_subb_u32 s30, s29, 0
	s_cmp_ge_u32 s30, s27
	s_cselect_b32 s34, -1, 0
	v_cmp_le_u32_e64 s[4:5], s26, v5
	s_cmp_eq_u32 s30, s27
	v_cndmask_b32_e64 v6, 0, -1, s[4:5]
	v_mov_b32_e32 v7, s34
	s_cselect_b64 s[4:5], -1, 0
	s_cmp_lg_u64 s[2:3], 0
	v_cndmask_b32_e64 v6, v7, v6, s[4:5]
	s_subb_u32 s4, s29, s27
	v_subrev_co_u32_e64 v7, s[2:3], s26, v5
	s_cmp_lg_u64 s[2:3], 0
	s_subb_u32 s4, s4, 0
	v_cmp_ne_u32_e64 s[2:3], 0, v6
	v_cndmask_b32_e64 v5, v5, v7, s[2:3]
	v_mov_b32_e32 v6, s30
	v_mov_b32_e32 v7, s4
	s_cmp_lg_u64 vcc, 0
	v_cndmask_b32_e64 v6, v6, v7, s[2:3]
	s_subb_u32 s2, s31, s13
	s_cmp_ge_u32 s2, s27
	s_cselect_b32 s3, -1, 0
	v_cmp_le_u32_e32 vcc, s26, v4
	s_cmp_eq_u32 s2, s27
	v_cndmask_b32_e64 v7, 0, -1, vcc
	v_mov_b32_e32 v8, s3
	s_cselect_b64 vcc, -1, 0
	v_cndmask_b32_e32 v7, v8, v7, vcc
	v_cmp_ne_u32_e32 vcc, 0, v7
	v_mov_b32_e32 v8, s2
	v_cndmask_b32_e32 v4, v4, v5, vcc
	v_cndmask_b32_e32 v6, v8, v6, vcc
	v_xor_b32_e32 v4, s28, v4
	v_xor_b32_e32 v5, s28, v6
	v_mov_b32_e32 v6, s28
	v_subrev_co_u32_e32 v4, vcc, s28, v4
	v_subb_co_u32_e32 v5, vcc, v5, v6, vcc
	s_cbranch_execnz .LBB18_54
.LBB18_53:
	v_cvt_f32_u32_e32 v4, s16
	s_sub_i32 s2, 0, s16
	v_rcp_iflag_f32_e32 v4, v4
	v_mul_f32_e32 v4, 0x4f7ffffe, v4
	v_cvt_u32_f32_e32 v4, v4
	v_mul_lo_u32 v5, s2, v4
	v_mul_hi_u32 v5, v4, v5
	v_add_u32_e32 v4, v4, v5
	v_mul_hi_u32 v4, s22, v4
	v_mul_lo_u32 v4, v4, s16
	v_sub_u32_e32 v4, s22, v4
	v_subrev_u32_e32 v5, s16, v4
	v_cmp_le_u32_e32 vcc, s16, v4
	v_cndmask_b32_e32 v4, v4, v5, vcc
	v_subrev_u32_e32 v5, s16, v4
	v_cmp_le_u32_e32 vcc, s16, v4
	v_cndmask_b32_e32 v4, v4, v5, vcc
	v_mov_b32_e32 v5, 0
.LBB18_54:
	s_mov_b32 s4, 0x43e00000
	v_div_scale_f32 v6, s[2:3], s4, s4, v1
	v_rcp_f32_e32 v7, v6
	v_div_scale_f32 v8, vcc, v1, s4, v1
	v_fma_f32 v9, -v6, v7, 1.0
	v_fmac_f32_e32 v7, v9, v7
	v_mul_f32_e32 v9, v8, v7
	v_fma_f32 v10, -v6, v9, v8
	v_fmac_f32_e32 v9, v10, v7
	v_fma_f32 v6, -v6, v9, v8
	v_div_fmas_f32 v6, v6, v7, v9
	v_div_fixup_f32 v1, v6, s4, v1
	v_mov_b32_e32 v6, s23
	v_sub_co_u32_e32 v4, vcc, s22, v4
	v_subb_co_u32_e32 v5, vcc, v6, v5, vcc
	v_mul_lo_u32 v5, v5, v2
	v_mul_lo_u32 v6, v4, v3
	v_mad_u64_u32 v[2:3], s[2:3], v4, v2, 0
	s_lshl_b64 s[2:3], s[6:7], 2
	v_add3_u32 v3, v3, v6, v5
	s_add_u32 s2, s2, s10
	v_lshlrev_b64 v[2:3], 2, v[2:3]
	s_addc_u32 s3, s3, s11
	v_mov_b32_e32 v4, s3
	v_add_co_u32_e32 v2, vcc, s2, v2
	v_max_f32_e32 v1, 0x36924925, v1
	v_addc_co_u32_e32 v3, vcc, v4, v3, vcc
	global_store_dword v[2:3], v1, off
.LBB18_55:
	s_or_b64 exec, exec, s[20:21]
	s_barrier
	s_and_saveexec_b64 s[2:3], s[0:1]
	s_cbranch_execz .LBB18_163
; %bb.56:
	s_add_u32 s1, s16, s48
	s_addc_u32 s2, s17, 0
	s_add_u32 s4, s1, -1
	s_addc_u32 s5, s2, -1
	s_or_b64 s[2:3], s[4:5], s[16:17]
	s_mov_b32 s0, 0
	s_mov_b32 s1, s3
	s_cmp_lg_u64 s[0:1], 0
	s_mov_b64 s[20:21], -1
	s_cbranch_scc0 .LBB18_165
; %bb.57:
	s_ashr_i32 s0, s17, 31
	s_add_u32 s2, s16, s0
	s_mov_b32 s1, s0
	s_addc_u32 s3, s17, s0
	s_xor_b64 s[22:23], s[2:3], s[0:1]
	v_cvt_f32_u32_e32 v1, s22
	v_cvt_f32_u32_e32 v2, s23
	s_sub_u32 s0, 0, s22
	s_subb_u32 s1, 0, s23
	v_madmk_f32 v1, v2, 0x4f800000, v1
	v_rcp_f32_e32 v1, v1
	v_mul_f32_e32 v1, 0x5f7ffffc, v1
	v_mul_f32_e32 v2, 0x2f800000, v1
	v_trunc_f32_e32 v2, v2
	v_madmk_f32 v1, v2, 0xcf800000, v1
	v_cvt_u32_f32_e32 v2, v2
	v_cvt_u32_f32_e32 v1, v1
	v_readfirstlane_b32 s2, v2
	v_readfirstlane_b32 s3, v1
	s_mul_i32 s13, s0, s2
	s_mul_hi_u32 s24, s0, s3
	s_mul_i32 s17, s1, s3
	s_add_i32 s13, s24, s13
	s_add_i32 s13, s13, s17
	s_mul_i32 s25, s0, s3
	s_mul_hi_u32 s17, s3, s13
	s_mul_i32 s24, s3, s13
	s_mul_hi_u32 s3, s3, s25
	s_add_u32 s3, s3, s24
	s_addc_u32 s17, 0, s17
	s_mul_hi_u32 s26, s2, s25
	s_mul_i32 s25, s2, s25
	s_add_u32 s3, s3, s25
	s_mul_hi_u32 s24, s2, s13
	s_addc_u32 s3, s17, s26
	s_addc_u32 s17, s24, 0
	s_mul_i32 s13, s2, s13
	s_add_u32 s3, s3, s13
	s_addc_u32 s13, 0, s17
	v_add_co_u32_e32 v1, vcc, s3, v1
	s_cmp_lg_u64 vcc, 0
	s_addc_u32 s2, s2, s13
	v_readfirstlane_b32 s13, v1
	s_mul_i32 s3, s0, s2
	s_mul_hi_u32 s17, s0, s13
	s_add_i32 s3, s17, s3
	s_mul_i32 s1, s1, s13
	s_add_i32 s3, s3, s1
	s_mul_i32 s0, s0, s13
	s_mul_hi_u32 s17, s2, s0
	s_mul_i32 s24, s2, s0
	s_mul_i32 s26, s13, s3
	s_mul_hi_u32 s0, s13, s0
	s_mul_hi_u32 s25, s13, s3
	s_add_u32 s0, s0, s26
	s_addc_u32 s13, 0, s25
	s_add_u32 s0, s0, s24
	s_mul_hi_u32 s1, s2, s3
	s_addc_u32 s0, s13, s17
	s_addc_u32 s1, s1, 0
	s_mul_i32 s3, s2, s3
	s_add_u32 s0, s0, s3
	s_addc_u32 s1, 0, s1
	v_add_co_u32_e32 v1, vcc, s0, v1
	s_cmp_lg_u64 vcc, 0
	s_addc_u32 s2, s2, s1
	s_ashr_i32 s24, s5, 31
	s_add_u32 s0, s4, s24
	s_mov_b32 s25, s24
	s_addc_u32 s1, s5, s24
	s_xor_b64 s[26:27], s[0:1], s[24:25]
	v_readfirstlane_b32 s3, v1
	s_mul_i32 s1, s26, s2
	s_mul_hi_u32 s13, s26, s3
	s_mul_hi_u32 s0, s26, s2
	s_add_u32 s1, s13, s1
	s_addc_u32 s0, 0, s0
	s_mul_hi_u32 s17, s27, s3
	s_mul_i32 s3, s27, s3
	s_add_u32 s1, s1, s3
	s_mul_hi_u32 s13, s27, s2
	s_addc_u32 s0, s0, s17
	s_addc_u32 s1, s13, 0
	s_mul_i32 s2, s27, s2
	s_add_u32 s0, s0, s2
	s_addc_u32 s1, 0, s1
	s_mul_i32 s1, s22, s1
	s_mul_hi_u32 s2, s22, s0
	s_add_i32 s1, s2, s1
	s_mul_i32 s2, s23, s0
	s_mul_i32 s0, s22, s0
	s_add_i32 s13, s1, s2
	v_mov_b32_e32 v1, s0
	s_sub_i32 s1, s27, s13
	v_sub_co_u32_e32 v1, vcc, s26, v1
	s_cmp_lg_u64 vcc, 0
	s_subb_u32 s17, s1, s23
	v_subrev_co_u32_e64 v2, s[0:1], s22, v1
	s_cmp_lg_u64 s[0:1], 0
	s_subb_u32 s25, s17, 0
	s_cmp_ge_u32 s25, s23
	s_cselect_b32 s26, -1, 0
	v_cmp_le_u32_e64 s[2:3], s22, v2
	s_cmp_eq_u32 s25, s23
	v_cndmask_b32_e64 v3, 0, -1, s[2:3]
	v_mov_b32_e32 v4, s26
	s_cselect_b64 s[2:3], -1, 0
	s_cmp_lg_u64 s[0:1], 0
	v_cndmask_b32_e64 v3, v4, v3, s[2:3]
	s_subb_u32 s2, s17, s23
	v_subrev_co_u32_e64 v4, s[0:1], s22, v2
	s_cmp_lg_u64 s[0:1], 0
	s_subb_u32 s2, s2, 0
	v_cmp_ne_u32_e64 s[0:1], 0, v3
	v_cndmask_b32_e64 v2, v2, v4, s[0:1]
	v_mov_b32_e32 v3, s25
	v_mov_b32_e32 v4, s2
	s_cmp_lg_u64 vcc, 0
	v_cndmask_b32_e64 v3, v3, v4, s[0:1]
	s_subb_u32 s0, s27, s13
	s_cmp_ge_u32 s0, s23
	s_cselect_b32 s1, -1, 0
	v_cmp_le_u32_e32 vcc, s22, v1
	s_cmp_eq_u32 s0, s23
	v_cndmask_b32_e64 v4, 0, -1, vcc
	v_mov_b32_e32 v5, s1
	s_cselect_b64 vcc, -1, 0
	v_cndmask_b32_e32 v4, v5, v4, vcc
	v_cmp_ne_u32_e32 vcc, 0, v4
	v_mov_b32_e32 v5, s0
	v_cndmask_b32_e32 v1, v1, v2, vcc
	v_cndmask_b32_e32 v3, v5, v3, vcc
	v_xor_b32_e32 v1, s24, v1
	v_xor_b32_e32 v3, s24, v3
	v_mov_b32_e32 v4, s24
	v_subrev_co_u32_e32 v2, vcc, s24, v1
	v_subb_co_u32_e32 v3, vcc, v3, v4, vcc
	s_cbranch_execnz .LBB18_59
.LBB18_58:
	v_cvt_f32_u32_e32 v1, s16
	s_sub_i32 s0, 0, s16
	v_mov_b32_e32 v3, 0
	v_rcp_iflag_f32_e32 v1, v1
	v_mul_f32_e32 v1, 0x4f7ffffe, v1
	v_cvt_u32_f32_e32 v1, v1
	v_mul_lo_u32 v2, s0, v1
	v_mul_hi_u32 v2, v1, v2
	v_add_u32_e32 v1, v1, v2
	v_mul_hi_u32 v1, s4, v1
	v_mul_lo_u32 v1, v1, s16
	v_sub_u32_e32 v1, s4, v1
	v_subrev_u32_e32 v2, s16, v1
	v_cmp_le_u32_e32 vcc, s16, v1
	v_cndmask_b32_e32 v1, v1, v2, vcc
	v_subrev_u32_e32 v2, s16, v1
	v_cmp_le_u32_e32 vcc, s16, v1
	v_cndmask_b32_e32 v2, v1, v2, vcc
.LBB18_59:
	s_add_u32 s13, s8, s18
	s_addc_u32 s16, s9, s19
	s_lshl_b64 s[0:1], s[6:7], 2
	s_add_u32 s17, s10, s0
	s_addc_u32 s18, s11, s1
	v_mov_b32_e32 v1, s5
	v_sub_co_u32_e32 v14, vcc, s4, v2
	v_subb_co_u32_e32 v15, vcc, v1, v3, vcc
	s_mul_i32 s19, s47, 3
	s_lshl_b32 s20, s47, 1
	s_mov_b64 s[0:1], 0
	v_mov_b32_e32 v1, 0
	v_mov_b32_e32 v16, s44
	;; [unrolled: 1-line block ×5, first 2 shown]
	s_mov_b32 s21, 0x43f00000
	s_mov_b32 s22, 0x3c7fffff
	;; [unrolled: 1-line block ×4, first 2 shown]
	s_movk_i32 s25, 0x80
	s_movk_i32 s26, 0xff
	s_branch .LBB18_65
.LBB18_60:                              ;   in Loop: Header=BB18_65 Depth=1
	s_or_b64 exec, exec, s[10:11]
.LBB18_61:                              ;   in Loop: Header=BB18_65 Depth=1
	s_or_b64 exec, exec, s[8:9]
	v_and_b32_sdwa v12, v8, s25 dst_sel:DWORD dst_unused:UNUSED_PAD src0_sel:BYTE_3 src1_sel:DWORD
	v_lshlrev_b64 v[8:9], 2, v[0:1]
	v_and_b32_sdwa v3, v3, s25 dst_sel:DWORD dst_unused:UNUSED_PAD src0_sel:BYTE_3 src1_sel:DWORD
	v_mov_b32_e32 v0, s16
	v_add_co_u32_e32 v8, vcc, s13, v8
	v_and_or_b32 v4, v4, s26, v12
	v_lshrrev_b32_e32 v6, 24, v6
	v_addc_co_u32_e32 v9, vcc, v0, v9, vcc
	v_lshlrev_b32_e32 v0, 24, v7
	v_and_b32_e32 v5, 0x80000000, v5
	v_lshlrev_b32_e32 v4, 16, v4
	v_and_or_b32 v3, v11, s26, v3
	v_and_b32_e32 v2, 0xff, v2
	v_or3_b32 v0, v5, v0, v4
	v_lshlrev_b32_e32 v3, 8, v3
	v_and_or_b32 v2, v6, s25, v2
	s_add_i32 s8, s47, s47
	v_or3_b32 v0, v0, v3, v2
	s_add_i32 s8, s8, s47
	global_store_dword v[8:9], v0, off
	v_add_u32_e32 v0, s8, v10
	v_cmp_le_u32_e32 vcc, s12, v0
	s_orn2_b64 s[8:9], vcc, exec
.LBB18_62:                              ;   in Loop: Header=BB18_65 Depth=1
	s_or_b64 exec, exec, s[6:7]
	s_orn2_b64 s[6:7], s[8:9], exec
.LBB18_63:                              ;   in Loop: Header=BB18_65 Depth=1
	s_or_b64 exec, exec, s[4:5]
	s_orn2_b64 s[4:5], s[6:7], exec
.LBB18_64:                              ;   in Loop: Header=BB18_65 Depth=1
	s_or_b64 exec, exec, s[2:3]
	s_and_b64 s[2:3], exec, s[4:5]
	s_or_b64 s[0:1], s[2:3], s[0:1]
	s_andn2_b64 exec, exec, s[0:1]
	s_cbranch_execz .LBB18_163
.LBB18_65:                              ; =>This Inner Loop Header: Depth=1
	v_lshlrev_b64 v[6:7], 4, v[0:1]
	v_add_co_u32_e32 v10, vcc, s33, v6
	v_addc_co_u32_e32 v11, vcc, v16, v7, vcc
	v_add_co_u32_e32 v2, vcc, s14, v6
	v_addc_co_u32_e32 v3, vcc, v17, v7, vcc
	v_add_co_u32_e32 v12, vcc, s45, v6
	v_bfe_u32 v25, v0, 5, 25
	global_load_dwordx4 v[2:5], v[2:3], off
	v_addc_co_u32_e32 v13, vcc, v18, v7, vcc
	global_load_dwordx4 v[6:9], v[10:11], off
	global_load_dwordx4 v[20:23], v[12:13], off
	v_mad_u64_u32 v[10:11], s[2:3], v14, v25, 0
	v_mov_b32_e32 v24, v11
	v_mad_u64_u32 v[24:25], s[2:3], v15, v25, v[24:25]
	v_mov_b32_e32 v11, v24
	v_lshlrev_b64 v[10:11], 2, v[10:11]
	v_add_co_u32_e32 v10, vcc, s17, v10
	v_addc_co_u32_e32 v11, vcc, v19, v11, vcc
	global_load_dword v11, v[10:11], off
	v_mov_b32_e32 v10, 0x7f
	s_waitcnt vmcnt(1)
	v_pk_add_f32 v[6:7], v[6:7], v[20:21]
	v_mul_f32_e32 v20, v36, v6
	v_mul_f32_e32 v2, v2, v20
	v_pk_add_f32 v[8:9], v[8:9], v[22:23]
	global_store_dwordx4 v[12:13], v[6:9], off
	s_waitcnt vmcnt(1)
	v_div_scale_f32 v20, s[2:3], v11, v11, v2
	v_rcp_f32_e32 v21, v20
	v_div_scale_f32 v6, vcc, v2, v11, v2
	v_fma_f32 v12, -v20, v21, 1.0
	v_fmac_f32_e32 v21, v12, v21
	v_mul_f32_e32 v12, v6, v21
	v_fma_f32 v13, -v20, v12, v6
	v_fmac_f32_e32 v12, v13, v21
	v_fma_f32 v6, -v20, v12, v6
	v_div_fmas_f32 v6, v6, v21, v12
	v_div_fixup_f32 v2, v6, v11, v2
	v_min_f32_e32 v2, 0x43e00000, v2
	v_max_f32_e32 v6, 0xc3e00000, v2
	v_and_b32_e32 v12, 0x7fffffff, v6
	v_cmp_gt_u32_e32 vcc, s21, v12
	v_mov_b32_e32 v2, 0x7f
	s_and_saveexec_b64 s[2:3], vcc
	s_cbranch_execz .LBB18_71
; %bb.66:                               ;   in Loop: Header=BB18_65 Depth=1
	v_cmp_lt_u32_e32 vcc, s22, v12
                                        ; implicit-def: $vgpr2
	s_and_saveexec_b64 s[4:5], vcc
	s_xor_b64 s[4:5], exec, s[4:5]
; %bb.67:                               ;   in Loop: Header=BB18_65 Depth=1
	v_bfe_u32 v2, v6, 20, 1
	v_add3_u32 v2, v6, v2, s23
	v_lshrrev_b32_e32 v2, 20, v2
; %bb.68:                               ;   in Loop: Header=BB18_65 Depth=1
	s_andn2_saveexec_b64 s[4:5], s[4:5]
; %bb.69:                               ;   in Loop: Header=BB18_65 Depth=1
	v_add_f32_e64 v2, |v6|, s24
; %bb.70:                               ;   in Loop: Header=BB18_65 Depth=1
	s_or_b64 exec, exec, s[4:5]
.LBB18_71:                              ;   in Loop: Header=BB18_65 Depth=1
	s_or_b64 exec, exec, s[2:3]
	v_mul_f32_e32 v7, v36, v7
	v_mul_f32_e32 v3, v3, v7
	v_div_scale_f32 v7, s[2:3], v11, v11, v3
	v_rcp_f32_e32 v12, v7
	v_div_scale_f32 v13, vcc, v3, v11, v3
	v_fma_f32 v20, -v7, v12, 1.0
	v_fmac_f32_e32 v12, v20, v12
	v_mul_f32_e32 v20, v13, v12
	v_fma_f32 v21, -v7, v20, v13
	v_fmac_f32_e32 v20, v21, v12
	v_fma_f32 v7, -v7, v20, v13
	v_div_fmas_f32 v7, v7, v12, v20
	v_div_fixup_f32 v3, v7, v11, v3
	v_min_f32_e32 v3, 0x43e00000, v3
	v_max_f32_e32 v3, 0xc3e00000, v3
	v_and_b32_e32 v7, 0x7fffffff, v3
	v_cmp_gt_u32_e32 vcc, s21, v7
	s_and_saveexec_b64 s[2:3], vcc
	s_cbranch_execz .LBB18_77
; %bb.72:                               ;   in Loop: Header=BB18_65 Depth=1
	v_cmp_lt_u32_e32 vcc, s22, v7
                                        ; implicit-def: $vgpr10
	s_and_saveexec_b64 s[4:5], vcc
	s_xor_b64 s[4:5], exec, s[4:5]
; %bb.73:                               ;   in Loop: Header=BB18_65 Depth=1
	v_bfe_u32 v7, v3, 20, 1
	v_add3_u32 v7, v3, v7, s23
	v_lshrrev_b32_e32 v10, 20, v7
; %bb.74:                               ;   in Loop: Header=BB18_65 Depth=1
	s_andn2_saveexec_b64 s[4:5], s[4:5]
; %bb.75:                               ;   in Loop: Header=BB18_65 Depth=1
	v_add_f32_e64 v10, |v3|, s24
; %bb.76:                               ;   in Loop: Header=BB18_65 Depth=1
	s_or_b64 exec, exec, s[4:5]
.LBB18_77:                              ;   in Loop: Header=BB18_65 Depth=1
	s_or_b64 exec, exec, s[2:3]
	v_mul_f32_e32 v7, v36, v8
	v_mul_f32_e32 v4, v4, v7
	v_div_scale_f32 v7, s[2:3], v11, v11, v4
	v_rcp_f32_e32 v8, v7
	v_div_scale_f32 v12, vcc, v4, v11, v4
	v_fma_f32 v13, -v7, v8, 1.0
	v_fmac_f32_e32 v8, v13, v8
	v_mul_f32_e32 v13, v12, v8
	v_fma_f32 v20, -v7, v13, v12
	v_fmac_f32_e32 v13, v20, v8
	v_fma_f32 v7, -v7, v13, v12
	v_div_fmas_f32 v7, v7, v8, v13
	v_div_fixup_f32 v4, v7, v11, v4
	v_min_f32_e32 v4, 0x43e00000, v4
	v_max_f32_e32 v8, 0xc3e00000, v4
	v_and_b32_e32 v12, 0x7fffffff, v8
	v_cmp_gt_u32_e32 vcc, s21, v12
	v_mov_b32_e32 v7, 0x7f
	v_mov_b32_e32 v4, 0x7f
	s_and_saveexec_b64 s[2:3], vcc
	s_cbranch_execz .LBB18_83
; %bb.78:                               ;   in Loop: Header=BB18_65 Depth=1
	v_cmp_lt_u32_e32 vcc, s22, v12
                                        ; implicit-def: $vgpr4
	s_and_saveexec_b64 s[4:5], vcc
	s_xor_b64 s[4:5], exec, s[4:5]
; %bb.79:                               ;   in Loop: Header=BB18_65 Depth=1
	v_bfe_u32 v4, v8, 20, 1
	v_add3_u32 v4, v8, v4, s23
	v_lshrrev_b32_e32 v4, 20, v4
; %bb.80:                               ;   in Loop: Header=BB18_65 Depth=1
	s_andn2_saveexec_b64 s[4:5], s[4:5]
; %bb.81:                               ;   in Loop: Header=BB18_65 Depth=1
	v_add_f32_e64 v4, |v8|, s24
; %bb.82:                               ;   in Loop: Header=BB18_65 Depth=1
	s_or_b64 exec, exec, s[4:5]
.LBB18_83:                              ;   in Loop: Header=BB18_65 Depth=1
	s_or_b64 exec, exec, s[2:3]
	v_mul_f32_e32 v9, v36, v9
	v_mul_f32_e32 v5, v5, v9
	v_div_scale_f32 v9, s[2:3], v11, v11, v5
	v_rcp_f32_e32 v12, v9
	v_div_scale_f32 v13, vcc, v5, v11, v5
	v_fma_f32 v20, -v9, v12, 1.0
	v_fmac_f32_e32 v12, v20, v12
	v_mul_f32_e32 v20, v13, v12
	v_fma_f32 v21, -v9, v20, v13
	v_fmac_f32_e32 v20, v21, v12
	v_fma_f32 v9, -v9, v20, v13
	v_div_fmas_f32 v9, v9, v12, v20
	v_div_fixup_f32 v5, v9, v11, v5
	v_min_f32_e32 v5, 0x43e00000, v5
	v_max_f32_e32 v5, 0xc3e00000, v5
	v_and_b32_e32 v9, 0x7fffffff, v5
	v_cmp_gt_u32_e32 vcc, s21, v9
	s_and_saveexec_b64 s[2:3], vcc
	s_cbranch_execz .LBB18_89
; %bb.84:                               ;   in Loop: Header=BB18_65 Depth=1
	v_cmp_lt_u32_e32 vcc, s22, v9
                                        ; implicit-def: $vgpr7
	s_and_saveexec_b64 s[4:5], vcc
	s_xor_b64 s[4:5], exec, s[4:5]
; %bb.85:                               ;   in Loop: Header=BB18_65 Depth=1
	v_bfe_u32 v7, v5, 20, 1
	v_add3_u32 v7, v5, v7, s23
	v_lshrrev_b32_e32 v7, 20, v7
; %bb.86:                               ;   in Loop: Header=BB18_65 Depth=1
	s_andn2_saveexec_b64 s[4:5], s[4:5]
; %bb.87:                               ;   in Loop: Header=BB18_65 Depth=1
	v_add_f32_e64 v7, |v5|, s24
; %bb.88:                               ;   in Loop: Header=BB18_65 Depth=1
	s_or_b64 exec, exec, s[4:5]
.LBB18_89:                              ;   in Loop: Header=BB18_65 Depth=1
	s_or_b64 exec, exec, s[2:3]
	v_and_b32_sdwa v11, v8, s25 dst_sel:DWORD dst_unused:UNUSED_PAD src0_sel:BYTE_3 src1_sel:DWORD
	v_and_b32_sdwa v3, v3, s25 dst_sel:DWORD dst_unused:UNUSED_PAD src0_sel:BYTE_3 src1_sel:DWORD
	v_lshlrev_b64 v[8:9], 2, v[0:1]
	v_and_or_b32 v4, v4, s26, v11
	v_lshrrev_b32_e32 v6, 24, v6
	v_mov_b32_e32 v12, s16
	v_add_co_u32_e32 v8, vcc, s13, v8
	v_lshlrev_b32_e32 v7, 24, v7
	v_and_b32_e32 v5, 0x80000000, v5
	v_lshlrev_b32_e32 v4, 16, v4
	v_and_or_b32 v3, v10, s26, v3
	v_and_b32_e32 v2, 0xff, v2
	v_addc_co_u32_e32 v9, vcc, v12, v9, vcc
	v_or3_b32 v4, v5, v7, v4
	v_lshlrev_b32_e32 v3, 8, v3
	v_and_or_b32 v2, v6, s25, v2
	v_add_u32_e32 v10, s47, v0
	v_or3_b32 v2, v4, v3, v2
	v_cmp_gt_u32_e32 vcc, s12, v10
	s_mov_b64 s[4:5], -1
	global_store_dword v[8:9], v2, off
	s_and_saveexec_b64 s[2:3], vcc
	s_cbranch_execz .LBB18_64
; %bb.90:                               ;   in Loop: Header=BB18_65 Depth=1
	v_mov_b32_e32 v11, v1
	v_lshlrev_b64 v[6:7], 4, v[10:11]
	v_mov_b32_e32 v2, s44
	v_add_co_u32_e32 v12, vcc, s33, v6
	v_addc_co_u32_e32 v13, vcc, v2, v7, vcc
	v_mov_b32_e32 v3, s15
	v_add_co_u32_e32 v2, vcc, s14, v6
	v_addc_co_u32_e32 v3, vcc, v3, v7, vcc
	v_mov_b32_e32 v8, s46
	v_add_co_u32_e32 v24, vcc, s45, v6
	v_bfe_u32 v27, v10, 5, 25
	global_load_dwordx4 v[2:5], v[2:3], off
	v_addc_co_u32_e32 v25, vcc, v8, v7, vcc
	global_load_dwordx4 v[6:9], v[12:13], off
	global_load_dwordx4 v[20:23], v[24:25], off
	v_mad_u64_u32 v[12:13], s[4:5], v14, v27, 0
	v_mov_b32_e32 v26, v13
	v_mad_u64_u32 v[26:27], s[4:5], v15, v27, v[26:27]
	v_mov_b32_e32 v13, v26
	v_lshlrev_b64 v[12:13], 2, v[12:13]
	v_mov_b32_e32 v26, s18
	v_add_co_u32_e32 v12, vcc, s17, v12
	v_addc_co_u32_e32 v13, vcc, v26, v13, vcc
	global_load_dword v13, v[12:13], off
	v_mov_b32_e32 v12, 0x7f
	s_waitcnt vmcnt(1)
	v_pk_add_f32 v[6:7], v[6:7], v[20:21]
	v_mul_f32_e32 v20, v36, v6
	v_mul_f32_e32 v2, v2, v20
	v_pk_add_f32 v[8:9], v[8:9], v[22:23]
	global_store_dwordx4 v[24:25], v[6:9], off
	s_waitcnt vmcnt(1)
	v_div_scale_f32 v20, s[4:5], v13, v13, v2
	v_rcp_f32_e32 v21, v20
	v_div_scale_f32 v6, vcc, v2, v13, v2
	v_fma_f32 v22, -v20, v21, 1.0
	v_fmac_f32_e32 v21, v22, v21
	v_mul_f32_e32 v22, v6, v21
	v_fma_f32 v23, -v20, v22, v6
	v_fmac_f32_e32 v22, v23, v21
	v_fma_f32 v6, -v20, v22, v6
	v_div_fmas_f32 v6, v6, v21, v22
	v_div_fixup_f32 v2, v6, v13, v2
	v_min_f32_e32 v2, 0x43e00000, v2
	v_max_f32_e32 v6, 0xc3e00000, v2
	v_and_b32_e32 v20, 0x7fffffff, v6
	v_cmp_gt_u32_e32 vcc, s21, v20
	v_mov_b32_e32 v2, 0x7f
	s_and_saveexec_b64 s[4:5], vcc
	s_cbranch_execz .LBB18_96
; %bb.91:                               ;   in Loop: Header=BB18_65 Depth=1
	v_cmp_lt_u32_e32 vcc, s22, v20
                                        ; implicit-def: $vgpr2
	s_and_saveexec_b64 s[6:7], vcc
	s_xor_b64 s[6:7], exec, s[6:7]
; %bb.92:                               ;   in Loop: Header=BB18_65 Depth=1
	v_bfe_u32 v2, v6, 20, 1
	v_add3_u32 v2, v6, v2, s23
	v_lshrrev_b32_e32 v2, 20, v2
; %bb.93:                               ;   in Loop: Header=BB18_65 Depth=1
	s_andn2_saveexec_b64 s[6:7], s[6:7]
; %bb.94:                               ;   in Loop: Header=BB18_65 Depth=1
	v_add_f32_e64 v2, |v6|, s24
; %bb.95:                               ;   in Loop: Header=BB18_65 Depth=1
	s_or_b64 exec, exec, s[6:7]
.LBB18_96:                              ;   in Loop: Header=BB18_65 Depth=1
	s_or_b64 exec, exec, s[4:5]
	v_mul_f32_e32 v7, v36, v7
	v_mul_f32_e32 v3, v3, v7
	v_div_scale_f32 v7, s[4:5], v13, v13, v3
	v_rcp_f32_e32 v20, v7
	v_div_scale_f32 v21, vcc, v3, v13, v3
	v_fma_f32 v22, -v7, v20, 1.0
	v_fmac_f32_e32 v20, v22, v20
	v_mul_f32_e32 v22, v21, v20
	v_fma_f32 v23, -v7, v22, v21
	v_fmac_f32_e32 v22, v23, v20
	v_fma_f32 v7, -v7, v22, v21
	v_div_fmas_f32 v7, v7, v20, v22
	v_div_fixup_f32 v3, v7, v13, v3
	v_min_f32_e32 v3, 0x43e00000, v3
	v_max_f32_e32 v3, 0xc3e00000, v3
	v_and_b32_e32 v7, 0x7fffffff, v3
	v_cmp_gt_u32_e32 vcc, s21, v7
	s_and_saveexec_b64 s[4:5], vcc
	s_cbranch_execz .LBB18_102
; %bb.97:                               ;   in Loop: Header=BB18_65 Depth=1
	v_cmp_lt_u32_e32 vcc, s22, v7
                                        ; implicit-def: $vgpr12
	s_and_saveexec_b64 s[6:7], vcc
	s_xor_b64 s[6:7], exec, s[6:7]
; %bb.98:                               ;   in Loop: Header=BB18_65 Depth=1
	v_bfe_u32 v7, v3, 20, 1
	v_add3_u32 v7, v3, v7, s23
	v_lshrrev_b32_e32 v12, 20, v7
; %bb.99:                               ;   in Loop: Header=BB18_65 Depth=1
	s_andn2_saveexec_b64 s[6:7], s[6:7]
; %bb.100:                              ;   in Loop: Header=BB18_65 Depth=1
	v_add_f32_e64 v12, |v3|, s24
; %bb.101:                              ;   in Loop: Header=BB18_65 Depth=1
	s_or_b64 exec, exec, s[6:7]
.LBB18_102:                             ;   in Loop: Header=BB18_65 Depth=1
	s_or_b64 exec, exec, s[4:5]
	v_mul_f32_e32 v7, v36, v8
	v_mul_f32_e32 v4, v4, v7
	v_div_scale_f32 v7, s[4:5], v13, v13, v4
	v_rcp_f32_e32 v8, v7
	v_div_scale_f32 v20, vcc, v4, v13, v4
	v_fma_f32 v21, -v7, v8, 1.0
	v_fmac_f32_e32 v8, v21, v8
	v_mul_f32_e32 v21, v20, v8
	v_fma_f32 v22, -v7, v21, v20
	v_fmac_f32_e32 v21, v22, v8
	v_fma_f32 v7, -v7, v21, v20
	v_div_fmas_f32 v7, v7, v8, v21
	v_div_fixup_f32 v4, v7, v13, v4
	v_min_f32_e32 v4, 0x43e00000, v4
	v_max_f32_e32 v8, 0xc3e00000, v4
	v_and_b32_e32 v20, 0x7fffffff, v8
	v_cmp_gt_u32_e32 vcc, s21, v20
	v_mov_b32_e32 v7, 0x7f
	v_mov_b32_e32 v4, 0x7f
	s_and_saveexec_b64 s[4:5], vcc
	s_cbranch_execz .LBB18_108
; %bb.103:                              ;   in Loop: Header=BB18_65 Depth=1
	v_cmp_lt_u32_e32 vcc, s22, v20
                                        ; implicit-def: $vgpr4
	s_and_saveexec_b64 s[6:7], vcc
	s_xor_b64 s[6:7], exec, s[6:7]
; %bb.104:                              ;   in Loop: Header=BB18_65 Depth=1
	v_bfe_u32 v4, v8, 20, 1
	v_add3_u32 v4, v8, v4, s23
	v_lshrrev_b32_e32 v4, 20, v4
; %bb.105:                              ;   in Loop: Header=BB18_65 Depth=1
	s_andn2_saveexec_b64 s[6:7], s[6:7]
; %bb.106:                              ;   in Loop: Header=BB18_65 Depth=1
	v_add_f32_e64 v4, |v8|, s24
; %bb.107:                              ;   in Loop: Header=BB18_65 Depth=1
	s_or_b64 exec, exec, s[6:7]
.LBB18_108:                             ;   in Loop: Header=BB18_65 Depth=1
	s_or_b64 exec, exec, s[4:5]
	v_mul_f32_e32 v9, v36, v9
	v_mul_f32_e32 v5, v5, v9
	v_div_scale_f32 v9, s[4:5], v13, v13, v5
	v_rcp_f32_e32 v20, v9
	v_div_scale_f32 v21, vcc, v5, v13, v5
	v_fma_f32 v22, -v9, v20, 1.0
	v_fmac_f32_e32 v20, v22, v20
	v_mul_f32_e32 v22, v21, v20
	v_fma_f32 v23, -v9, v22, v21
	v_fmac_f32_e32 v22, v23, v20
	v_fma_f32 v9, -v9, v22, v21
	v_div_fmas_f32 v9, v9, v20, v22
	v_div_fixup_f32 v5, v9, v13, v5
	v_min_f32_e32 v5, 0x43e00000, v5
	v_max_f32_e32 v5, 0xc3e00000, v5
	v_and_b32_e32 v9, 0x7fffffff, v5
	v_cmp_gt_u32_e32 vcc, s21, v9
	s_and_saveexec_b64 s[4:5], vcc
	s_cbranch_execz .LBB18_114
; %bb.109:                              ;   in Loop: Header=BB18_65 Depth=1
	v_cmp_lt_u32_e32 vcc, s22, v9
                                        ; implicit-def: $vgpr7
	s_and_saveexec_b64 s[6:7], vcc
	s_xor_b64 s[6:7], exec, s[6:7]
; %bb.110:                              ;   in Loop: Header=BB18_65 Depth=1
	v_bfe_u32 v7, v5, 20, 1
	v_add3_u32 v7, v5, v7, s23
	v_lshrrev_b32_e32 v7, 20, v7
; %bb.111:                              ;   in Loop: Header=BB18_65 Depth=1
	s_andn2_saveexec_b64 s[6:7], s[6:7]
; %bb.112:                              ;   in Loop: Header=BB18_65 Depth=1
	v_add_f32_e64 v7, |v5|, s24
; %bb.113:                              ;   in Loop: Header=BB18_65 Depth=1
	s_or_b64 exec, exec, s[6:7]
.LBB18_114:                             ;   in Loop: Header=BB18_65 Depth=1
	s_or_b64 exec, exec, s[4:5]
	v_and_b32_sdwa v13, v8, s25 dst_sel:DWORD dst_unused:UNUSED_PAD src0_sel:BYTE_3 src1_sel:DWORD
	v_and_b32_sdwa v3, v3, s25 dst_sel:DWORD dst_unused:UNUSED_PAD src0_sel:BYTE_3 src1_sel:DWORD
	v_lshlrev_b64 v[8:9], 2, v[10:11]
	v_and_or_b32 v4, v4, s26, v13
	v_lshrrev_b32_e32 v6, 24, v6
	v_mov_b32_e32 v11, s16
	v_add_co_u32_e32 v8, vcc, s13, v8
	v_lshlrev_b32_e32 v7, 24, v7
	v_and_b32_e32 v5, 0x80000000, v5
	v_lshlrev_b32_e32 v4, 16, v4
	v_and_or_b32 v3, v12, s26, v3
	v_and_b32_e32 v2, 0xff, v2
	v_addc_co_u32_e32 v9, vcc, v11, v9, vcc
	v_or3_b32 v4, v5, v7, v4
	v_lshlrev_b32_e32 v3, 8, v3
	v_and_or_b32 v2, v6, s25, v2
	v_add_u32_e32 v12, s20, v0
	v_or3_b32 v2, v4, v3, v2
	v_cmp_gt_u32_e32 vcc, s12, v12
	s_mov_b64 s[6:7], -1
	global_store_dword v[8:9], v2, off
	s_and_saveexec_b64 s[4:5], vcc
	s_cbranch_execz .LBB18_63
; %bb.115:                              ;   in Loop: Header=BB18_65 Depth=1
	v_mov_b32_e32 v13, v1
	v_lshlrev_b64 v[6:7], 4, v[12:13]
	v_mov_b32_e32 v2, s44
	v_add_co_u32_e32 v20, vcc, s33, v6
	v_addc_co_u32_e32 v21, vcc, v2, v7, vcc
	v_mov_b32_e32 v3, s15
	v_add_co_u32_e32 v2, vcc, s14, v6
	v_addc_co_u32_e32 v3, vcc, v3, v7, vcc
	v_mov_b32_e32 v8, s46
	v_add_co_u32_e32 v26, vcc, s45, v6
	v_bfe_u32 v11, v12, 5, 25
	global_load_dwordx4 v[2:5], v[2:3], off
	v_addc_co_u32_e32 v27, vcc, v8, v7, vcc
	global_load_dwordx4 v[6:9], v[20:21], off
	global_load_dwordx4 v[22:25], v[26:27], off
	v_mad_u64_u32 v[20:21], s[6:7], v14, v11, 0
	v_mov_b32_e32 v28, v21
	v_mad_u64_u32 v[28:29], s[6:7], v15, v11, v[28:29]
	v_mov_b32_e32 v21, v28
	v_lshlrev_b64 v[20:21], 2, v[20:21]
	v_mov_b32_e32 v11, s18
	v_add_co_u32_e32 v20, vcc, s17, v20
	v_addc_co_u32_e32 v21, vcc, v11, v21, vcc
	global_load_dword v20, v[20:21], off
	v_mov_b32_e32 v11, 0x7f
	s_waitcnt vmcnt(1)
	v_pk_add_f32 v[6:7], v[6:7], v[22:23]
	v_mul_f32_e32 v21, v36, v6
	v_mul_f32_e32 v2, v2, v21
	v_pk_add_f32 v[8:9], v[8:9], v[24:25]
	global_store_dwordx4 v[26:27], v[6:9], off
	s_waitcnt vmcnt(1)
	v_div_scale_f32 v21, s[6:7], v20, v20, v2
	v_rcp_f32_e32 v22, v21
	v_div_scale_f32 v6, vcc, v2, v20, v2
	v_fma_f32 v23, -v21, v22, 1.0
	v_fmac_f32_e32 v22, v23, v22
	v_mul_f32_e32 v23, v6, v22
	v_fma_f32 v24, -v21, v23, v6
	v_fmac_f32_e32 v23, v24, v22
	v_fma_f32 v6, -v21, v23, v6
	v_div_fmas_f32 v6, v6, v22, v23
	v_div_fixup_f32 v2, v6, v20, v2
	v_min_f32_e32 v2, 0x43e00000, v2
	v_max_f32_e32 v6, 0xc3e00000, v2
	v_and_b32_e32 v21, 0x7fffffff, v6
	v_cmp_gt_u32_e32 vcc, s21, v21
	v_mov_b32_e32 v2, 0x7f
	s_and_saveexec_b64 s[6:7], vcc
	s_cbranch_execz .LBB18_121
; %bb.116:                              ;   in Loop: Header=BB18_65 Depth=1
	v_cmp_lt_u32_e32 vcc, s22, v21
                                        ; implicit-def: $vgpr2
	s_and_saveexec_b64 s[8:9], vcc
	s_xor_b64 s[8:9], exec, s[8:9]
; %bb.117:                              ;   in Loop: Header=BB18_65 Depth=1
	v_bfe_u32 v2, v6, 20, 1
	v_add3_u32 v2, v6, v2, s23
	v_lshrrev_b32_e32 v2, 20, v2
; %bb.118:                              ;   in Loop: Header=BB18_65 Depth=1
	s_andn2_saveexec_b64 s[8:9], s[8:9]
; %bb.119:                              ;   in Loop: Header=BB18_65 Depth=1
	v_add_f32_e64 v2, |v6|, s24
; %bb.120:                              ;   in Loop: Header=BB18_65 Depth=1
	s_or_b64 exec, exec, s[8:9]
.LBB18_121:                             ;   in Loop: Header=BB18_65 Depth=1
	s_or_b64 exec, exec, s[6:7]
	v_mul_f32_e32 v7, v36, v7
	v_mul_f32_e32 v3, v3, v7
	v_div_scale_f32 v7, s[6:7], v20, v20, v3
	v_rcp_f32_e32 v21, v7
	v_div_scale_f32 v22, vcc, v3, v20, v3
	v_fma_f32 v23, -v7, v21, 1.0
	v_fmac_f32_e32 v21, v23, v21
	v_mul_f32_e32 v23, v22, v21
	v_fma_f32 v24, -v7, v23, v22
	v_fmac_f32_e32 v23, v24, v21
	v_fma_f32 v7, -v7, v23, v22
	v_div_fmas_f32 v7, v7, v21, v23
	v_div_fixup_f32 v3, v7, v20, v3
	v_min_f32_e32 v3, 0x43e00000, v3
	v_max_f32_e32 v3, 0xc3e00000, v3
	v_and_b32_e32 v7, 0x7fffffff, v3
	v_cmp_gt_u32_e32 vcc, s21, v7
	s_and_saveexec_b64 s[6:7], vcc
	s_cbranch_execz .LBB18_127
; %bb.122:                              ;   in Loop: Header=BB18_65 Depth=1
	v_cmp_lt_u32_e32 vcc, s22, v7
                                        ; implicit-def: $vgpr11
	s_and_saveexec_b64 s[8:9], vcc
	s_xor_b64 s[8:9], exec, s[8:9]
; %bb.123:                              ;   in Loop: Header=BB18_65 Depth=1
	v_bfe_u32 v7, v3, 20, 1
	v_add3_u32 v7, v3, v7, s23
	v_lshrrev_b32_e32 v11, 20, v7
; %bb.124:                              ;   in Loop: Header=BB18_65 Depth=1
	s_andn2_saveexec_b64 s[8:9], s[8:9]
; %bb.125:                              ;   in Loop: Header=BB18_65 Depth=1
	v_add_f32_e64 v11, |v3|, s24
; %bb.126:                              ;   in Loop: Header=BB18_65 Depth=1
	s_or_b64 exec, exec, s[8:9]
.LBB18_127:                             ;   in Loop: Header=BB18_65 Depth=1
	s_or_b64 exec, exec, s[6:7]
	v_mul_f32_e32 v7, v36, v8
	v_mul_f32_e32 v4, v4, v7
	v_div_scale_f32 v7, s[6:7], v20, v20, v4
	v_rcp_f32_e32 v8, v7
	v_div_scale_f32 v21, vcc, v4, v20, v4
	v_fma_f32 v22, -v7, v8, 1.0
	v_fmac_f32_e32 v8, v22, v8
	v_mul_f32_e32 v22, v21, v8
	v_fma_f32 v23, -v7, v22, v21
	v_fmac_f32_e32 v22, v23, v8
	v_fma_f32 v7, -v7, v22, v21
	v_div_fmas_f32 v7, v7, v8, v22
	v_div_fixup_f32 v4, v7, v20, v4
	v_min_f32_e32 v4, 0x43e00000, v4
	v_max_f32_e32 v8, 0xc3e00000, v4
	v_and_b32_e32 v21, 0x7fffffff, v8
	v_cmp_gt_u32_e32 vcc, s21, v21
	v_mov_b32_e32 v7, 0x7f
	v_mov_b32_e32 v4, 0x7f
	s_and_saveexec_b64 s[6:7], vcc
	s_cbranch_execz .LBB18_133
; %bb.128:                              ;   in Loop: Header=BB18_65 Depth=1
	v_cmp_lt_u32_e32 vcc, s22, v21
                                        ; implicit-def: $vgpr4
	s_and_saveexec_b64 s[8:9], vcc
	s_xor_b64 s[8:9], exec, s[8:9]
; %bb.129:                              ;   in Loop: Header=BB18_65 Depth=1
	v_bfe_u32 v4, v8, 20, 1
	v_add3_u32 v4, v8, v4, s23
	v_lshrrev_b32_e32 v4, 20, v4
; %bb.130:                              ;   in Loop: Header=BB18_65 Depth=1
	s_andn2_saveexec_b64 s[8:9], s[8:9]
; %bb.131:                              ;   in Loop: Header=BB18_65 Depth=1
	v_add_f32_e64 v4, |v8|, s24
; %bb.132:                              ;   in Loop: Header=BB18_65 Depth=1
	s_or_b64 exec, exec, s[8:9]
.LBB18_133:                             ;   in Loop: Header=BB18_65 Depth=1
	s_or_b64 exec, exec, s[6:7]
	v_mul_f32_e32 v9, v36, v9
	v_mul_f32_e32 v5, v5, v9
	v_div_scale_f32 v9, s[6:7], v20, v20, v5
	v_rcp_f32_e32 v21, v9
	v_div_scale_f32 v22, vcc, v5, v20, v5
	v_fma_f32 v23, -v9, v21, 1.0
	v_fmac_f32_e32 v21, v23, v21
	v_mul_f32_e32 v23, v22, v21
	v_fma_f32 v24, -v9, v23, v22
	v_fmac_f32_e32 v23, v24, v21
	v_fma_f32 v9, -v9, v23, v22
	v_div_fmas_f32 v9, v9, v21, v23
	v_div_fixup_f32 v5, v9, v20, v5
	v_min_f32_e32 v5, 0x43e00000, v5
	v_max_f32_e32 v5, 0xc3e00000, v5
	v_and_b32_e32 v9, 0x7fffffff, v5
	v_cmp_gt_u32_e32 vcc, s21, v9
	s_and_saveexec_b64 s[6:7], vcc
	s_cbranch_execz .LBB18_139
; %bb.134:                              ;   in Loop: Header=BB18_65 Depth=1
	v_cmp_lt_u32_e32 vcc, s22, v9
                                        ; implicit-def: $vgpr7
	s_and_saveexec_b64 s[8:9], vcc
	s_xor_b64 s[8:9], exec, s[8:9]
; %bb.135:                              ;   in Loop: Header=BB18_65 Depth=1
	v_bfe_u32 v7, v5, 20, 1
	v_add3_u32 v7, v5, v7, s23
	v_lshrrev_b32_e32 v7, 20, v7
; %bb.136:                              ;   in Loop: Header=BB18_65 Depth=1
	s_andn2_saveexec_b64 s[8:9], s[8:9]
; %bb.137:                              ;   in Loop: Header=BB18_65 Depth=1
	v_add_f32_e64 v7, |v5|, s24
; %bb.138:                              ;   in Loop: Header=BB18_65 Depth=1
	s_or_b64 exec, exec, s[8:9]
.LBB18_139:                             ;   in Loop: Header=BB18_65 Depth=1
	s_or_b64 exec, exec, s[6:7]
	v_and_b32_sdwa v20, v8, s25 dst_sel:DWORD dst_unused:UNUSED_PAD src0_sel:BYTE_3 src1_sel:DWORD
	v_and_b32_sdwa v3, v3, s25 dst_sel:DWORD dst_unused:UNUSED_PAD src0_sel:BYTE_3 src1_sel:DWORD
	v_lshlrev_b64 v[8:9], 2, v[12:13]
	v_and_or_b32 v4, v4, s26, v20
	v_lshrrev_b32_e32 v6, 24, v6
	v_mov_b32_e32 v12, s16
	v_add_co_u32_e32 v8, vcc, s13, v8
	v_lshlrev_b32_e32 v7, 24, v7
	v_and_b32_e32 v5, 0x80000000, v5
	v_lshlrev_b32_e32 v4, 16, v4
	v_and_or_b32 v3, v11, s26, v3
	v_and_b32_e32 v2, 0xff, v2
	v_addc_co_u32_e32 v9, vcc, v12, v9, vcc
	v_or3_b32 v4, v5, v7, v4
	v_lshlrev_b32_e32 v3, 8, v3
	v_and_or_b32 v2, v6, s25, v2
	v_add_u32_e32 v0, s19, v0
	v_or3_b32 v2, v4, v3, v2
	v_cmp_gt_u32_e32 vcc, s12, v0
	s_mov_b64 s[8:9], -1
	global_store_dword v[8:9], v2, off
	s_and_saveexec_b64 s[6:7], vcc
	s_cbranch_execz .LBB18_62
; %bb.140:                              ;   in Loop: Header=BB18_65 Depth=1
	v_lshlrev_b64 v[6:7], 4, v[0:1]
	v_mov_b32_e32 v2, s44
	v_add_co_u32_e32 v12, vcc, s33, v6
	v_addc_co_u32_e32 v13, vcc, v2, v7, vcc
	v_mov_b32_e32 v3, s15
	v_add_co_u32_e32 v2, vcc, s14, v6
	v_addc_co_u32_e32 v3, vcc, v3, v7, vcc
	v_mov_b32_e32 v8, s46
	v_add_co_u32_e32 v24, vcc, s45, v6
	v_bfe_u32 v11, v0, 5, 25
	global_load_dwordx4 v[2:5], v[2:3], off
	v_addc_co_u32_e32 v25, vcc, v8, v7, vcc
	global_load_dwordx4 v[6:9], v[12:13], off
	global_load_dwordx4 v[20:23], v[24:25], off
	v_mad_u64_u32 v[12:13], s[8:9], v14, v11, 0
	v_mov_b32_e32 v26, v13
	v_mad_u64_u32 v[26:27], s[8:9], v15, v11, v[26:27]
	v_mov_b32_e32 v13, v26
	v_lshlrev_b64 v[12:13], 2, v[12:13]
	v_mov_b32_e32 v11, s18
	v_add_co_u32_e32 v12, vcc, s17, v12
	v_addc_co_u32_e32 v13, vcc, v11, v13, vcc
	global_load_dword v12, v[12:13], off
	v_mov_b32_e32 v11, 0x7f
	s_waitcnt vmcnt(1)
	v_pk_add_f32 v[6:7], v[6:7], v[20:21]
	v_mul_f32_e32 v13, v36, v6
	v_mul_f32_e32 v2, v2, v13
	v_pk_add_f32 v[8:9], v[8:9], v[22:23]
	global_store_dwordx4 v[24:25], v[6:9], off
	s_waitcnt vmcnt(1)
	v_div_scale_f32 v13, s[8:9], v12, v12, v2
	v_rcp_f32_e32 v20, v13
	v_div_scale_f32 v6, vcc, v2, v12, v2
	v_fma_f32 v21, -v13, v20, 1.0
	v_fmac_f32_e32 v20, v21, v20
	v_mul_f32_e32 v21, v6, v20
	v_fma_f32 v22, -v13, v21, v6
	v_fmac_f32_e32 v21, v22, v20
	v_fma_f32 v6, -v13, v21, v6
	v_div_fmas_f32 v6, v6, v20, v21
	v_div_fixup_f32 v2, v6, v12, v2
	v_min_f32_e32 v2, 0x43e00000, v2
	v_max_f32_e32 v6, 0xc3e00000, v2
	v_and_b32_e32 v13, 0x7fffffff, v6
	v_cmp_gt_u32_e32 vcc, s21, v13
	v_mov_b32_e32 v2, 0x7f
	s_and_saveexec_b64 s[8:9], vcc
	s_cbranch_execz .LBB18_146
; %bb.141:                              ;   in Loop: Header=BB18_65 Depth=1
	v_cmp_lt_u32_e32 vcc, s22, v13
                                        ; implicit-def: $vgpr2
	s_and_saveexec_b64 s[10:11], vcc
	s_xor_b64 s[10:11], exec, s[10:11]
; %bb.142:                              ;   in Loop: Header=BB18_65 Depth=1
	v_bfe_u32 v2, v6, 20, 1
	v_add3_u32 v2, v6, v2, s23
	v_lshrrev_b32_e32 v2, 20, v2
; %bb.143:                              ;   in Loop: Header=BB18_65 Depth=1
	s_andn2_saveexec_b64 s[10:11], s[10:11]
; %bb.144:                              ;   in Loop: Header=BB18_65 Depth=1
	v_add_f32_e64 v2, |v6|, s24
; %bb.145:                              ;   in Loop: Header=BB18_65 Depth=1
	s_or_b64 exec, exec, s[10:11]
.LBB18_146:                             ;   in Loop: Header=BB18_65 Depth=1
	s_or_b64 exec, exec, s[8:9]
	v_mul_f32_e32 v7, v36, v7
	v_mul_f32_e32 v3, v3, v7
	v_div_scale_f32 v7, s[8:9], v12, v12, v3
	v_rcp_f32_e32 v13, v7
	v_div_scale_f32 v20, vcc, v3, v12, v3
	v_fma_f32 v21, -v7, v13, 1.0
	v_fmac_f32_e32 v13, v21, v13
	v_mul_f32_e32 v21, v20, v13
	v_fma_f32 v22, -v7, v21, v20
	v_fmac_f32_e32 v21, v22, v13
	v_fma_f32 v7, -v7, v21, v20
	v_div_fmas_f32 v7, v7, v13, v21
	v_div_fixup_f32 v3, v7, v12, v3
	v_min_f32_e32 v3, 0x43e00000, v3
	v_max_f32_e32 v3, 0xc3e00000, v3
	v_and_b32_e32 v7, 0x7fffffff, v3
	v_cmp_gt_u32_e32 vcc, s21, v7
	s_and_saveexec_b64 s[8:9], vcc
	s_cbranch_execz .LBB18_152
; %bb.147:                              ;   in Loop: Header=BB18_65 Depth=1
	v_cmp_lt_u32_e32 vcc, s22, v7
                                        ; implicit-def: $vgpr11
	s_and_saveexec_b64 s[10:11], vcc
	s_xor_b64 s[10:11], exec, s[10:11]
; %bb.148:                              ;   in Loop: Header=BB18_65 Depth=1
	v_bfe_u32 v7, v3, 20, 1
	v_add3_u32 v7, v3, v7, s23
	v_lshrrev_b32_e32 v11, 20, v7
; %bb.149:                              ;   in Loop: Header=BB18_65 Depth=1
	s_andn2_saveexec_b64 s[10:11], s[10:11]
; %bb.150:                              ;   in Loop: Header=BB18_65 Depth=1
	v_add_f32_e64 v11, |v3|, s24
; %bb.151:                              ;   in Loop: Header=BB18_65 Depth=1
	s_or_b64 exec, exec, s[10:11]
.LBB18_152:                             ;   in Loop: Header=BB18_65 Depth=1
	s_or_b64 exec, exec, s[8:9]
	v_mul_f32_e32 v7, v36, v8
	v_mul_f32_e32 v4, v4, v7
	v_div_scale_f32 v7, s[8:9], v12, v12, v4
	v_rcp_f32_e32 v8, v7
	v_div_scale_f32 v13, vcc, v4, v12, v4
	v_fma_f32 v20, -v7, v8, 1.0
	v_fmac_f32_e32 v8, v20, v8
	v_mul_f32_e32 v20, v13, v8
	v_fma_f32 v21, -v7, v20, v13
	v_fmac_f32_e32 v20, v21, v8
	v_fma_f32 v7, -v7, v20, v13
	v_div_fmas_f32 v7, v7, v8, v20
	v_div_fixup_f32 v4, v7, v12, v4
	v_min_f32_e32 v4, 0x43e00000, v4
	v_max_f32_e32 v8, 0xc3e00000, v4
	v_and_b32_e32 v13, 0x7fffffff, v8
	v_cmp_gt_u32_e32 vcc, s21, v13
	v_mov_b32_e32 v7, 0x7f
	v_mov_b32_e32 v4, 0x7f
	s_and_saveexec_b64 s[8:9], vcc
	s_cbranch_execz .LBB18_158
; %bb.153:                              ;   in Loop: Header=BB18_65 Depth=1
	v_cmp_lt_u32_e32 vcc, s22, v13
                                        ; implicit-def: $vgpr4
	s_and_saveexec_b64 s[10:11], vcc
	s_xor_b64 s[10:11], exec, s[10:11]
; %bb.154:                              ;   in Loop: Header=BB18_65 Depth=1
	v_bfe_u32 v4, v8, 20, 1
	v_add3_u32 v4, v8, v4, s23
	v_lshrrev_b32_e32 v4, 20, v4
; %bb.155:                              ;   in Loop: Header=BB18_65 Depth=1
	s_andn2_saveexec_b64 s[10:11], s[10:11]
; %bb.156:                              ;   in Loop: Header=BB18_65 Depth=1
	v_add_f32_e64 v4, |v8|, s24
; %bb.157:                              ;   in Loop: Header=BB18_65 Depth=1
	s_or_b64 exec, exec, s[10:11]
.LBB18_158:                             ;   in Loop: Header=BB18_65 Depth=1
	s_or_b64 exec, exec, s[8:9]
	v_mul_f32_e32 v9, v36, v9
	v_mul_f32_e32 v5, v5, v9
	v_div_scale_f32 v9, s[8:9], v12, v12, v5
	v_rcp_f32_e32 v13, v9
	v_div_scale_f32 v20, vcc, v5, v12, v5
	v_fma_f32 v21, -v9, v13, 1.0
	v_fmac_f32_e32 v13, v21, v13
	v_mul_f32_e32 v21, v20, v13
	v_fma_f32 v22, -v9, v21, v20
	v_fmac_f32_e32 v21, v22, v13
	v_fma_f32 v9, -v9, v21, v20
	v_div_fmas_f32 v9, v9, v13, v21
	v_div_fixup_f32 v5, v9, v12, v5
	v_min_f32_e32 v5, 0x43e00000, v5
	v_max_f32_e32 v5, 0xc3e00000, v5
	v_and_b32_e32 v9, 0x7fffffff, v5
	v_cmp_gt_u32_e32 vcc, s21, v9
	s_and_saveexec_b64 s[8:9], vcc
	s_cbranch_execz .LBB18_61
; %bb.159:                              ;   in Loop: Header=BB18_65 Depth=1
	v_cmp_lt_u32_e32 vcc, s22, v9
                                        ; implicit-def: $vgpr7
	s_and_saveexec_b64 s[10:11], vcc
	s_xor_b64 s[10:11], exec, s[10:11]
; %bb.160:                              ;   in Loop: Header=BB18_65 Depth=1
	v_bfe_u32 v7, v5, 20, 1
	v_add3_u32 v7, v5, v7, s23
	v_lshrrev_b32_e32 v7, 20, v7
; %bb.161:                              ;   in Loop: Header=BB18_65 Depth=1
	s_andn2_saveexec_b64 s[10:11], s[10:11]
	s_cbranch_execz .LBB18_60
; %bb.162:                              ;   in Loop: Header=BB18_65 Depth=1
	v_add_f32_e64 v7, |v5|, s24
	s_branch .LBB18_60
.LBB18_163:
	s_endpgm
.LBB18_164:
                                        ; implicit-def: $vgpr4_vgpr5
	s_andn2_b64 vcc, exec, s[24:25]
	s_cbranch_vccz .LBB18_53
	s_branch .LBB18_54
.LBB18_165:
                                        ; implicit-def: $vgpr2_vgpr3
	s_andn2_b64 vcc, exec, s[20:21]
	s_cbranch_vccz .LBB18_58
	s_branch .LBB18_59
	.section	.rodata,"a",@progbits
	.p2align	6, 0x0
	.amdhsa_kernel _ZN4vllm31rms_norm_per_block_quant_kernelIfN3c1013Float8_e4m3fnELb1ELb1ELi128EEEvPT0_PfPKT_S8_PKffiiPS6_l
		.amdhsa_group_segment_fixed_size 4164
		.amdhsa_private_segment_fixed_size 0
		.amdhsa_kernarg_size 328
		.amdhsa_user_sgpr_count 6
		.amdhsa_user_sgpr_private_segment_buffer 1
		.amdhsa_user_sgpr_dispatch_ptr 0
		.amdhsa_user_sgpr_queue_ptr 0
		.amdhsa_user_sgpr_kernarg_segment_ptr 1
		.amdhsa_user_sgpr_dispatch_id 0
		.amdhsa_user_sgpr_flat_scratch_init 0
		.amdhsa_user_sgpr_kernarg_preload_length 0
		.amdhsa_user_sgpr_kernarg_preload_offset 0
		.amdhsa_user_sgpr_private_segment_size 0
		.amdhsa_uses_dynamic_stack 0
		.amdhsa_system_sgpr_private_segment_wavefront_offset 0
		.amdhsa_system_sgpr_workgroup_id_x 1
		.amdhsa_system_sgpr_workgroup_id_y 0
		.amdhsa_system_sgpr_workgroup_id_z 0
		.amdhsa_system_sgpr_workgroup_info 0
		.amdhsa_system_vgpr_workitem_id 0
		.amdhsa_next_free_vgpr 44
		.amdhsa_next_free_sgpr 49
		.amdhsa_accum_offset 44
		.amdhsa_reserve_vcc 1
		.amdhsa_reserve_flat_scratch 0
		.amdhsa_float_round_mode_32 0
		.amdhsa_float_round_mode_16_64 0
		.amdhsa_float_denorm_mode_32 3
		.amdhsa_float_denorm_mode_16_64 3
		.amdhsa_dx10_clamp 1
		.amdhsa_ieee_mode 1
		.amdhsa_fp16_overflow 0
		.amdhsa_tg_split 0
		.amdhsa_exception_fp_ieee_invalid_op 0
		.amdhsa_exception_fp_denorm_src 0
		.amdhsa_exception_fp_ieee_div_zero 0
		.amdhsa_exception_fp_ieee_overflow 0
		.amdhsa_exception_fp_ieee_underflow 0
		.amdhsa_exception_fp_ieee_inexact 0
		.amdhsa_exception_int_div_zero 0
	.end_amdhsa_kernel
	.section	.text._ZN4vllm31rms_norm_per_block_quant_kernelIfN3c1013Float8_e4m3fnELb1ELb1ELi128EEEvPT0_PfPKT_S8_PKffiiPS6_l,"axG",@progbits,_ZN4vllm31rms_norm_per_block_quant_kernelIfN3c1013Float8_e4m3fnELb1ELb1ELi128EEEvPT0_PfPKT_S8_PKffiiPS6_l,comdat
.Lfunc_end18:
	.size	_ZN4vllm31rms_norm_per_block_quant_kernelIfN3c1013Float8_e4m3fnELb1ELb1ELi128EEEvPT0_PfPKT_S8_PKffiiPS6_l, .Lfunc_end18-_ZN4vllm31rms_norm_per_block_quant_kernelIfN3c1013Float8_e4m3fnELb1ELb1ELi128EEEvPT0_PfPKT_S8_PKffiiPS6_l
                                        ; -- End function
	.section	.AMDGPU.csdata,"",@progbits
; Kernel info:
; codeLenInByte = 9732
; NumSgprs: 53
; NumVgprs: 44
; NumAgprs: 0
; TotalNumVgprs: 44
; ScratchSize: 0
; MemoryBound: 0
; FloatMode: 240
; IeeeMode: 1
; LDSByteSize: 4164 bytes/workgroup (compile time only)
; SGPRBlocks: 6
; VGPRBlocks: 5
; NumSGPRsForWavesPerEU: 53
; NumVGPRsForWavesPerEU: 44
; AccumOffset: 44
; Occupancy: 8
; WaveLimiterHint : 0
; COMPUTE_PGM_RSRC2:SCRATCH_EN: 0
; COMPUTE_PGM_RSRC2:USER_SGPR: 6
; COMPUTE_PGM_RSRC2:TRAP_HANDLER: 0
; COMPUTE_PGM_RSRC2:TGID_X_EN: 1
; COMPUTE_PGM_RSRC2:TGID_Y_EN: 0
; COMPUTE_PGM_RSRC2:TGID_Z_EN: 0
; COMPUTE_PGM_RSRC2:TIDIG_COMP_CNT: 0
; COMPUTE_PGM_RSRC3_GFX90A:ACCUM_OFFSET: 10
; COMPUTE_PGM_RSRC3_GFX90A:TG_SPLIT: 0
	.section	.text._ZN4vllm31rms_norm_per_block_quant_kernelIfN3c1015Float8_e4m3fnuzELb1ELb1ELi128EEEvPT0_PfPKT_S8_PKffiiPS6_l,"axG",@progbits,_ZN4vllm31rms_norm_per_block_quant_kernelIfN3c1015Float8_e4m3fnuzELb1ELb1ELi128EEEvPT0_PfPKT_S8_PKffiiPS6_l,comdat
	.protected	_ZN4vllm31rms_norm_per_block_quant_kernelIfN3c1015Float8_e4m3fnuzELb1ELb1ELi128EEEvPT0_PfPKT_S8_PKffiiPS6_l ; -- Begin function _ZN4vllm31rms_norm_per_block_quant_kernelIfN3c1015Float8_e4m3fnuzELb1ELb1ELi128EEEvPT0_PfPKT_S8_PKffiiPS6_l
	.globl	_ZN4vllm31rms_norm_per_block_quant_kernelIfN3c1015Float8_e4m3fnuzELb1ELb1ELi128EEEvPT0_PfPKT_S8_PKffiiPS6_l
	.p2align	8
	.type	_ZN4vllm31rms_norm_per_block_quant_kernelIfN3c1015Float8_e4m3fnuzELb1ELb1ELi128EEEvPT0_PfPKT_S8_PKffiiPS6_l,@function
_ZN4vllm31rms_norm_per_block_quant_kernelIfN3c1015Float8_e4m3fnuzELb1ELb1ELi128EEEvPT0_PfPKT_S8_PKffiiPS6_l: ; @_ZN4vllm31rms_norm_per_block_quant_kernelIfN3c1015Float8_e4m3fnuzELb1ELb1ELi128EEEvPT0_PfPKT_S8_PKffiiPS6_l
; %bb.0:
	s_load_dwordx4 s[16:19], s[4:5], 0x28
	s_load_dwordx8 s[8:15], s[4:5], 0x0
	s_load_dwordx2 s[0:1], s[4:5], 0x38
	s_load_dword s48, s[4:5], 0x48
	s_mov_b32 s7, 0
	s_waitcnt lgkmcnt(0)
	s_ashr_i32 s2, s18, 31
	s_mul_hi_u32 s3, s18, s6
	s_mul_i32 s2, s2, s6
	s_ashr_i32 s21, s17, 31
	s_add_i32 s3, s3, s2
	s_mul_i32 s2, s18, s6
	s_mul_hi_u32 s18, s17, s6
	s_mul_i32 s19, s21, s6
	s_add_i32 s19, s18, s19
	s_lshl_b64 s[2:3], s[2:3], 2
	s_mul_i32 s18, s17, s6
	s_add_u32 s33, s12, s2
	s_addc_u32 s44, s13, s3
	s_lshl_b64 s[2:3], s[18:19], 2
	s_add_u32 s45, s0, s2
	s_addc_u32 s46, s1, s3
	s_ashr_i32 s12, s17, 2
	s_add_u32 s22, s4, 0x48
	s_mov_b32 s20, s17
	v_cmp_gt_u32_e64 s[0:1], s12, v0
	s_addc_u32 s23, s5, 0
	v_mov_b32_e32 v1, 0
	s_and_saveexec_b64 s[2:3], s[0:1]
	s_cbranch_execz .LBB19_10
; %bb.1:
	s_cmp_lt_u32 s6, s48
	s_cselect_b32 s13, 12, 18
	s_add_u32 s24, s22, s13
	s_addc_u32 s25, s23, 0
	v_mov_b32_e32 v3, 0
	global_load_ushort v8, v3, s[24:25]
	s_mov_b64 s[24:25], 0
	v_mov_b32_e32 v9, s44
	v_mov_b32_e32 v10, s46
	;; [unrolled: 1-line block ×4, first 2 shown]
                                        ; implicit-def: $sgpr26_sgpr27
	s_waitcnt vmcnt(0)
	v_mul_lo_u32 v11, v8, 3
	v_lshlrev_b32_e32 v12, 1, v8
	s_branch .LBB19_5
.LBB19_2:                               ;   in Loop: Header=BB19_5 Depth=1
	s_or_b64 exec, exec, s[34:35]
	s_orn2_b64 s[34:35], s[36:37], exec
.LBB19_3:                               ;   in Loop: Header=BB19_5 Depth=1
	s_or_b64 exec, exec, s[30:31]
	s_andn2_b64 s[26:27], s[26:27], exec
	s_and_b64 s[30:31], s[34:35], exec
	s_or_b64 s[26:27], s[26:27], s[30:31]
.LBB19_4:                               ;   in Loop: Header=BB19_5 Depth=1
	s_or_b64 exec, exec, s[28:29]
	s_and_b64 s[28:29], exec, s[26:27]
	s_or_b64 s[24:25], s[28:29], s[24:25]
	s_andn2_b64 exec, exec, s[24:25]
	s_cbranch_execz .LBB19_9
.LBB19_5:                               ; =>This Inner Loop Header: Depth=1
	v_lshlrev_b64 v[4:5], 4, v[2:3]
	v_add_co_u32_e32 v6, vcc, s33, v4
	v_addc_co_u32_e32 v7, vcc, v9, v5, vcc
	v_add_co_u32_e32 v4, vcc, s45, v4
	v_addc_co_u32_e32 v5, vcc, v10, v5, vcc
	global_load_dwordx4 v[14:17], v[6:7], off
	global_load_dwordx4 v[18:21], v[4:5], off
	v_add_u32_e32 v4, v2, v8
	v_cmp_gt_u32_e32 vcc, s12, v4
	s_or_b64 s[26:27], s[26:27], exec
	s_waitcnt vmcnt(0)
	v_pk_add_f32 v[6:7], v[14:15], v[18:19]
	v_pk_mul_f32 v[6:7], v[6:7], v[6:7]
	v_pk_add_f32 v[14:15], v[16:17], v[20:21]
	v_add_f32_e32 v1, v1, v6
	v_pk_mul_f32 v[14:15], v[14:15], v[14:15]
	v_add_f32_e32 v1, v1, v7
	v_add_f32_e32 v1, v1, v14
	v_add_f32_e32 v1, v1, v15
	s_and_saveexec_b64 s[28:29], vcc
	s_cbranch_execz .LBB19_4
; %bb.6:                                ;   in Loop: Header=BB19_5 Depth=1
	v_mov_b32_e32 v5, v3
	v_lshlrev_b64 v[6:7], 4, v[4:5]
	v_add_co_u32_e32 v22, vcc, s33, v6
	v_addc_co_u32_e32 v23, vcc, v9, v7, vcc
	v_add_co_u32_e32 v6, vcc, s45, v6
	v_addc_co_u32_e32 v7, vcc, v10, v7, vcc
	global_load_dwordx4 v[14:17], v[22:23], off
	global_load_dwordx4 v[18:21], v[6:7], off
	v_add_u32_e32 v6, v12, v2
	v_cmp_gt_u32_e32 vcc, s12, v6
	s_mov_b64 s[34:35], -1
	s_waitcnt vmcnt(0)
	v_pk_add_f32 v[14:15], v[14:15], v[18:19]
	v_pk_mul_f32 v[14:15], v[14:15], v[14:15]
	v_pk_add_f32 v[16:17], v[16:17], v[20:21]
	v_add_f32_e32 v1, v1, v14
	v_pk_mul_f32 v[16:17], v[16:17], v[16:17]
	v_add_f32_e32 v1, v1, v15
	v_add_f32_e32 v1, v1, v16
	;; [unrolled: 1-line block ×3, first 2 shown]
	s_and_saveexec_b64 s[30:31], vcc
	s_cbranch_execz .LBB19_3
; %bb.7:                                ;   in Loop: Header=BB19_5 Depth=1
	v_mov_b32_e32 v7, v3
	v_lshlrev_b64 v[6:7], 4, v[6:7]
	v_add_co_u32_e32 v22, vcc, s33, v6
	v_addc_co_u32_e32 v23, vcc, v9, v7, vcc
	v_add_co_u32_e32 v6, vcc, s45, v6
	v_addc_co_u32_e32 v7, vcc, v10, v7, vcc
	global_load_dwordx4 v[14:17], v[22:23], off
	global_load_dwordx4 v[18:21], v[6:7], off
	v_add_u32_e32 v2, v11, v2
	v_cmp_gt_u32_e32 vcc, s12, v2
	s_mov_b64 s[36:37], -1
	s_waitcnt vmcnt(0)
	v_pk_add_f32 v[6:7], v[14:15], v[18:19]
	v_pk_mul_f32 v[6:7], v[6:7], v[6:7]
	v_pk_add_f32 v[14:15], v[16:17], v[20:21]
	v_add_f32_e32 v1, v1, v6
	v_pk_mul_f32 v[14:15], v[14:15], v[14:15]
	v_add_f32_e32 v1, v1, v7
	v_add_f32_e32 v1, v1, v14
	v_add_f32_e32 v1, v1, v15
	s_and_saveexec_b64 s[34:35], vcc
	s_xor_b64 s[34:35], exec, s[34:35]
	s_cbranch_execz .LBB19_2
; %bb.8:                                ;   in Loop: Header=BB19_5 Depth=1
	v_lshlrev_b64 v[6:7], 4, v[2:3]
	v_mov_b32_e32 v2, s44
	v_add_co_u32_e32 v22, vcc, s33, v6
	v_addc_co_u32_e32 v23, vcc, v2, v7, vcc
	v_mov_b32_e32 v2, s46
	v_add_co_u32_e32 v6, vcc, s45, v6
	v_addc_co_u32_e32 v7, vcc, v2, v7, vcc
	global_load_dwordx4 v[14:17], v[22:23], off
	global_load_dwordx4 v[18:21], v[6:7], off
	v_add_u32_e32 v2, v8, v8
	v_add_u32_e32 v2, v2, v8
	;; [unrolled: 1-line block ×3, first 2 shown]
	v_cmp_le_u32_e32 vcc, s12, v2
	s_orn2_b64 s[36:37], vcc, exec
	s_waitcnt vmcnt(0)
	v_pk_add_f32 v[4:5], v[14:15], v[18:19]
	v_pk_mul_f32 v[4:5], v[4:5], v[4:5]
	v_pk_add_f32 v[6:7], v[16:17], v[20:21]
	v_add_f32_e32 v1, v1, v4
	v_pk_mul_f32 v[6:7], v[6:7], v[6:7]
	v_add_f32_e32 v1, v1, v5
	v_add_f32_e32 v1, v1, v6
	;; [unrolled: 1-line block ×3, first 2 shown]
	s_branch .LBB19_2
.LBB19_9:
	s_or_b64 exec, exec, s[24:25]
.LBB19_10:
	s_or_b64 exec, exec, s[2:3]
	v_mbcnt_lo_u32_b32 v2, -1, 0
	v_mbcnt_hi_u32_b32 v2, -1, v2
	v_and_b32_e32 v3, 63, v2
	v_cmp_ne_u32_e32 vcc, 63, v3
	s_load_dword s2, s[22:23], 0xc
	v_addc_co_u32_e32 v4, vcc, 0, v2, vcc
	v_lshlrev_b32_e32 v4, 2, v4
	ds_bpermute_b32 v4, v4, v1
	s_waitcnt lgkmcnt(0)
	s_and_b32 s13, s2, 0xffff
	v_and_b32_e32 v5, 0x3c0, v0
	v_sub_u32_e64 v5, s13, v5 clamp
	v_add_u32_e32 v6, 1, v2
	v_add_f32_e32 v4, v1, v4
	v_cmp_lt_u32_e32 vcc, v6, v5
	v_cndmask_b32_e32 v1, v1, v4, vcc
	v_cmp_gt_u32_e32 vcc, 62, v3
	v_cndmask_b32_e64 v4, 0, 1, vcc
	v_lshlrev_b32_e32 v4, 1, v4
	v_add_lshl_u32 v4, v4, v2, 2
	ds_bpermute_b32 v4, v4, v1
	v_add_u32_e32 v6, 2, v2
	v_cmp_lt_u32_e32 vcc, v6, v5
	v_add_u32_e32 v6, 4, v2
	s_waitcnt lgkmcnt(0)
	v_add_f32_e32 v4, v1, v4
	v_cndmask_b32_e32 v1, v1, v4, vcc
	v_cmp_gt_u32_e32 vcc, 60, v3
	v_cndmask_b32_e64 v4, 0, 1, vcc
	v_lshlrev_b32_e32 v4, 2, v4
	v_add_lshl_u32 v4, v4, v2, 2
	ds_bpermute_b32 v4, v4, v1
	v_cmp_lt_u32_e32 vcc, v6, v5
	v_add_u32_e32 v6, 8, v2
	s_waitcnt lgkmcnt(0)
	v_add_f32_e32 v4, v1, v4
	v_cndmask_b32_e32 v1, v1, v4, vcc
	v_cmp_gt_u32_e32 vcc, 56, v3
	v_cndmask_b32_e64 v4, 0, 1, vcc
	v_lshlrev_b32_e32 v4, 3, v4
	v_add_lshl_u32 v4, v4, v2, 2
	ds_bpermute_b32 v4, v4, v1
	;; [unrolled: 10-line block ×3, first 2 shown]
	v_cmp_lt_u32_e32 vcc, v6, v5
	s_waitcnt lgkmcnt(0)
	v_add_f32_e32 v4, v1, v4
	v_cndmask_b32_e32 v1, v1, v4, vcc
	v_cmp_gt_u32_e32 vcc, 32, v3
	v_cndmask_b32_e64 v3, 0, 1, vcc
	v_lshlrev_b32_e32 v3, 5, v3
	v_add_lshl_u32 v3, v3, v2, 2
	ds_bpermute_b32 v3, v3, v1
	v_add_u32_e32 v4, 32, v2
	v_cmp_lt_u32_e32 vcc, v4, v5
	s_waitcnt lgkmcnt(0)
	v_add_f32_e32 v3, v1, v3
	v_cndmask_b32_e32 v1, v1, v3, vcc
	v_cmp_eq_u32_e32 vcc, 0, v2
	s_and_saveexec_b64 s[2:3], vcc
	s_cbranch_execz .LBB19_12
; %bb.11:
	v_lshrrev_b32_e32 v3, 4, v0
	v_and_b32_e32 v3, 60, v3
	ds_write_b32 v3, v1 offset:4096
.LBB19_12:
	s_or_b64 exec, exec, s[2:3]
	v_cmp_gt_u32_e32 vcc, 16, v0
	s_waitcnt lgkmcnt(0)
	s_barrier
	s_and_saveexec_b64 s[24:25], vcc
	s_cbranch_execz .LBB19_14
; %bb.13:
	v_lshlrev_b32_e32 v1, 2, v2
	ds_read_b32 v1, v1 offset:4096
	v_and_b32_e32 v3, 15, v2
	v_cmp_ne_u32_e32 vcc, 15, v3
	v_addc_co_u32_e32 v4, vcc, 0, v2, vcc
	v_lshlrev_b32_e32 v4, 2, v4
	s_waitcnt lgkmcnt(0)
	ds_bpermute_b32 v4, v4, v1
	s_add_i32 s13, s13, 63
	s_lshr_b32 s13, s13, 6
	v_add_u32_e32 v5, 1, v3
	v_cmp_gt_u32_e64 s[2:3], 14, v3
	v_cmp_gt_u32_e32 vcc, s13, v5
	v_cndmask_b32_e64 v5, 0, 1, s[2:3]
	s_waitcnt lgkmcnt(0)
	v_add_f32_e32 v4, v1, v4
	v_lshlrev_b32_e32 v5, 1, v5
	v_cndmask_b32_e32 v4, v1, v4, vcc
	v_add_lshl_u32 v5, v5, v2, 2
	ds_bpermute_b32 v5, v5, v4
	v_add_u32_e32 v6, 2, v3
	v_cmp_gt_u32_e64 s[2:3], s13, v6
	v_add_u32_e32 v6, 4, v3
	s_waitcnt lgkmcnt(0)
	v_add_f32_e32 v5, v4, v5
	v_cndmask_b32_e64 v4, v4, v5, s[2:3]
	v_cmp_gt_u32_e64 s[2:3], 12, v3
	v_cndmask_b32_e64 v5, 0, 1, s[2:3]
	v_lshlrev_b32_e32 v5, 2, v5
	v_add_lshl_u32 v5, v5, v2, 2
	ds_bpermute_b32 v5, v5, v4
	v_cmp_gt_u32_e64 s[2:3], s13, v6
	s_waitcnt lgkmcnt(0)
	v_add_f32_e32 v5, v4, v5
	v_cndmask_b32_e64 v4, v4, v5, s[2:3]
	v_cmp_gt_u32_e64 s[2:3], 8, v3
	v_cndmask_b32_e64 v5, 0, 1, s[2:3]
	v_lshlrev_b32_e32 v5, 3, v5
	v_add_lshl_u32 v2, v5, v2, 2
	ds_bpermute_b32 v2, v2, v4
	v_add_u32_e32 v3, 8, v3
	v_cmp_gt_u32_e64 s[2:3], s13, v3
	s_waitcnt lgkmcnt(0)
	v_add_f32_e32 v2, v4, v2
	v_cndmask_b32_e64 v2, v4, v2, s[2:3]
	v_cndmask_b32_e32 v1, v1, v2, vcc
.LBB19_14:
	s_or_b64 exec, exec, s[24:25]
	v_cmp_eq_u32_e32 vcc, 0, v0
	s_and_saveexec_b64 s[2:3], vcc
	s_cbranch_execz .LBB19_16
; %bb.15:
	v_cvt_f32_i32_e32 v2, s20
	s_mov_b32 s13, 0x800000
	v_div_scale_f32 v3, s[24:25], v2, v2, v1
	v_rcp_f32_e32 v4, v3
	v_div_scale_f32 v5, vcc, v1, v2, v1
	v_fma_f32 v6, -v3, v4, 1.0
	v_fmac_f32_e32 v4, v6, v4
	v_mul_f32_e32 v6, v5, v4
	v_fma_f32 v7, -v3, v6, v5
	v_fmac_f32_e32 v6, v7, v4
	v_fma_f32 v3, -v3, v6, v5
	v_div_fmas_f32 v3, v3, v4, v6
	v_div_fixup_f32 v1, v3, v2, v1
	v_add_f32_e32 v1, s16, v1
	v_mul_f32_e32 v2, 0x4b800000, v1
	v_cmp_gt_f32_e32 vcc, s13, v1
	v_cndmask_b32_e32 v1, v1, v2, vcc
	v_rsq_f32_e32 v1, v1
	v_mul_f32_e32 v2, 0x45800000, v1
	v_cndmask_b32_e32 v1, v1, v2, vcc
	v_mov_b32_e32 v2, 0
	ds_write_b32 v2, v1 offset:4160
.LBB19_16:
	s_or_b64 exec, exec, s[2:3]
	s_ashr_i32 s2, s20, 31
	s_lshr_b32 s2, s2, 25
	s_add_i32 s3, s20, s2
	s_ashr_i32 s2, s3, 7
	s_cmp_lt_u32 s6, s48
	s_cselect_b32 s13, 12, 18
	s_add_u32 s16, s22, s13
	v_mov_b32_e32 v5, 0
	s_addc_u32 s17, s23, 0
	s_waitcnt lgkmcnt(0)
	s_barrier
	global_load_ushort v1, v5, s[16:17]
	ds_read_b32 v36, v5 offset:4160
	s_abs_i32 s13, s2
	v_cvt_f32_u32_e32 v2, s13
	s_sub_i32 s16, 0, s13
	s_ashr_i32 s3, s3, 31
	v_mov_b32_e32 v10, s12
	v_rcp_iflag_f32_e32 v2, v2
	v_mul_f32_e32 v2, 0x4f7ffffe, v2
	v_cvt_u32_f32_e32 v2, v2
	v_readfirstlane_b32 s17, v2
	s_mul_i32 s16, s16, s17
	s_mul_hi_u32 s16, s17, s16
	s_add_i32 s17, s17, s16
	s_waitcnt vmcnt(0)
	v_readfirstlane_b32 s47, v1
	s_mul_hi_u32 s16, s47, s17
	s_mul_i32 s17, s16, s13
	s_sub_i32 s17, s47, s17
	s_add_i32 s22, s16, 1
	s_sub_i32 s23, s17, s13
	s_cmp_ge_u32 s17, s13
	s_cselect_b32 s16, s22, s16
	s_cselect_b32 s17, s23, s17
	s_add_i32 s22, s16, 1
	s_cmp_ge_u32 s17, s13
	s_cselect_b32 s13, s22, s16
	s_xor_b32 s13, s13, s3
	s_sub_i32 s16, s13, s3
	s_abs_i32 s3, s16
	v_cvt_f32_u32_e32 v1, s3
	s_sub_i32 s22, 0, s3
	s_ashr_i32 s17, s16, 31
	s_ashr_i32 s13, s12, 31
	v_rcp_iflag_f32_e32 v1, v1
	v_mov_b32_e32 v11, s13
	v_mul_f32_e32 v1, 0x4f7ffffe, v1
	v_cvt_u32_f32_e32 v1, v1
	v_mul_lo_u32 v2, s22, v1
	v_mul_hi_u32 v2, v1, v2
	v_add_u32_e32 v1, v1, v2
	v_mul_hi_u32 v1, v0, v1
	v_mul_lo_u32 v2, v1, s3
	v_sub_u32_e32 v2, v0, v2
	v_add_u32_e32 v3, 1, v1
	v_cmp_le_u32_e32 vcc, s3, v2
	v_cndmask_b32_e32 v1, v1, v3, vcc
	v_subrev_u32_e32 v3, s3, v2
	v_cndmask_b32_e32 v2, v2, v3, vcc
	v_add_u32_e32 v3, 1, v1
	v_cmp_le_u32_e32 vcc, s3, v2
	v_cndmask_b32_e32 v1, v1, v3, vcc
	v_xor_b32_e32 v1, s17, v1
	v_subrev_u32_e32 v2, s17, v1
	v_mul_lo_u32 v1, v2, s16
	v_ashrrev_i32_e32 v3, 31, v2
	v_sub_u32_e32 v4, v0, v1
	v_lshlrev_b64 v[8:9], 5, v[2:3]
	v_add_co_u32_e32 v6, vcc, v8, v4
	v_addc_co_u32_e32 v7, vcc, 0, v9, vcc
	v_add_co_u32_e32 v8, vcc, 32, v8
	v_addc_co_u32_e32 v9, vcc, 0, v9, vcc
	v_cmp_gt_i64_e32 vcc, s[12:13], v[8:9]
	v_cndmask_b32_e32 v8, v10, v8, vcc
	v_cndmask_b32_e32 v9, v11, v9, vcc
	v_ashrrev_i32_e32 v11, 31, v8
	v_mov_b32_e32 v10, v8
	v_cmp_lt_i64_e32 vcc, v[6:7], v[10:11]
	s_and_saveexec_b64 s[22:23], vcc
	s_cbranch_execz .LBB19_26
; %bb.17:
	v_lshlrev_b64 v[12:13], 9, v[2:3]
	v_lshlrev_b64 v[14:15], 4, v[4:5]
	v_add_co_u32_e32 v12, vcc, v12, v14
	v_addc_co_u32_e32 v1, vcc, v13, v15, vcc
	s_lshl_b64 s[24:25], s[16:17], 6
	s_mul_hi_i32 s3, s16, 3
	s_mul_i32 s13, s16, 3
	s_lshl_b64 s[26:27], s[16:17], 1
	s_lshl_b64 s[30:31], s[16:17], 4
	s_mov_b64 s[28:29], 0
	v_mov_b32_e32 v5, 0
	v_mov_b32_e32 v13, s44
	;; [unrolled: 1-line block ×5, first 2 shown]
	v_pk_mov_b32 v[14:15], v[6:7], v[6:7] op_sel:[0,1]
                                        ; implicit-def: $sgpr34_sgpr35
	s_branch .LBB19_21
.LBB19_18:                              ;   in Loop: Header=BB19_21 Depth=1
	s_or_b64 exec, exec, s[40:41]
	s_orn2_b64 s[40:41], s[42:43], exec
.LBB19_19:                              ;   in Loop: Header=BB19_21 Depth=1
	s_or_b64 exec, exec, s[38:39]
	s_andn2_b64 s[34:35], s[34:35], exec
	s_and_b64 s[38:39], s[40:41], exec
	s_or_b64 s[34:35], s[34:35], s[38:39]
.LBB19_20:                              ;   in Loop: Header=BB19_21 Depth=1
	s_or_b64 exec, exec, s[36:37]
	s_and_b64 s[36:37], exec, s[34:35]
	s_or_b64 s[28:29], s[36:37], s[28:29]
	s_andn2_b64 exec, exec, s[28:29]
	s_cbranch_execz .LBB19_25
.LBB19_21:                              ; =>This Inner Loop Header: Depth=1
	v_add_co_u32_e32 v18, vcc, s33, v12
	v_addc_co_u32_e32 v19, vcc, v13, v1, vcc
	v_add_co_u32_e32 v22, vcc, s45, v12
	v_addc_co_u32_e32 v23, vcc, v25, v1, vcc
	global_load_dwordx4 v[28:31], v[18:19], off
	global_load_dwordx4 v[32:35], v[22:23], off
	v_add_co_u32_e32 v20, vcc, s14, v12
	v_addc_co_u32_e32 v21, vcc, v24, v1, vcc
	global_load_dwordx4 v[38:41], v[20:21], off
	v_add_co_u32_e32 v16, vcc, s16, v14
	v_addc_co_u32_e32 v17, vcc, v15, v26, vcc
	v_cmp_lt_i64_e32 vcc, v[16:17], v[10:11]
	s_or_b64 s[34:35], s[34:35], exec
	s_waitcnt vmcnt(1)
	v_add_f32_e32 v27, v28, v32
	v_add_f32_e32 v28, v29, v33
	;; [unrolled: 1-line block ×4, first 2 shown]
	s_waitcnt lgkmcnt(0)
	v_mul_f32_e32 v27, v36, v27
	v_mul_f32_e32 v28, v36, v28
	;; [unrolled: 1-line block ×4, first 2 shown]
	s_waitcnt vmcnt(0)
	v_mul_f32_e32 v27, v38, v27
	v_mul_f32_e32 v28, v39, v28
	;; [unrolled: 1-line block ×4, first 2 shown]
	v_max3_f32 v5, v5, |v27|, |v28|
	v_max3_f32 v5, v5, |v29|, |v30|
	s_and_saveexec_b64 s[36:37], vcc
	s_cbranch_execz .LBB19_20
; %bb.22:                               ;   in Loop: Header=BB19_21 Depth=1
	v_mov_b32_e32 v27, s31
	v_add_co_u32_e32 v18, vcc, s30, v18
	v_addc_co_u32_e32 v19, vcc, v19, v27, vcc
	v_add_co_u32_e32 v22, vcc, s30, v22
	v_addc_co_u32_e32 v23, vcc, v23, v27, vcc
	global_load_dwordx4 v[28:31], v[18:19], off
	global_load_dwordx4 v[32:35], v[22:23], off
	v_add_co_u32_e32 v20, vcc, s30, v20
	v_addc_co_u32_e32 v21, vcc, v21, v27, vcc
	global_load_dwordx4 v[38:41], v[20:21], off
	v_mov_b32_e32 v27, s27
	v_add_co_u32_e32 v42, vcc, s26, v14
	v_addc_co_u32_e32 v43, vcc, v27, v15, vcc
	v_cmp_lt_i64_e32 vcc, v[42:43], v[10:11]
	s_mov_b64 s[40:41], -1
	s_waitcnt vmcnt(1)
	v_add_f32_e32 v27, v28, v32
	v_add_f32_e32 v28, v29, v33
	;; [unrolled: 1-line block ×4, first 2 shown]
	v_mul_f32_e32 v27, v36, v27
	v_mul_f32_e32 v28, v36, v28
	;; [unrolled: 1-line block ×4, first 2 shown]
	s_waitcnt vmcnt(0)
	v_mul_f32_e32 v27, v38, v27
	v_mul_f32_e32 v28, v39, v28
	;; [unrolled: 1-line block ×4, first 2 shown]
	v_max3_f32 v5, v5, |v27|, |v28|
	v_max3_f32 v5, v5, |v29|, |v30|
	s_and_saveexec_b64 s[38:39], vcc
	s_cbranch_execz .LBB19_19
; %bb.23:                               ;   in Loop: Header=BB19_21 Depth=1
	v_mov_b32_e32 v27, s31
	v_add_co_u32_e32 v18, vcc, s30, v18
	v_addc_co_u32_e32 v19, vcc, v19, v27, vcc
	v_add_co_u32_e32 v22, vcc, s30, v22
	v_addc_co_u32_e32 v23, vcc, v23, v27, vcc
	global_load_dwordx4 v[28:31], v[18:19], off
	global_load_dwordx4 v[32:35], v[22:23], off
	v_add_co_u32_e32 v20, vcc, s30, v20
	v_addc_co_u32_e32 v21, vcc, v21, v27, vcc
	global_load_dwordx4 v[38:41], v[20:21], off
	v_mov_b32_e32 v27, s3
	v_add_co_u32_e32 v14, vcc, s13, v14
	v_addc_co_u32_e32 v15, vcc, v27, v15, vcc
	v_cmp_lt_i64_e32 vcc, v[14:15], v[10:11]
	s_mov_b64 s[42:43], -1
	s_waitcnt vmcnt(1)
	v_add_f32_e32 v14, v28, v32
	v_add_f32_e32 v15, v29, v33
	;; [unrolled: 1-line block ×4, first 2 shown]
	v_mul_f32_e32 v14, v36, v14
	v_mul_f32_e32 v15, v36, v15
	;; [unrolled: 1-line block ×4, first 2 shown]
	s_waitcnt vmcnt(0)
	v_mul_f32_e32 v14, v38, v14
	v_mul_f32_e32 v15, v39, v15
	;; [unrolled: 1-line block ×4, first 2 shown]
	v_max3_f32 v5, v5, |v14|, |v15|
	v_max3_f32 v5, v5, |v27|, |v28|
                                        ; implicit-def: $vgpr14_vgpr15
	s_and_saveexec_b64 s[40:41], vcc
	s_xor_b64 s[40:41], exec, s[40:41]
	s_cbranch_execz .LBB19_18
; %bb.24:                               ;   in Loop: Header=BB19_21 Depth=1
	v_mov_b32_e32 v27, s31
	v_add_co_u32_e32 v14, vcc, s30, v18
	v_addc_co_u32_e32 v15, vcc, v19, v27, vcc
	global_load_dwordx4 v[28:31], v[14:15], off
	v_add_co_u32_e32 v14, vcc, s30, v22
	v_addc_co_u32_e32 v15, vcc, v23, v27, vcc
	global_load_dwordx4 v[32:35], v[14:15], off
	v_add_co_u32_e32 v14, vcc, s30, v20
	v_addc_co_u32_e32 v15, vcc, v21, v27, vcc
	global_load_dwordx4 v[18:21], v[14:15], off
	s_add_u32 s42, s16, s16
	s_addc_u32 s43, s17, s17
	v_mov_b32_e32 v14, s25
	v_add_co_u32_e32 v12, vcc, s24, v12
	s_add_u32 s42, s42, s16
	v_addc_co_u32_e32 v1, vcc, v1, v14, vcc
	s_addc_u32 s43, s43, s17
	v_mov_b32_e32 v15, s43
	v_add_co_u32_e32 v14, vcc, s42, v16
	v_addc_co_u32_e32 v15, vcc, v15, v17, vcc
	v_cmp_ge_i64_e32 vcc, v[14:15], v[10:11]
	s_orn2_b64 s[42:43], vcc, exec
	s_waitcnt vmcnt(1)
	v_add_f32_e32 v16, v28, v32
	v_add_f32_e32 v17, v29, v33
	;; [unrolled: 1-line block ×4, first 2 shown]
	v_mul_f32_e32 v16, v36, v16
	v_mul_f32_e32 v17, v36, v17
	;; [unrolled: 1-line block ×4, first 2 shown]
	s_waitcnt vmcnt(0)
	v_mul_f32_e32 v16, v18, v16
	v_mul_f32_e32 v17, v19, v17
	;; [unrolled: 1-line block ×4, first 2 shown]
	v_max3_f32 v5, v5, |v16|, |v17|
	v_max3_f32 v5, v5, |v18|, |v19|
	s_branch .LBB19_18
.LBB19_25:
	s_or_b64 exec, exec, s[28:29]
.LBB19_26:
	s_or_b64 exec, exec, s[22:23]
	s_lshr_b32 s13, s47, 6
	v_cvt_f32_u32_e32 v10, s13
	v_lshlrev_b32_e32 v1, 2, v0
	ds_write_b32 v1, v5
	s_sub_i32 s23, 0, s13
	v_rcp_iflag_f32_e32 v5, v10
	s_add_i32 s3, s2, s13
	s_add_i32 s3, s3, -1
	s_ashr_i32 s22, s3, 31
	v_mul_f32_e32 v5, 0x4f7ffffe, v5
	v_cvt_u32_f32_e32 v5, v5
	s_abs_i32 s3, s3
	s_waitcnt lgkmcnt(0)
	s_barrier
	v_readfirstlane_b32 s24, v5
	s_mul_i32 s23, s23, s24
	s_mul_hi_u32 s23, s24, s23
	s_add_i32 s24, s24, s23
	s_mul_hi_u32 s23, s3, s24
	s_mul_i32 s24, s23, s13
	s_sub_i32 s3, s3, s24
	s_add_i32 s24, s23, 1
	s_sub_i32 s25, s3, s13
	s_cmp_ge_u32 s3, s13
	s_cselect_b32 s23, s24, s23
	s_cselect_b32 s3, s25, s3
	s_add_i32 s24, s23, 1
	s_cmp_ge_u32 s3, s13
	s_cselect_b32 s3, s24, s23
	s_xor_b32 s3, s3, s22
	s_sub_i32 s22, s3, s22
	s_ashr_i32 s23, s22, 31
	v_cmp_lt_i64_e64 s[24:25], s[22:23], 1
	s_and_b64 vcc, exec, s[24:25]
	s_cbranch_vccnz .LBB19_48
; %bb.27:
	v_and_b32_e32 v12, 63, v0
	v_add_co_u32_e32 v14, vcc, 32, v12
	v_addc_co_u32_e64 v15, s[24:25], 0, 0, vcc
	v_add_co_u32_e32 v16, vcc, 16, v12
	v_addc_co_u32_e64 v17, s[24:25], 0, 0, vcc
	;; [unrolled: 2-line block ×4, first 2 shown]
	v_add_co_u32_e32 v22, vcc, 2, v12
	v_lshrrev_b32_e32 v10, 6, v0
	v_addc_co_u32_e64 v23, s[24:25], 0, 0, vcc
	v_add_co_u32_e32 v24, vcc, 1, v12
	v_addc_co_u32_e64 v25, s[24:25], 0, 0, vcc
	v_mul_lo_u32 v5, s16, v10
	v_lshlrev_b32_e32 v5, 2, v5
	v_lshlrev_b32_e32 v26, 2, v12
	s_movk_i32 s24, 0x100
	v_mov_b32_e32 v11, 0
	v_add3_u32 v5, v5, v26, s24
	s_mul_i32 s24, s16, s13
	s_ashr_i32 s3, s2, 31
	v_mov_b32_e32 v13, v11
	s_lshl_b32 s36, s24, 2
	s_mov_b64 s[24:25], 0
	v_mov_b32_e32 v37, s13
	s_mov_b64 s[26:27], src_shared_base
	s_branch .LBB19_30
.LBB19_28:                              ;   in Loop: Header=BB19_30 Depth=1
	s_or_b64 exec, exec, s[30:31]
	v_mov_b32_e32 v27, s27
	flat_load_dword v26, v[26:27] glc
	s_waitcnt vmcnt(0)
.LBB19_29:                              ;   in Loop: Header=BB19_30 Depth=1
	s_or_b64 exec, exec, s[28:29]
	s_add_u32 s24, s24, 1
	s_addc_u32 s25, s25, 0
	s_cmp_eq_u64 s[24:25], s[22:23]
	v_add_u32_e32 v5, s36, v5
	s_cbranch_scc1 .LBB19_48
.LBB19_30:                              ; =>This Loop Header: Depth=1
                                        ;     Child Loop BB19_33 Depth 2
	v_mad_u64_u32 v[30:31], s[28:29], s24, v37, v[10:11]
	s_mul_i32 s26, s25, s13
	v_add_u32_e32 v31, s26, v31
	v_cmp_gt_i64_e32 vcc, s[2:3], v[30:31]
	s_and_saveexec_b64 s[28:29], vcc
	s_cbranch_execz .LBB19_29
; %bb.31:                               ;   in Loop: Header=BB19_30 Depth=1
	v_pk_mov_b32 v[32:33], s[16:17], s[16:17] op_sel:[0,1]
	v_mul_lo_u32 v29, v31, s16
	v_mul_lo_u32 v38, v30, s17
	v_mad_u64_u32 v[32:33], s[30:31], v30, s16, v[32:33]
	v_add3_u32 v33, v29, v33, v38
	v_mov_b32_e32 v28, s21
	v_cmp_gt_i64_e32 vcc, s[20:21], v[32:33]
	s_waitcnt lgkmcnt(0)
	v_mad_u64_u32 v[26:27], s[30:31], v30, s16, v[12:13]
	v_cndmask_b32_e32 v33, v28, v33, vcc
	v_mov_b32_e32 v28, s20
	v_add3_u32 v27, v29, v27, v38
	v_cndmask_b32_e32 v32, v28, v32, vcc
	v_add_co_u32_e32 v34, vcc, 64, v26
	v_addc_co_u32_e32 v35, vcc, 0, v27, vcc
	v_cmp_lt_i64_e32 vcc, v[34:35], v[32:33]
	v_lshlrev_b32_e32 v28, 2, v26
	s_and_saveexec_b64 s[30:31], vcc
	s_cbranch_execz .LBB19_34
; %bb.32:                               ;   in Loop: Header=BB19_30 Depth=1
	ds_read_b32 v31, v28
	s_mov_b64 s[34:35], 0
	v_mov_b32_e32 v27, v5
.LBB19_33:                              ;   Parent Loop BB19_30 Depth=1
                                        ; =>  This Inner Loop Header: Depth=2
	ds_read_b32 v39, v27
	v_add_co_u32_e32 v34, vcc, 64, v34
	v_addc_co_u32_e32 v35, vcc, 0, v35, vcc
	s_waitcnt lgkmcnt(1)
	v_max_f32_e32 v31, v31, v31
	v_cmp_ge_i64_e32 vcc, v[34:35], v[32:33]
	s_waitcnt lgkmcnt(0)
	v_max_f32_e32 v39, v39, v39
	v_add_u32_e32 v27, 0x100, v27
	s_or_b64 s[34:35], vcc, s[34:35]
	v_max_f32_e32 v31, v31, v39
	ds_write_b32 v28, v31
	s_andn2_b64 exec, exec, s[34:35]
	s_cbranch_execnz .LBB19_33
.LBB19_34:                              ;   in Loop: Header=BB19_30 Depth=1
	s_or_b64 exec, exec, s[30:31]
	v_mad_u64_u32 v[30:31], s[30:31], v30, s16, 0
	v_add3_u32 v27, v31, v38, v29
	v_sub_co_u32_e32 v30, vcc, v32, v30
	v_subb_co_u32_e32 v31, vcc, v33, v27, vcc
	v_cmp_gt_i64_e32 vcc, 64, v[30:31]
	v_cndmask_b32_e32 v31, 0, v31, vcc
	v_cndmask_b32_e32 v30, 64, v30, vcc
	v_cmp_lt_i64_e32 vcc, v[14:15], v[30:31]
	s_and_saveexec_b64 s[30:31], vcc
	s_cbranch_execnz .LBB19_46
; %bb.35:                               ;   in Loop: Header=BB19_30 Depth=1
	s_or_b64 exec, exec, s[30:31]
	v_cmp_lt_i64_e32 vcc, v[16:17], v[30:31]
	s_and_saveexec_b64 s[30:31], vcc
	s_cbranch_execnz .LBB19_47
.LBB19_36:                              ;   in Loop: Header=BB19_30 Depth=1
	s_or_b64 exec, exec, s[30:31]
	v_cmp_lt_i64_e32 vcc, v[18:19], v[30:31]
	s_and_saveexec_b64 s[30:31], vcc
	s_cbranch_execz .LBB19_38
.LBB19_37:                              ;   in Loop: Header=BB19_30 Depth=1
	v_mov_b32_e32 v29, s27
	v_add_u32_e32 v32, 32, v28
	v_mov_b32_e32 v33, s27
	flat_load_dword v27, v[28:29] glc
	s_waitcnt vmcnt(0)
	flat_load_dword v34, v[32:33] glc
	s_waitcnt vmcnt(0) lgkmcnt(0)
	v_max_f32_e32 v27, v27, v27
	v_max_f32_e32 v32, v34, v34
	;; [unrolled: 1-line block ×3, first 2 shown]
	flat_store_dword v[28:29], v27
	s_waitcnt vmcnt(0)
.LBB19_38:                              ;   in Loop: Header=BB19_30 Depth=1
	s_or_b64 exec, exec, s[30:31]
	v_cmp_ge_i64_e32 vcc, v[20:21], v[30:31]
	s_and_saveexec_b64 s[30:31], vcc
	s_xor_b64 s[30:31], exec, s[30:31]
; %bb.39:                               ;   in Loop: Header=BB19_30 Depth=1
                                        ; implicit-def: $vgpr28
; %bb.40:                               ;   in Loop: Header=BB19_30 Depth=1
	s_andn2_saveexec_b64 s[30:31], s[30:31]
	s_cbranch_execz .LBB19_42
; %bb.41:                               ;   in Loop: Header=BB19_30 Depth=1
	v_mov_b32_e32 v29, s27
	v_add_u32_e32 v32, 16, v28
	v_mov_b32_e32 v33, s27
	flat_load_dword v27, v[28:29] glc
	s_waitcnt vmcnt(0)
	flat_load_dword v34, v[32:33] glc
	s_waitcnt vmcnt(0) lgkmcnt(0)
	v_max_f32_e32 v27, v27, v27
	v_max_f32_e32 v32, v34, v34
	;; [unrolled: 1-line block ×3, first 2 shown]
	flat_store_dword v[28:29], v27
	s_waitcnt vmcnt(0)
.LBB19_42:                              ;   in Loop: Header=BB19_30 Depth=1
	s_or_b64 exec, exec, s[30:31]
	v_cmp_lt_i64_e32 vcc, v[22:23], v[30:31]
	v_lshlrev_b32_e32 v26, 2, v26
	s_and_saveexec_b64 s[30:31], vcc
	s_cbranch_execz .LBB19_44
; %bb.43:                               ;   in Loop: Header=BB19_30 Depth=1
	v_mov_b32_e32 v27, s27
	v_add_u32_e32 v28, 8, v26
	v_mov_b32_e32 v29, s27
	flat_load_dword v32, v[26:27] glc
	s_waitcnt vmcnt(0)
	flat_load_dword v33, v[28:29] glc
	s_waitcnt vmcnt(0) lgkmcnt(0)
	v_max_f32_e32 v28, v32, v32
	v_max_f32_e32 v29, v33, v33
	;; [unrolled: 1-line block ×3, first 2 shown]
	flat_store_dword v[26:27], v28
	s_waitcnt vmcnt(0)
.LBB19_44:                              ;   in Loop: Header=BB19_30 Depth=1
	s_or_b64 exec, exec, s[30:31]
	v_cmp_lt_i64_e32 vcc, v[24:25], v[30:31]
	s_and_saveexec_b64 s[30:31], vcc
	s_cbranch_execz .LBB19_28
; %bb.45:                               ;   in Loop: Header=BB19_30 Depth=1
	v_mov_b32_e32 v27, s27
	v_add_u32_e32 v28, 4, v26
	v_mov_b32_e32 v29, s27
	flat_load_dword v30, v[26:27] glc
	s_waitcnt vmcnt(0)
	flat_load_dword v31, v[28:29] glc
	s_waitcnt vmcnt(0) lgkmcnt(0)
	v_max_f32_e32 v28, v30, v30
	v_max_f32_e32 v29, v31, v31
	;; [unrolled: 1-line block ×3, first 2 shown]
	flat_store_dword v[26:27], v28
	s_waitcnt vmcnt(0)
	s_branch .LBB19_28
.LBB19_46:                              ;   in Loop: Header=BB19_30 Depth=1
	v_mov_b32_e32 v29, s27
	v_add_u32_e32 v32, 0x80, v28
	v_mov_b32_e32 v33, s27
	flat_load_dword v27, v[28:29] glc
	s_waitcnt vmcnt(0)
	flat_load_dword v34, v[32:33] glc
	s_waitcnt vmcnt(0) lgkmcnt(0)
	v_max_f32_e32 v27, v27, v27
	v_max_f32_e32 v32, v34, v34
	;; [unrolled: 1-line block ×3, first 2 shown]
	flat_store_dword v[28:29], v27
	s_waitcnt vmcnt(0)
	s_or_b64 exec, exec, s[30:31]
	v_cmp_lt_i64_e32 vcc, v[16:17], v[30:31]
	s_and_saveexec_b64 s[30:31], vcc
	s_cbranch_execz .LBB19_36
.LBB19_47:                              ;   in Loop: Header=BB19_30 Depth=1
	v_mov_b32_e32 v29, s27
	v_add_u32_e32 v32, 64, v28
	v_mov_b32_e32 v33, s27
	flat_load_dword v27, v[28:29] glc
	s_waitcnt vmcnt(0)
	flat_load_dword v34, v[32:33] glc
	s_waitcnt vmcnt(0) lgkmcnt(0)
	v_max_f32_e32 v27, v27, v27
	v_max_f32_e32 v32, v34, v34
	v_max_f32_e32 v27, v27, v32
	flat_store_dword v[28:29], v27
	s_waitcnt vmcnt(0)
	s_or_b64 exec, exec, s[30:31]
	v_cmp_lt_i64_e32 vcc, v[18:19], v[30:31]
	s_and_saveexec_b64 s[30:31], vcc
	s_cbranch_execnz .LBB19_37
	s_branch .LBB19_38
.LBB19_48:
	s_load_dwordx2 s[16:17], s[4:5], 0x40
	v_cmp_eq_u32_e32 vcc, 0, v4
	v_cmp_lt_i64_e64 s[2:3], v[6:7], v[8:9]
	s_and_b64 s[2:3], vcc, s[2:3]
	s_waitcnt lgkmcnt(0)
	s_barrier
	s_and_saveexec_b64 s[20:21], s[2:3]
	s_cbranch_execz .LBB19_55
; %bb.49:
	s_load_dwordx2 s[2:3], s[4:5], 0x20
	ds_read_b32 v1, v1
	s_waitcnt lgkmcnt(0)
	s_cmp_eq_u64 s[2:3], 0
	s_cbranch_scc1 .LBB19_51
; %bb.50:
	s_load_dword s2, s[2:3], 0x0
	v_max_f32_e32 v1, v1, v1
	s_waitcnt lgkmcnt(0)
	v_max_f32_e64 v4, s2, s2
	v_min_f32_e32 v1, v1, v4
.LBB19_51:
	s_add_u32 s3, s16, s48
	s_addc_u32 s4, s17, 0
	s_add_u32 s22, s3, -1
	s_addc_u32 s23, s4, -1
	s_or_b64 s[4:5], s[22:23], s[16:17]
	s_mov_b32 s2, 0
	s_mov_b32 s3, s5
	s_cmp_lg_u64 s[2:3], 0
	s_mov_b64 s[24:25], -1
	s_cbranch_scc0 .LBB19_196
; %bb.52:
	s_ashr_i32 s2, s17, 31
	s_add_u32 s4, s16, s2
	s_mov_b32 s3, s2
	s_addc_u32 s5, s17, s2
	s_xor_b64 s[26:27], s[4:5], s[2:3]
	v_cvt_f32_u32_e32 v4, s26
	v_cvt_f32_u32_e32 v5, s27
	s_sub_u32 s2, 0, s26
	s_subb_u32 s3, 0, s27
	v_madmk_f32 v4, v5, 0x4f800000, v4
	v_rcp_f32_e32 v4, v4
	v_mul_f32_e32 v4, 0x5f7ffffc, v4
	v_mul_f32_e32 v5, 0x2f800000, v4
	v_trunc_f32_e32 v5, v5
	v_madmk_f32 v4, v5, 0xcf800000, v4
	v_cvt_u32_f32_e32 v5, v5
	v_cvt_u32_f32_e32 v4, v4
	v_readfirstlane_b32 s4, v5
	v_readfirstlane_b32 s5, v4
	s_mul_i32 s13, s2, s4
	s_mul_hi_u32 s29, s2, s5
	s_mul_i32 s28, s3, s5
	s_add_i32 s13, s29, s13
	s_add_i32 s13, s13, s28
	s_mul_i32 s30, s2, s5
	s_mul_hi_u32 s28, s5, s13
	s_mul_i32 s29, s5, s13
	s_mul_hi_u32 s5, s5, s30
	s_add_u32 s5, s5, s29
	s_addc_u32 s28, 0, s28
	s_mul_hi_u32 s31, s4, s30
	s_mul_i32 s30, s4, s30
	s_add_u32 s5, s5, s30
	s_mul_hi_u32 s29, s4, s13
	s_addc_u32 s5, s28, s31
	s_addc_u32 s28, s29, 0
	s_mul_i32 s13, s4, s13
	s_add_u32 s5, s5, s13
	s_addc_u32 s13, 0, s28
	v_add_co_u32_e32 v4, vcc, s5, v4
	s_cmp_lg_u64 vcc, 0
	s_addc_u32 s4, s4, s13
	v_readfirstlane_b32 s13, v4
	s_mul_i32 s5, s2, s4
	s_mul_hi_u32 s28, s2, s13
	s_add_i32 s5, s28, s5
	s_mul_i32 s3, s3, s13
	s_add_i32 s5, s5, s3
	s_mul_i32 s2, s2, s13
	s_mul_hi_u32 s28, s4, s2
	s_mul_i32 s29, s4, s2
	s_mul_i32 s31, s13, s5
	s_mul_hi_u32 s2, s13, s2
	s_mul_hi_u32 s30, s13, s5
	s_add_u32 s2, s2, s31
	s_addc_u32 s13, 0, s30
	s_add_u32 s2, s2, s29
	s_mul_hi_u32 s3, s4, s5
	s_addc_u32 s2, s13, s28
	s_addc_u32 s3, s3, 0
	s_mul_i32 s5, s4, s5
	s_add_u32 s2, s2, s5
	s_addc_u32 s3, 0, s3
	v_add_co_u32_e32 v4, vcc, s2, v4
	s_cmp_lg_u64 vcc, 0
	s_addc_u32 s4, s4, s3
	s_ashr_i32 s28, s23, 31
	s_add_u32 s2, s22, s28
	s_mov_b32 s29, s28
	s_addc_u32 s3, s23, s28
	s_xor_b64 s[30:31], s[2:3], s[28:29]
	v_readfirstlane_b32 s5, v4
	s_mul_i32 s3, s30, s4
	s_mul_hi_u32 s13, s30, s5
	s_mul_hi_u32 s2, s30, s4
	s_add_u32 s3, s13, s3
	s_addc_u32 s2, 0, s2
	s_mul_hi_u32 s29, s31, s5
	s_mul_i32 s5, s31, s5
	s_add_u32 s3, s3, s5
	s_mul_hi_u32 s13, s31, s4
	s_addc_u32 s2, s2, s29
	s_addc_u32 s3, s13, 0
	s_mul_i32 s4, s31, s4
	s_add_u32 s2, s2, s4
	s_addc_u32 s3, 0, s3
	s_mul_i32 s3, s26, s3
	s_mul_hi_u32 s4, s26, s2
	s_add_i32 s3, s4, s3
	s_mul_i32 s4, s27, s2
	s_mul_i32 s2, s26, s2
	s_add_i32 s13, s3, s4
	v_mov_b32_e32 v4, s2
	s_sub_i32 s3, s31, s13
	v_sub_co_u32_e32 v4, vcc, s30, v4
	s_cmp_lg_u64 vcc, 0
	s_subb_u32 s29, s3, s27
	v_subrev_co_u32_e64 v5, s[2:3], s26, v4
	s_cmp_lg_u64 s[2:3], 0
	s_subb_u32 s30, s29, 0
	s_cmp_ge_u32 s30, s27
	s_cselect_b32 s34, -1, 0
	v_cmp_le_u32_e64 s[4:5], s26, v5
	s_cmp_eq_u32 s30, s27
	v_cndmask_b32_e64 v6, 0, -1, s[4:5]
	v_mov_b32_e32 v7, s34
	s_cselect_b64 s[4:5], -1, 0
	s_cmp_lg_u64 s[2:3], 0
	v_cndmask_b32_e64 v6, v7, v6, s[4:5]
	s_subb_u32 s4, s29, s27
	v_subrev_co_u32_e64 v7, s[2:3], s26, v5
	s_cmp_lg_u64 s[2:3], 0
	s_subb_u32 s4, s4, 0
	v_cmp_ne_u32_e64 s[2:3], 0, v6
	v_cndmask_b32_e64 v5, v5, v7, s[2:3]
	v_mov_b32_e32 v6, s30
	v_mov_b32_e32 v7, s4
	s_cmp_lg_u64 vcc, 0
	v_cndmask_b32_e64 v6, v6, v7, s[2:3]
	s_subb_u32 s2, s31, s13
	s_cmp_ge_u32 s2, s27
	s_cselect_b32 s3, -1, 0
	v_cmp_le_u32_e32 vcc, s26, v4
	s_cmp_eq_u32 s2, s27
	v_cndmask_b32_e64 v7, 0, -1, vcc
	v_mov_b32_e32 v8, s3
	s_cselect_b64 vcc, -1, 0
	v_cndmask_b32_e32 v7, v8, v7, vcc
	v_cmp_ne_u32_e32 vcc, 0, v7
	v_mov_b32_e32 v8, s2
	v_cndmask_b32_e32 v4, v4, v5, vcc
	v_cndmask_b32_e32 v6, v8, v6, vcc
	v_xor_b32_e32 v4, s28, v4
	v_xor_b32_e32 v5, s28, v6
	v_mov_b32_e32 v6, s28
	v_subrev_co_u32_e32 v4, vcc, s28, v4
	v_subb_co_u32_e32 v5, vcc, v5, v6, vcc
	s_cbranch_execnz .LBB19_54
.LBB19_53:
	v_cvt_f32_u32_e32 v4, s16
	s_sub_i32 s2, 0, s16
	v_rcp_iflag_f32_e32 v4, v4
	v_mul_f32_e32 v4, 0x4f7ffffe, v4
	v_cvt_u32_f32_e32 v4, v4
	v_mul_lo_u32 v5, s2, v4
	v_mul_hi_u32 v5, v4, v5
	v_add_u32_e32 v4, v4, v5
	v_mul_hi_u32 v4, s22, v4
	v_mul_lo_u32 v4, v4, s16
	v_sub_u32_e32 v4, s22, v4
	v_subrev_u32_e32 v5, s16, v4
	v_cmp_le_u32_e32 vcc, s16, v4
	v_cndmask_b32_e32 v4, v4, v5, vcc
	v_subrev_u32_e32 v5, s16, v4
	v_cmp_le_u32_e32 vcc, s16, v4
	v_cndmask_b32_e32 v4, v4, v5, vcc
	v_mov_b32_e32 v5, 0
.LBB19_54:
	s_mov_b32 s4, 0x43600000
	v_div_scale_f32 v6, s[2:3], s4, s4, v1
	v_rcp_f32_e32 v7, v6
	v_div_scale_f32 v8, vcc, v1, s4, v1
	v_fma_f32 v9, -v6, v7, 1.0
	v_fmac_f32_e32 v7, v9, v7
	v_mul_f32_e32 v9, v8, v7
	v_fma_f32 v10, -v6, v9, v8
	v_fmac_f32_e32 v9, v10, v7
	v_fma_f32 v6, -v6, v9, v8
	v_div_fmas_f32 v6, v6, v7, v9
	v_div_fixup_f32 v1, v6, s4, v1
	v_mov_b32_e32 v6, s23
	v_sub_co_u32_e32 v4, vcc, s22, v4
	v_subb_co_u32_e32 v5, vcc, v6, v5, vcc
	v_mul_lo_u32 v5, v5, v2
	v_mul_lo_u32 v6, v4, v3
	v_mad_u64_u32 v[2:3], s[2:3], v4, v2, 0
	s_lshl_b64 s[2:3], s[6:7], 2
	v_add3_u32 v3, v3, v6, v5
	s_add_u32 s2, s2, s10
	v_lshlrev_b64 v[2:3], 2, v[2:3]
	s_addc_u32 s3, s3, s11
	v_mov_b32_e32 v4, s3
	v_add_co_u32_e32 v2, vcc, s2, v2
	v_max_f32_e32 v1, 0x37124925, v1
	v_addc_co_u32_e32 v3, vcc, v4, v3, vcc
	global_store_dword v[2:3], v1, off
.LBB19_55:
	s_or_b64 exec, exec, s[20:21]
	s_barrier
	s_and_saveexec_b64 s[2:3], s[0:1]
	s_cbranch_execz .LBB19_195
; %bb.56:
	s_add_u32 s1, s16, s48
	s_addc_u32 s2, s17, 0
	s_add_u32 s4, s1, -1
	s_addc_u32 s5, s2, -1
	s_or_b64 s[2:3], s[4:5], s[16:17]
	s_mov_b32 s0, 0
	s_mov_b32 s1, s3
	s_cmp_lg_u64 s[0:1], 0
	s_mov_b64 s[20:21], -1
	s_cbranch_scc0 .LBB19_197
; %bb.57:
	s_ashr_i32 s0, s17, 31
	s_add_u32 s2, s16, s0
	s_mov_b32 s1, s0
	s_addc_u32 s3, s17, s0
	s_xor_b64 s[22:23], s[2:3], s[0:1]
	v_cvt_f32_u32_e32 v1, s22
	v_cvt_f32_u32_e32 v2, s23
	s_sub_u32 s0, 0, s22
	s_subb_u32 s1, 0, s23
	v_madmk_f32 v1, v2, 0x4f800000, v1
	v_rcp_f32_e32 v1, v1
	v_mul_f32_e32 v1, 0x5f7ffffc, v1
	v_mul_f32_e32 v2, 0x2f800000, v1
	v_trunc_f32_e32 v2, v2
	v_madmk_f32 v1, v2, 0xcf800000, v1
	v_cvt_u32_f32_e32 v2, v2
	v_cvt_u32_f32_e32 v1, v1
	v_readfirstlane_b32 s2, v2
	v_readfirstlane_b32 s3, v1
	s_mul_i32 s13, s0, s2
	s_mul_hi_u32 s24, s0, s3
	s_mul_i32 s17, s1, s3
	s_add_i32 s13, s24, s13
	s_add_i32 s13, s13, s17
	s_mul_i32 s25, s0, s3
	s_mul_hi_u32 s17, s3, s13
	s_mul_i32 s24, s3, s13
	s_mul_hi_u32 s3, s3, s25
	s_add_u32 s3, s3, s24
	s_addc_u32 s17, 0, s17
	s_mul_hi_u32 s26, s2, s25
	s_mul_i32 s25, s2, s25
	s_add_u32 s3, s3, s25
	s_mul_hi_u32 s24, s2, s13
	s_addc_u32 s3, s17, s26
	s_addc_u32 s17, s24, 0
	s_mul_i32 s13, s2, s13
	s_add_u32 s3, s3, s13
	s_addc_u32 s13, 0, s17
	v_add_co_u32_e32 v1, vcc, s3, v1
	s_cmp_lg_u64 vcc, 0
	s_addc_u32 s2, s2, s13
	v_readfirstlane_b32 s13, v1
	s_mul_i32 s3, s0, s2
	s_mul_hi_u32 s17, s0, s13
	s_add_i32 s3, s17, s3
	s_mul_i32 s1, s1, s13
	s_add_i32 s3, s3, s1
	s_mul_i32 s0, s0, s13
	s_mul_hi_u32 s17, s2, s0
	s_mul_i32 s24, s2, s0
	s_mul_i32 s26, s13, s3
	s_mul_hi_u32 s0, s13, s0
	s_mul_hi_u32 s25, s13, s3
	s_add_u32 s0, s0, s26
	s_addc_u32 s13, 0, s25
	s_add_u32 s0, s0, s24
	s_mul_hi_u32 s1, s2, s3
	s_addc_u32 s0, s13, s17
	s_addc_u32 s1, s1, 0
	s_mul_i32 s3, s2, s3
	s_add_u32 s0, s0, s3
	s_addc_u32 s1, 0, s1
	v_add_co_u32_e32 v1, vcc, s0, v1
	s_cmp_lg_u64 vcc, 0
	s_addc_u32 s2, s2, s1
	s_ashr_i32 s24, s5, 31
	s_add_u32 s0, s4, s24
	s_mov_b32 s25, s24
	s_addc_u32 s1, s5, s24
	s_xor_b64 s[26:27], s[0:1], s[24:25]
	v_readfirstlane_b32 s3, v1
	s_mul_i32 s1, s26, s2
	s_mul_hi_u32 s13, s26, s3
	s_mul_hi_u32 s0, s26, s2
	s_add_u32 s1, s13, s1
	s_addc_u32 s0, 0, s0
	s_mul_hi_u32 s17, s27, s3
	s_mul_i32 s3, s27, s3
	s_add_u32 s1, s1, s3
	s_mul_hi_u32 s13, s27, s2
	s_addc_u32 s0, s0, s17
	s_addc_u32 s1, s13, 0
	s_mul_i32 s2, s27, s2
	s_add_u32 s0, s0, s2
	s_addc_u32 s1, 0, s1
	s_mul_i32 s1, s22, s1
	s_mul_hi_u32 s2, s22, s0
	s_add_i32 s1, s2, s1
	s_mul_i32 s2, s23, s0
	s_mul_i32 s0, s22, s0
	s_add_i32 s13, s1, s2
	v_mov_b32_e32 v1, s0
	s_sub_i32 s1, s27, s13
	v_sub_co_u32_e32 v1, vcc, s26, v1
	s_cmp_lg_u64 vcc, 0
	s_subb_u32 s17, s1, s23
	v_subrev_co_u32_e64 v2, s[0:1], s22, v1
	s_cmp_lg_u64 s[0:1], 0
	s_subb_u32 s25, s17, 0
	s_cmp_ge_u32 s25, s23
	s_cselect_b32 s26, -1, 0
	v_cmp_le_u32_e64 s[2:3], s22, v2
	s_cmp_eq_u32 s25, s23
	v_cndmask_b32_e64 v3, 0, -1, s[2:3]
	v_mov_b32_e32 v4, s26
	s_cselect_b64 s[2:3], -1, 0
	s_cmp_lg_u64 s[0:1], 0
	v_cndmask_b32_e64 v3, v4, v3, s[2:3]
	s_subb_u32 s2, s17, s23
	v_subrev_co_u32_e64 v4, s[0:1], s22, v2
	s_cmp_lg_u64 s[0:1], 0
	s_subb_u32 s2, s2, 0
	v_cmp_ne_u32_e64 s[0:1], 0, v3
	v_cndmask_b32_e64 v2, v2, v4, s[0:1]
	v_mov_b32_e32 v3, s25
	v_mov_b32_e32 v4, s2
	s_cmp_lg_u64 vcc, 0
	v_cndmask_b32_e64 v3, v3, v4, s[0:1]
	s_subb_u32 s0, s27, s13
	s_cmp_ge_u32 s0, s23
	s_cselect_b32 s1, -1, 0
	v_cmp_le_u32_e32 vcc, s22, v1
	s_cmp_eq_u32 s0, s23
	v_cndmask_b32_e64 v4, 0, -1, vcc
	v_mov_b32_e32 v5, s1
	s_cselect_b64 vcc, -1, 0
	v_cndmask_b32_e32 v4, v5, v4, vcc
	v_cmp_ne_u32_e32 vcc, 0, v4
	v_mov_b32_e32 v5, s0
	v_cndmask_b32_e32 v1, v1, v2, vcc
	v_cndmask_b32_e32 v3, v5, v3, vcc
	v_xor_b32_e32 v1, s24, v1
	v_xor_b32_e32 v3, s24, v3
	v_mov_b32_e32 v4, s24
	v_subrev_co_u32_e32 v2, vcc, s24, v1
	v_subb_co_u32_e32 v3, vcc, v3, v4, vcc
	s_cbranch_execnz .LBB19_59
.LBB19_58:
	v_cvt_f32_u32_e32 v1, s16
	s_sub_i32 s0, 0, s16
	v_mov_b32_e32 v3, 0
	v_rcp_iflag_f32_e32 v1, v1
	v_mul_f32_e32 v1, 0x4f7ffffe, v1
	v_cvt_u32_f32_e32 v1, v1
	v_mul_lo_u32 v2, s0, v1
	v_mul_hi_u32 v2, v1, v2
	v_add_u32_e32 v1, v1, v2
	v_mul_hi_u32 v1, s4, v1
	v_mul_lo_u32 v1, v1, s16
	v_sub_u32_e32 v1, s4, v1
	v_subrev_u32_e32 v2, s16, v1
	v_cmp_le_u32_e32 vcc, s16, v1
	v_cndmask_b32_e32 v1, v1, v2, vcc
	v_subrev_u32_e32 v2, s16, v1
	v_cmp_le_u32_e32 vcc, s16, v1
	v_cndmask_b32_e32 v2, v1, v2, vcc
.LBB19_59:
	s_add_u32 s13, s8, s18
	s_addc_u32 s18, s9, s19
	s_lshl_b64 s[0:1], s[6:7], 2
	s_add_u32 s19, s10, s0
	s_addc_u32 s20, s11, s1
	v_mov_b32_e32 v1, s5
	v_sub_co_u32_e32 v14, vcc, s4, v2
	v_subb_co_u32_e32 v15, vcc, v1, v3, vcc
	s_mul_i32 s21, s47, 3
	s_lshl_b32 s22, s47, 1
	s_mov_b64 s[0:1], 0
	v_mov_b32_e32 v1, 0
	v_mov_b32_e32 v16, s44
	v_mov_b32_e32 v17, s15
	v_mov_b32_e32 v18, s46
	v_mov_b32_e32 v19, s20
	s_mov_b32 s23, 0x43800000
	s_mov_b32 s24, 0x3bffffff
	s_mov_b32 s25, 0x487ffff
	s_mov_b32 s26, 0x46000000
	s_movk_i32 s27, 0x80
	s_mov_b32 s28, 0x4020c0c
	s_branch .LBB19_65
.LBB19_60:                              ;   in Loop: Header=BB19_65 Depth=1
	s_or_b64 exec, exec, s[16:17]
.LBB19_61:                              ;   in Loop: Header=BB19_65 Depth=1
	s_or_b64 exec, exec, s[8:9]
	v_lshlrev_b64 v[6:7], 2, v[0:1]
	v_mov_b32_e32 v0, s18
	v_add_co_u32_e32 v6, vcc, s13, v6
	v_addc_co_u32_e32 v7, vcc, v0, v7, vcc
	v_lshlrev_b32_e32 v0, 16, v4
	v_perm_b32 v0, v3, v0, s28
	v_lshlrev_b32_e32 v3, 8, v11
	v_and_b32_e32 v3, 0xff00, v3
	v_and_b32_e32 v2, 0xff, v2
	s_add_i32 s8, s47, s47
	v_or3_b32 v0, v0, v3, v2
	s_add_i32 s8, s8, s47
	global_store_dword v[6:7], v0, off
	v_add_u32_e32 v0, s8, v10
	v_cmp_le_u32_e32 vcc, s12, v0
	s_orn2_b64 s[8:9], vcc, exec
.LBB19_62:                              ;   in Loop: Header=BB19_65 Depth=1
	s_or_b64 exec, exec, s[6:7]
	s_orn2_b64 s[6:7], s[8:9], exec
.LBB19_63:                              ;   in Loop: Header=BB19_65 Depth=1
	s_or_b64 exec, exec, s[4:5]
	s_orn2_b64 s[4:5], s[6:7], exec
.LBB19_64:                              ;   in Loop: Header=BB19_65 Depth=1
	s_or_b64 exec, exec, s[2:3]
	s_and_b64 s[2:3], exec, s[4:5]
	s_or_b64 s[0:1], s[2:3], s[0:1]
	s_andn2_b64 exec, exec, s[0:1]
	s_cbranch_execz .LBB19_195
.LBB19_65:                              ; =>This Inner Loop Header: Depth=1
	v_lshlrev_b64 v[6:7], 4, v[0:1]
	v_add_co_u32_e32 v10, vcc, s33, v6
	v_addc_co_u32_e32 v11, vcc, v16, v7, vcc
	v_add_co_u32_e32 v2, vcc, s14, v6
	v_addc_co_u32_e32 v3, vcc, v17, v7, vcc
	v_add_co_u32_e32 v12, vcc, s45, v6
	v_bfe_u32 v25, v0, 5, 25
	global_load_dwordx4 v[2:5], v[2:3], off
	v_addc_co_u32_e32 v13, vcc, v18, v7, vcc
	global_load_dwordx4 v[6:9], v[10:11], off
	global_load_dwordx4 v[20:23], v[12:13], off
	v_mad_u64_u32 v[10:11], s[2:3], v14, v25, 0
	v_mov_b32_e32 v24, v11
	v_mad_u64_u32 v[24:25], s[2:3], v15, v25, v[24:25]
	v_mov_b32_e32 v11, v24
	v_lshlrev_b64 v[10:11], 2, v[10:11]
	v_add_co_u32_e32 v10, vcc, s19, v10
	v_addc_co_u32_e32 v11, vcc, v19, v11, vcc
	global_load_dword v11, v[10:11], off
	v_mov_b32_e32 v10, 0x80
	s_waitcnt vmcnt(1)
	v_pk_add_f32 v[6:7], v[6:7], v[20:21]
	v_mul_f32_e32 v20, v36, v6
	v_mul_f32_e32 v2, v2, v20
	v_pk_add_f32 v[8:9], v[8:9], v[22:23]
	global_store_dwordx4 v[12:13], v[6:9], off
	s_waitcnt vmcnt(1)
	v_div_scale_f32 v20, s[2:3], v11, v11, v2
	v_rcp_f32_e32 v21, v20
	v_div_scale_f32 v6, vcc, v2, v11, v2
	v_fma_f32 v12, -v20, v21, 1.0
	v_fmac_f32_e32 v21, v12, v21
	v_mul_f32_e32 v12, v6, v21
	v_fma_f32 v13, -v20, v12, v6
	v_fmac_f32_e32 v12, v13, v21
	v_fma_f32 v6, -v20, v12, v6
	v_div_fmas_f32 v6, v6, v21, v12
	v_div_fixup_f32 v2, v6, v11, v2
	v_min_f32_e32 v2, 0x43600000, v2
	v_max_f32_e32 v6, 0xc3600000, v2
	v_and_b32_e32 v12, 0x7fffffff, v6
	v_cmp_gt_u32_e32 vcc, s23, v12
	v_mov_b32_e32 v2, 0x80
	s_and_saveexec_b64 s[2:3], vcc
	s_cbranch_execz .LBB19_71
; %bb.66:                               ;   in Loop: Header=BB19_65 Depth=1
	v_cmp_lt_u32_e32 vcc, s24, v12
	s_mov_b64 s[4:5], 0
                                        ; implicit-def: $vgpr12
	s_and_saveexec_b64 s[6:7], vcc
	s_xor_b64 s[6:7], exec, s[6:7]
	s_cbranch_execnz .LBB19_162
; %bb.67:                               ;   in Loop: Header=BB19_65 Depth=1
	s_or_saveexec_b64 s[6:7], s[6:7]
                                        ; implicit-def: $sgpr8
	s_xor_b64 exec, exec, s[6:7]
	s_cbranch_execnz .LBB19_163
.LBB19_68:                              ;   in Loop: Header=BB19_65 Depth=1
	s_or_b64 exec, exec, s[6:7]
	v_mov_b32_e32 v2, s8
	s_and_saveexec_b64 s[6:7], s[4:5]
.LBB19_69:                              ;   in Loop: Header=BB19_65 Depth=1
	v_lshrrev_b32_e32 v2, 24, v6
	v_and_or_b32 v2, v2, s27, v12
.LBB19_70:                              ;   in Loop: Header=BB19_65 Depth=1
	s_or_b64 exec, exec, s[6:7]
.LBB19_71:                              ;   in Loop: Header=BB19_65 Depth=1
	s_or_b64 exec, exec, s[2:3]
	v_mul_f32_e32 v6, v36, v7
	v_mul_f32_e32 v3, v3, v6
	v_div_scale_f32 v6, s[2:3], v11, v11, v3
	v_rcp_f32_e32 v7, v6
	v_div_scale_f32 v12, vcc, v3, v11, v3
	v_fma_f32 v13, -v6, v7, 1.0
	v_fmac_f32_e32 v7, v13, v7
	v_mul_f32_e32 v13, v12, v7
	v_fma_f32 v20, -v6, v13, v12
	v_fmac_f32_e32 v13, v20, v7
	v_fma_f32 v6, -v6, v13, v12
	v_div_fmas_f32 v6, v6, v7, v13
	v_div_fixup_f32 v3, v6, v11, v3
	v_min_f32_e32 v3, 0x43600000, v3
	v_max_f32_e32 v3, 0xc3600000, v3
	v_and_b32_e32 v6, 0x7fffffff, v3
	v_cmp_gt_u32_e32 vcc, s23, v6
	s_and_saveexec_b64 s[2:3], vcc
	s_cbranch_execz .LBB19_77
; %bb.72:                               ;   in Loop: Header=BB19_65 Depth=1
	v_cmp_lt_u32_e32 vcc, s24, v6
	s_mov_b64 s[4:5], 0
                                        ; implicit-def: $vgpr6
	s_and_saveexec_b64 s[6:7], vcc
	s_xor_b64 s[6:7], exec, s[6:7]
	s_cbranch_execnz .LBB19_164
; %bb.73:                               ;   in Loop: Header=BB19_65 Depth=1
	s_or_saveexec_b64 s[6:7], s[6:7]
                                        ; implicit-def: $sgpr8
	s_xor_b64 exec, exec, s[6:7]
	s_cbranch_execnz .LBB19_165
.LBB19_74:                              ;   in Loop: Header=BB19_65 Depth=1
	s_or_b64 exec, exec, s[6:7]
	v_mov_b32_e32 v10, s8
	s_and_saveexec_b64 s[6:7], s[4:5]
.LBB19_75:                              ;   in Loop: Header=BB19_65 Depth=1
	v_lshrrev_b32_e32 v3, 24, v3
	v_and_or_b32 v10, v3, s27, v6
.LBB19_76:                              ;   in Loop: Header=BB19_65 Depth=1
	s_or_b64 exec, exec, s[6:7]
.LBB19_77:                              ;   in Loop: Header=BB19_65 Depth=1
	s_or_b64 exec, exec, s[2:3]
	v_mul_f32_e32 v3, v36, v8
	v_mul_f32_e32 v3, v4, v3
	v_div_scale_f32 v4, s[2:3], v11, v11, v3
	v_rcp_f32_e32 v6, v4
	v_div_scale_f32 v7, vcc, v3, v11, v3
	v_fma_f32 v8, -v4, v6, 1.0
	v_fmac_f32_e32 v6, v8, v6
	v_mul_f32_e32 v8, v7, v6
	v_fma_f32 v12, -v4, v8, v7
	v_fmac_f32_e32 v8, v12, v6
	v_fma_f32 v4, -v4, v8, v7
	v_div_fmas_f32 v4, v4, v6, v8
	v_div_fixup_f32 v3, v4, v11, v3
	v_min_f32_e32 v3, 0x43600000, v3
	v_max_f32_e32 v6, 0xc3600000, v3
	v_and_b32_e32 v7, 0x7fffffff, v6
	v_cmp_gt_u32_e32 vcc, s23, v7
	v_mov_b32_e32 v3, 0x80
	v_mov_b32_e32 v4, 0x80
	s_and_saveexec_b64 s[2:3], vcc
	s_cbranch_execz .LBB19_83
; %bb.78:                               ;   in Loop: Header=BB19_65 Depth=1
	v_cmp_lt_u32_e32 vcc, s24, v7
	s_mov_b64 s[4:5], 0
                                        ; implicit-def: $vgpr7
	s_and_saveexec_b64 s[6:7], vcc
	s_xor_b64 s[6:7], exec, s[6:7]
	s_cbranch_execnz .LBB19_166
; %bb.79:                               ;   in Loop: Header=BB19_65 Depth=1
	s_or_saveexec_b64 s[6:7], s[6:7]
                                        ; implicit-def: $sgpr8
	s_xor_b64 exec, exec, s[6:7]
	s_cbranch_execnz .LBB19_167
.LBB19_80:                              ;   in Loop: Header=BB19_65 Depth=1
	s_or_b64 exec, exec, s[6:7]
	v_mov_b32_e32 v4, s8
	s_and_saveexec_b64 s[6:7], s[4:5]
.LBB19_81:                              ;   in Loop: Header=BB19_65 Depth=1
	v_lshrrev_b32_e32 v4, 24, v6
	v_and_or_b32 v4, v4, s27, v7
.LBB19_82:                              ;   in Loop: Header=BB19_65 Depth=1
	s_or_b64 exec, exec, s[6:7]
.LBB19_83:                              ;   in Loop: Header=BB19_65 Depth=1
	s_or_b64 exec, exec, s[2:3]
	v_mul_f32_e32 v6, v36, v9
	v_mul_f32_e32 v5, v5, v6
	v_div_scale_f32 v6, s[2:3], v11, v11, v5
	v_rcp_f32_e32 v7, v6
	v_div_scale_f32 v8, vcc, v5, v11, v5
	v_fma_f32 v9, -v6, v7, 1.0
	v_fmac_f32_e32 v7, v9, v7
	v_mul_f32_e32 v9, v8, v7
	v_fma_f32 v12, -v6, v9, v8
	v_fmac_f32_e32 v9, v12, v7
	v_fma_f32 v6, -v6, v9, v8
	v_div_fmas_f32 v6, v6, v7, v9
	v_div_fixup_f32 v5, v6, v11, v5
	v_min_f32_e32 v5, 0x43600000, v5
	v_max_f32_e32 v5, 0xc3600000, v5
	v_and_b32_e32 v6, 0x7fffffff, v5
	v_cmp_gt_u32_e32 vcc, s23, v6
	s_and_saveexec_b64 s[2:3], vcc
	s_cbranch_execz .LBB19_89
; %bb.84:                               ;   in Loop: Header=BB19_65 Depth=1
	v_cmp_lt_u32_e32 vcc, s24, v6
	s_mov_b64 s[4:5], 0
                                        ; implicit-def: $vgpr6
	s_and_saveexec_b64 s[6:7], vcc
	s_xor_b64 s[6:7], exec, s[6:7]
	s_cbranch_execnz .LBB19_168
; %bb.85:                               ;   in Loop: Header=BB19_65 Depth=1
	s_or_saveexec_b64 s[6:7], s[6:7]
                                        ; implicit-def: $sgpr8
	s_xor_b64 exec, exec, s[6:7]
	s_cbranch_execnz .LBB19_169
.LBB19_86:                              ;   in Loop: Header=BB19_65 Depth=1
	s_or_b64 exec, exec, s[6:7]
	v_mov_b32_e32 v3, s8
	s_and_saveexec_b64 s[6:7], s[4:5]
.LBB19_87:                              ;   in Loop: Header=BB19_65 Depth=1
	v_lshrrev_b32_e32 v3, 24, v5
	v_and_or_b32 v3, v3, s27, v6
.LBB19_88:                              ;   in Loop: Header=BB19_65 Depth=1
	s_or_b64 exec, exec, s[6:7]
.LBB19_89:                              ;   in Loop: Header=BB19_65 Depth=1
	s_or_b64 exec, exec, s[2:3]
	v_lshlrev_b64 v[6:7], 2, v[0:1]
	v_lshlrev_b32_e32 v4, 16, v4
	v_mov_b32_e32 v5, s18
	v_add_co_u32_e32 v6, vcc, s13, v6
	v_perm_b32 v3, v3, v4, s28
	v_lshlrev_b32_e32 v4, 8, v10
	v_addc_co_u32_e32 v7, vcc, v5, v7, vcc
	v_and_b32_e32 v4, 0xff00, v4
	v_and_b32_e32 v2, 0xff, v2
	v_add_u32_e32 v10, s47, v0
	v_or3_b32 v2, v3, v4, v2
	v_cmp_gt_u32_e32 vcc, s12, v10
	s_mov_b64 s[4:5], -1
	global_store_dword v[6:7], v2, off
	s_and_saveexec_b64 s[2:3], vcc
	s_cbranch_execz .LBB19_64
; %bb.90:                               ;   in Loop: Header=BB19_65 Depth=1
	v_mov_b32_e32 v11, v1
	v_lshlrev_b64 v[6:7], 4, v[10:11]
	v_mov_b32_e32 v2, s44
	v_add_co_u32_e32 v12, vcc, s33, v6
	v_addc_co_u32_e32 v13, vcc, v2, v7, vcc
	v_mov_b32_e32 v3, s15
	v_add_co_u32_e32 v2, vcc, s14, v6
	v_addc_co_u32_e32 v3, vcc, v3, v7, vcc
	v_mov_b32_e32 v8, s46
	v_add_co_u32_e32 v24, vcc, s45, v6
	v_bfe_u32 v27, v10, 5, 25
	global_load_dwordx4 v[2:5], v[2:3], off
	v_addc_co_u32_e32 v25, vcc, v8, v7, vcc
	global_load_dwordx4 v[6:9], v[12:13], off
	global_load_dwordx4 v[20:23], v[24:25], off
	v_mad_u64_u32 v[12:13], s[4:5], v14, v27, 0
	v_mov_b32_e32 v26, v13
	v_mad_u64_u32 v[26:27], s[4:5], v15, v27, v[26:27]
	v_mov_b32_e32 v13, v26
	v_lshlrev_b64 v[12:13], 2, v[12:13]
	v_mov_b32_e32 v26, s20
	v_add_co_u32_e32 v12, vcc, s19, v12
	v_addc_co_u32_e32 v13, vcc, v26, v13, vcc
	global_load_dword v13, v[12:13], off
	v_mov_b32_e32 v12, 0x80
	s_waitcnt vmcnt(1)
	v_pk_add_f32 v[6:7], v[6:7], v[20:21]
	v_mul_f32_e32 v20, v36, v6
	v_mul_f32_e32 v2, v2, v20
	v_pk_add_f32 v[8:9], v[8:9], v[22:23]
	global_store_dwordx4 v[24:25], v[6:9], off
	s_waitcnt vmcnt(1)
	v_div_scale_f32 v20, s[4:5], v13, v13, v2
	v_rcp_f32_e32 v21, v20
	v_div_scale_f32 v6, vcc, v2, v13, v2
	v_fma_f32 v22, -v20, v21, 1.0
	v_fmac_f32_e32 v21, v22, v21
	v_mul_f32_e32 v22, v6, v21
	v_fma_f32 v23, -v20, v22, v6
	v_fmac_f32_e32 v22, v23, v21
	v_fma_f32 v6, -v20, v22, v6
	v_div_fmas_f32 v6, v6, v21, v22
	v_div_fixup_f32 v2, v6, v13, v2
	v_min_f32_e32 v2, 0x43600000, v2
	v_max_f32_e32 v6, 0xc3600000, v2
	v_and_b32_e32 v20, 0x7fffffff, v6
	v_cmp_gt_u32_e32 vcc, s23, v20
	v_mov_b32_e32 v2, 0x80
	s_and_saveexec_b64 s[4:5], vcc
	s_cbranch_execz .LBB19_96
; %bb.91:                               ;   in Loop: Header=BB19_65 Depth=1
	v_cmp_lt_u32_e32 vcc, s24, v20
	s_mov_b64 s[6:7], 0
                                        ; implicit-def: $vgpr20
	s_and_saveexec_b64 s[8:9], vcc
	s_xor_b64 s[8:9], exec, s[8:9]
	s_cbranch_execnz .LBB19_170
; %bb.92:                               ;   in Loop: Header=BB19_65 Depth=1
	s_or_saveexec_b64 s[8:9], s[8:9]
                                        ; implicit-def: $sgpr10
	s_xor_b64 exec, exec, s[8:9]
	s_cbranch_execnz .LBB19_171
.LBB19_93:                              ;   in Loop: Header=BB19_65 Depth=1
	s_or_b64 exec, exec, s[8:9]
	v_mov_b32_e32 v2, s10
	s_and_saveexec_b64 s[8:9], s[6:7]
.LBB19_94:                              ;   in Loop: Header=BB19_65 Depth=1
	v_lshrrev_b32_e32 v2, 24, v6
	v_and_or_b32 v2, v2, s27, v20
.LBB19_95:                              ;   in Loop: Header=BB19_65 Depth=1
	s_or_b64 exec, exec, s[8:9]
.LBB19_96:                              ;   in Loop: Header=BB19_65 Depth=1
	s_or_b64 exec, exec, s[4:5]
	v_mul_f32_e32 v6, v36, v7
	v_mul_f32_e32 v3, v3, v6
	v_div_scale_f32 v6, s[4:5], v13, v13, v3
	v_rcp_f32_e32 v7, v6
	v_div_scale_f32 v20, vcc, v3, v13, v3
	v_fma_f32 v21, -v6, v7, 1.0
	v_fmac_f32_e32 v7, v21, v7
	v_mul_f32_e32 v21, v20, v7
	v_fma_f32 v22, -v6, v21, v20
	v_fmac_f32_e32 v21, v22, v7
	v_fma_f32 v6, -v6, v21, v20
	v_div_fmas_f32 v6, v6, v7, v21
	v_div_fixup_f32 v3, v6, v13, v3
	v_min_f32_e32 v3, 0x43600000, v3
	v_max_f32_e32 v3, 0xc3600000, v3
	v_and_b32_e32 v6, 0x7fffffff, v3
	v_cmp_gt_u32_e32 vcc, s23, v6
	s_and_saveexec_b64 s[4:5], vcc
	s_cbranch_execz .LBB19_102
; %bb.97:                               ;   in Loop: Header=BB19_65 Depth=1
	v_cmp_lt_u32_e32 vcc, s24, v6
	s_mov_b64 s[6:7], 0
                                        ; implicit-def: $vgpr6
	s_and_saveexec_b64 s[8:9], vcc
	s_xor_b64 s[8:9], exec, s[8:9]
	s_cbranch_execnz .LBB19_172
; %bb.98:                               ;   in Loop: Header=BB19_65 Depth=1
	s_or_saveexec_b64 s[8:9], s[8:9]
                                        ; implicit-def: $sgpr10
	s_xor_b64 exec, exec, s[8:9]
	s_cbranch_execnz .LBB19_173
.LBB19_99:                              ;   in Loop: Header=BB19_65 Depth=1
	s_or_b64 exec, exec, s[8:9]
	v_mov_b32_e32 v12, s10
	s_and_saveexec_b64 s[8:9], s[6:7]
.LBB19_100:                             ;   in Loop: Header=BB19_65 Depth=1
	v_lshrrev_b32_e32 v3, 24, v3
	v_and_or_b32 v12, v3, s27, v6
.LBB19_101:                             ;   in Loop: Header=BB19_65 Depth=1
	s_or_b64 exec, exec, s[8:9]
.LBB19_102:                             ;   in Loop: Header=BB19_65 Depth=1
	s_or_b64 exec, exec, s[4:5]
	v_mul_f32_e32 v3, v36, v8
	v_mul_f32_e32 v3, v4, v3
	v_div_scale_f32 v4, s[4:5], v13, v13, v3
	v_rcp_f32_e32 v6, v4
	v_div_scale_f32 v7, vcc, v3, v13, v3
	v_fma_f32 v8, -v4, v6, 1.0
	v_fmac_f32_e32 v6, v8, v6
	v_mul_f32_e32 v8, v7, v6
	v_fma_f32 v20, -v4, v8, v7
	v_fmac_f32_e32 v8, v20, v6
	v_fma_f32 v4, -v4, v8, v7
	v_div_fmas_f32 v4, v4, v6, v8
	v_div_fixup_f32 v3, v4, v13, v3
	v_min_f32_e32 v3, 0x43600000, v3
	v_max_f32_e32 v6, 0xc3600000, v3
	v_and_b32_e32 v7, 0x7fffffff, v6
	v_cmp_gt_u32_e32 vcc, s23, v7
	v_mov_b32_e32 v3, 0x80
	v_mov_b32_e32 v4, 0x80
	s_and_saveexec_b64 s[4:5], vcc
	s_cbranch_execz .LBB19_108
; %bb.103:                              ;   in Loop: Header=BB19_65 Depth=1
	v_cmp_lt_u32_e32 vcc, s24, v7
	s_mov_b64 s[6:7], 0
                                        ; implicit-def: $vgpr7
	s_and_saveexec_b64 s[8:9], vcc
	s_xor_b64 s[8:9], exec, s[8:9]
	s_cbranch_execnz .LBB19_174
; %bb.104:                              ;   in Loop: Header=BB19_65 Depth=1
	s_or_saveexec_b64 s[8:9], s[8:9]
                                        ; implicit-def: $sgpr10
	s_xor_b64 exec, exec, s[8:9]
	s_cbranch_execnz .LBB19_175
.LBB19_105:                             ;   in Loop: Header=BB19_65 Depth=1
	s_or_b64 exec, exec, s[8:9]
	v_mov_b32_e32 v4, s10
	s_and_saveexec_b64 s[8:9], s[6:7]
.LBB19_106:                             ;   in Loop: Header=BB19_65 Depth=1
	v_lshrrev_b32_e32 v4, 24, v6
	v_and_or_b32 v4, v4, s27, v7
.LBB19_107:                             ;   in Loop: Header=BB19_65 Depth=1
	s_or_b64 exec, exec, s[8:9]
.LBB19_108:                             ;   in Loop: Header=BB19_65 Depth=1
	s_or_b64 exec, exec, s[4:5]
	v_mul_f32_e32 v6, v36, v9
	v_mul_f32_e32 v5, v5, v6
	v_div_scale_f32 v6, s[4:5], v13, v13, v5
	v_rcp_f32_e32 v7, v6
	v_div_scale_f32 v8, vcc, v5, v13, v5
	v_fma_f32 v9, -v6, v7, 1.0
	v_fmac_f32_e32 v7, v9, v7
	v_mul_f32_e32 v9, v8, v7
	v_fma_f32 v20, -v6, v9, v8
	v_fmac_f32_e32 v9, v20, v7
	v_fma_f32 v6, -v6, v9, v8
	v_div_fmas_f32 v6, v6, v7, v9
	v_div_fixup_f32 v5, v6, v13, v5
	v_min_f32_e32 v5, 0x43600000, v5
	v_max_f32_e32 v5, 0xc3600000, v5
	v_and_b32_e32 v6, 0x7fffffff, v5
	v_cmp_gt_u32_e32 vcc, s23, v6
	s_and_saveexec_b64 s[4:5], vcc
	s_cbranch_execz .LBB19_114
; %bb.109:                              ;   in Loop: Header=BB19_65 Depth=1
	v_cmp_lt_u32_e32 vcc, s24, v6
	s_mov_b64 s[6:7], 0
                                        ; implicit-def: $vgpr6
	s_and_saveexec_b64 s[8:9], vcc
	s_xor_b64 s[8:9], exec, s[8:9]
	s_cbranch_execnz .LBB19_176
; %bb.110:                              ;   in Loop: Header=BB19_65 Depth=1
	s_or_saveexec_b64 s[8:9], s[8:9]
                                        ; implicit-def: $sgpr10
	s_xor_b64 exec, exec, s[8:9]
	s_cbranch_execnz .LBB19_177
.LBB19_111:                             ;   in Loop: Header=BB19_65 Depth=1
	s_or_b64 exec, exec, s[8:9]
	v_mov_b32_e32 v3, s10
	s_and_saveexec_b64 s[8:9], s[6:7]
.LBB19_112:                             ;   in Loop: Header=BB19_65 Depth=1
	v_lshrrev_b32_e32 v3, 24, v5
	v_and_or_b32 v3, v3, s27, v6
.LBB19_113:                             ;   in Loop: Header=BB19_65 Depth=1
	s_or_b64 exec, exec, s[8:9]
.LBB19_114:                             ;   in Loop: Header=BB19_65 Depth=1
	s_or_b64 exec, exec, s[4:5]
	v_lshlrev_b64 v[6:7], 2, v[10:11]
	v_lshlrev_b32_e32 v4, 16, v4
	v_mov_b32_e32 v5, s18
	v_add_co_u32_e32 v6, vcc, s13, v6
	v_perm_b32 v3, v3, v4, s28
	v_lshlrev_b32_e32 v4, 8, v12
	v_addc_co_u32_e32 v7, vcc, v5, v7, vcc
	v_and_b32_e32 v4, 0xff00, v4
	v_and_b32_e32 v2, 0xff, v2
	v_add_u32_e32 v12, s22, v0
	v_or3_b32 v2, v3, v4, v2
	v_cmp_gt_u32_e32 vcc, s12, v12
	s_mov_b64 s[6:7], -1
	global_store_dword v[6:7], v2, off
	s_and_saveexec_b64 s[4:5], vcc
	s_cbranch_execz .LBB19_63
; %bb.115:                              ;   in Loop: Header=BB19_65 Depth=1
	v_mov_b32_e32 v13, v1
	v_lshlrev_b64 v[6:7], 4, v[12:13]
	v_mov_b32_e32 v2, s44
	v_add_co_u32_e32 v20, vcc, s33, v6
	v_addc_co_u32_e32 v21, vcc, v2, v7, vcc
	v_mov_b32_e32 v3, s15
	v_add_co_u32_e32 v2, vcc, s14, v6
	v_addc_co_u32_e32 v3, vcc, v3, v7, vcc
	v_mov_b32_e32 v8, s46
	v_add_co_u32_e32 v26, vcc, s45, v6
	v_bfe_u32 v11, v12, 5, 25
	global_load_dwordx4 v[2:5], v[2:3], off
	v_addc_co_u32_e32 v27, vcc, v8, v7, vcc
	global_load_dwordx4 v[6:9], v[20:21], off
	global_load_dwordx4 v[22:25], v[26:27], off
	v_mad_u64_u32 v[20:21], s[6:7], v14, v11, 0
	v_mov_b32_e32 v28, v21
	v_mad_u64_u32 v[28:29], s[6:7], v15, v11, v[28:29]
	v_mov_b32_e32 v21, v28
	v_lshlrev_b64 v[20:21], 2, v[20:21]
	v_mov_b32_e32 v11, s20
	v_add_co_u32_e32 v20, vcc, s19, v20
	v_addc_co_u32_e32 v21, vcc, v11, v21, vcc
	global_load_dword v20, v[20:21], off
	v_mov_b32_e32 v11, 0x80
	s_waitcnt vmcnt(1)
	v_pk_add_f32 v[6:7], v[6:7], v[22:23]
	v_mul_f32_e32 v21, v36, v6
	v_mul_f32_e32 v2, v2, v21
	v_pk_add_f32 v[8:9], v[8:9], v[24:25]
	global_store_dwordx4 v[26:27], v[6:9], off
	s_waitcnt vmcnt(1)
	v_div_scale_f32 v21, s[6:7], v20, v20, v2
	v_rcp_f32_e32 v22, v21
	v_div_scale_f32 v6, vcc, v2, v20, v2
	v_fma_f32 v23, -v21, v22, 1.0
	v_fmac_f32_e32 v22, v23, v22
	v_mul_f32_e32 v23, v6, v22
	v_fma_f32 v24, -v21, v23, v6
	v_fmac_f32_e32 v23, v24, v22
	v_fma_f32 v6, -v21, v23, v6
	v_div_fmas_f32 v6, v6, v22, v23
	v_div_fixup_f32 v2, v6, v20, v2
	v_min_f32_e32 v2, 0x43600000, v2
	v_max_f32_e32 v6, 0xc3600000, v2
	v_and_b32_e32 v21, 0x7fffffff, v6
	v_cmp_gt_u32_e32 vcc, s23, v21
	v_mov_b32_e32 v2, 0x80
	s_and_saveexec_b64 s[6:7], vcc
	s_cbranch_execz .LBB19_121
; %bb.116:                              ;   in Loop: Header=BB19_65 Depth=1
	v_cmp_lt_u32_e32 vcc, s24, v21
	s_mov_b64 s[8:9], 0
                                        ; implicit-def: $vgpr21
	s_and_saveexec_b64 s[10:11], vcc
	s_xor_b64 s[10:11], exec, s[10:11]
	s_cbranch_execnz .LBB19_178
; %bb.117:                              ;   in Loop: Header=BB19_65 Depth=1
	s_or_saveexec_b64 s[10:11], s[10:11]
                                        ; implicit-def: $sgpr16
	s_xor_b64 exec, exec, s[10:11]
	s_cbranch_execnz .LBB19_179
.LBB19_118:                             ;   in Loop: Header=BB19_65 Depth=1
	s_or_b64 exec, exec, s[10:11]
	v_mov_b32_e32 v2, s16
	s_and_saveexec_b64 s[10:11], s[8:9]
.LBB19_119:                             ;   in Loop: Header=BB19_65 Depth=1
	v_lshrrev_b32_e32 v2, 24, v6
	v_and_or_b32 v2, v2, s27, v21
.LBB19_120:                             ;   in Loop: Header=BB19_65 Depth=1
	s_or_b64 exec, exec, s[10:11]
.LBB19_121:                             ;   in Loop: Header=BB19_65 Depth=1
	s_or_b64 exec, exec, s[6:7]
	v_mul_f32_e32 v6, v36, v7
	v_mul_f32_e32 v3, v3, v6
	v_div_scale_f32 v6, s[6:7], v20, v20, v3
	v_rcp_f32_e32 v7, v6
	v_div_scale_f32 v21, vcc, v3, v20, v3
	v_fma_f32 v22, -v6, v7, 1.0
	v_fmac_f32_e32 v7, v22, v7
	v_mul_f32_e32 v22, v21, v7
	v_fma_f32 v23, -v6, v22, v21
	v_fmac_f32_e32 v22, v23, v7
	v_fma_f32 v6, -v6, v22, v21
	v_div_fmas_f32 v6, v6, v7, v22
	v_div_fixup_f32 v3, v6, v20, v3
	v_min_f32_e32 v3, 0x43600000, v3
	v_max_f32_e32 v3, 0xc3600000, v3
	v_and_b32_e32 v6, 0x7fffffff, v3
	v_cmp_gt_u32_e32 vcc, s23, v6
	s_and_saveexec_b64 s[6:7], vcc
	s_cbranch_execz .LBB19_127
; %bb.122:                              ;   in Loop: Header=BB19_65 Depth=1
	v_cmp_lt_u32_e32 vcc, s24, v6
	s_mov_b64 s[8:9], 0
                                        ; implicit-def: $vgpr6
	s_and_saveexec_b64 s[10:11], vcc
	s_xor_b64 s[10:11], exec, s[10:11]
	s_cbranch_execnz .LBB19_180
; %bb.123:                              ;   in Loop: Header=BB19_65 Depth=1
	s_or_saveexec_b64 s[10:11], s[10:11]
                                        ; implicit-def: $sgpr16
	s_xor_b64 exec, exec, s[10:11]
	s_cbranch_execnz .LBB19_181
.LBB19_124:                             ;   in Loop: Header=BB19_65 Depth=1
	s_or_b64 exec, exec, s[10:11]
	v_mov_b32_e32 v11, s16
	s_and_saveexec_b64 s[10:11], s[8:9]
.LBB19_125:                             ;   in Loop: Header=BB19_65 Depth=1
	v_lshrrev_b32_e32 v3, 24, v3
	v_and_or_b32 v11, v3, s27, v6
.LBB19_126:                             ;   in Loop: Header=BB19_65 Depth=1
	s_or_b64 exec, exec, s[10:11]
.LBB19_127:                             ;   in Loop: Header=BB19_65 Depth=1
	s_or_b64 exec, exec, s[6:7]
	v_mul_f32_e32 v3, v36, v8
	v_mul_f32_e32 v3, v4, v3
	v_div_scale_f32 v4, s[6:7], v20, v20, v3
	v_rcp_f32_e32 v6, v4
	v_div_scale_f32 v7, vcc, v3, v20, v3
	v_fma_f32 v8, -v4, v6, 1.0
	v_fmac_f32_e32 v6, v8, v6
	v_mul_f32_e32 v8, v7, v6
	v_fma_f32 v21, -v4, v8, v7
	v_fmac_f32_e32 v8, v21, v6
	v_fma_f32 v4, -v4, v8, v7
	v_div_fmas_f32 v4, v4, v6, v8
	v_div_fixup_f32 v3, v4, v20, v3
	v_min_f32_e32 v3, 0x43600000, v3
	v_max_f32_e32 v6, 0xc3600000, v3
	v_and_b32_e32 v7, 0x7fffffff, v6
	v_cmp_gt_u32_e32 vcc, s23, v7
	v_mov_b32_e32 v3, 0x80
	v_mov_b32_e32 v4, 0x80
	s_and_saveexec_b64 s[6:7], vcc
	s_cbranch_execz .LBB19_133
; %bb.128:                              ;   in Loop: Header=BB19_65 Depth=1
	v_cmp_lt_u32_e32 vcc, s24, v7
	s_mov_b64 s[8:9], 0
                                        ; implicit-def: $vgpr7
	s_and_saveexec_b64 s[10:11], vcc
	s_xor_b64 s[10:11], exec, s[10:11]
	s_cbranch_execnz .LBB19_182
; %bb.129:                              ;   in Loop: Header=BB19_65 Depth=1
	s_or_saveexec_b64 s[10:11], s[10:11]
                                        ; implicit-def: $sgpr16
	s_xor_b64 exec, exec, s[10:11]
	s_cbranch_execnz .LBB19_183
.LBB19_130:                             ;   in Loop: Header=BB19_65 Depth=1
	s_or_b64 exec, exec, s[10:11]
	v_mov_b32_e32 v4, s16
	s_and_saveexec_b64 s[10:11], s[8:9]
.LBB19_131:                             ;   in Loop: Header=BB19_65 Depth=1
	v_lshrrev_b32_e32 v4, 24, v6
	v_and_or_b32 v4, v4, s27, v7
.LBB19_132:                             ;   in Loop: Header=BB19_65 Depth=1
	s_or_b64 exec, exec, s[10:11]
.LBB19_133:                             ;   in Loop: Header=BB19_65 Depth=1
	s_or_b64 exec, exec, s[6:7]
	v_mul_f32_e32 v6, v36, v9
	v_mul_f32_e32 v5, v5, v6
	v_div_scale_f32 v6, s[6:7], v20, v20, v5
	v_rcp_f32_e32 v7, v6
	v_div_scale_f32 v8, vcc, v5, v20, v5
	v_fma_f32 v9, -v6, v7, 1.0
	v_fmac_f32_e32 v7, v9, v7
	v_mul_f32_e32 v9, v8, v7
	v_fma_f32 v21, -v6, v9, v8
	v_fmac_f32_e32 v9, v21, v7
	v_fma_f32 v6, -v6, v9, v8
	v_div_fmas_f32 v6, v6, v7, v9
	v_div_fixup_f32 v5, v6, v20, v5
	v_min_f32_e32 v5, 0x43600000, v5
	v_max_f32_e32 v5, 0xc3600000, v5
	v_and_b32_e32 v6, 0x7fffffff, v5
	v_cmp_gt_u32_e32 vcc, s23, v6
	s_and_saveexec_b64 s[6:7], vcc
	s_cbranch_execz .LBB19_139
; %bb.134:                              ;   in Loop: Header=BB19_65 Depth=1
	v_cmp_lt_u32_e32 vcc, s24, v6
	s_mov_b64 s[8:9], 0
                                        ; implicit-def: $vgpr6
	s_and_saveexec_b64 s[10:11], vcc
	s_xor_b64 s[10:11], exec, s[10:11]
	s_cbranch_execnz .LBB19_184
; %bb.135:                              ;   in Loop: Header=BB19_65 Depth=1
	s_or_saveexec_b64 s[10:11], s[10:11]
                                        ; implicit-def: $sgpr16
	s_xor_b64 exec, exec, s[10:11]
	s_cbranch_execnz .LBB19_185
.LBB19_136:                             ;   in Loop: Header=BB19_65 Depth=1
	s_or_b64 exec, exec, s[10:11]
	v_mov_b32_e32 v3, s16
	s_and_saveexec_b64 s[10:11], s[8:9]
.LBB19_137:                             ;   in Loop: Header=BB19_65 Depth=1
	v_lshrrev_b32_e32 v3, 24, v5
	v_and_or_b32 v3, v3, s27, v6
.LBB19_138:                             ;   in Loop: Header=BB19_65 Depth=1
	s_or_b64 exec, exec, s[10:11]
.LBB19_139:                             ;   in Loop: Header=BB19_65 Depth=1
	s_or_b64 exec, exec, s[6:7]
	v_lshlrev_b64 v[6:7], 2, v[12:13]
	v_lshlrev_b32_e32 v4, 16, v4
	v_mov_b32_e32 v5, s18
	v_add_co_u32_e32 v6, vcc, s13, v6
	v_perm_b32 v3, v3, v4, s28
	v_lshlrev_b32_e32 v4, 8, v11
	v_addc_co_u32_e32 v7, vcc, v5, v7, vcc
	v_and_b32_e32 v4, 0xff00, v4
	v_and_b32_e32 v2, 0xff, v2
	v_add_u32_e32 v0, s21, v0
	v_or3_b32 v2, v3, v4, v2
	v_cmp_gt_u32_e32 vcc, s12, v0
	s_mov_b64 s[8:9], -1
	global_store_dword v[6:7], v2, off
	s_and_saveexec_b64 s[6:7], vcc
	s_cbranch_execz .LBB19_62
; %bb.140:                              ;   in Loop: Header=BB19_65 Depth=1
	v_lshlrev_b64 v[6:7], 4, v[0:1]
	v_mov_b32_e32 v2, s44
	v_add_co_u32_e32 v12, vcc, s33, v6
	v_addc_co_u32_e32 v13, vcc, v2, v7, vcc
	v_mov_b32_e32 v3, s15
	v_add_co_u32_e32 v2, vcc, s14, v6
	v_addc_co_u32_e32 v3, vcc, v3, v7, vcc
	v_mov_b32_e32 v8, s46
	v_add_co_u32_e32 v24, vcc, s45, v6
	v_bfe_u32 v11, v0, 5, 25
	global_load_dwordx4 v[2:5], v[2:3], off
	v_addc_co_u32_e32 v25, vcc, v8, v7, vcc
	global_load_dwordx4 v[6:9], v[12:13], off
	global_load_dwordx4 v[20:23], v[24:25], off
	v_mad_u64_u32 v[12:13], s[8:9], v14, v11, 0
	v_mov_b32_e32 v26, v13
	v_mad_u64_u32 v[26:27], s[8:9], v15, v11, v[26:27]
	v_mov_b32_e32 v13, v26
	v_lshlrev_b64 v[12:13], 2, v[12:13]
	v_mov_b32_e32 v11, s20
	v_add_co_u32_e32 v12, vcc, s19, v12
	v_addc_co_u32_e32 v13, vcc, v11, v13, vcc
	global_load_dword v12, v[12:13], off
	v_mov_b32_e32 v11, 0x80
	s_waitcnt vmcnt(1)
	v_pk_add_f32 v[6:7], v[6:7], v[20:21]
	v_mul_f32_e32 v13, v36, v6
	v_mul_f32_e32 v2, v2, v13
	v_pk_add_f32 v[8:9], v[8:9], v[22:23]
	global_store_dwordx4 v[24:25], v[6:9], off
	s_waitcnt vmcnt(1)
	v_div_scale_f32 v13, s[8:9], v12, v12, v2
	v_rcp_f32_e32 v20, v13
	v_div_scale_f32 v6, vcc, v2, v12, v2
	v_fma_f32 v21, -v13, v20, 1.0
	v_fmac_f32_e32 v20, v21, v20
	v_mul_f32_e32 v21, v6, v20
	v_fma_f32 v22, -v13, v21, v6
	v_fmac_f32_e32 v21, v22, v20
	v_fma_f32 v6, -v13, v21, v6
	v_div_fmas_f32 v6, v6, v20, v21
	v_div_fixup_f32 v2, v6, v12, v2
	v_min_f32_e32 v2, 0x43600000, v2
	v_max_f32_e32 v6, 0xc3600000, v2
	v_and_b32_e32 v13, 0x7fffffff, v6
	v_cmp_gt_u32_e32 vcc, s23, v13
	v_mov_b32_e32 v2, 0x80
	s_and_saveexec_b64 s[8:9], vcc
	s_cbranch_execz .LBB19_146
; %bb.141:                              ;   in Loop: Header=BB19_65 Depth=1
	v_cmp_lt_u32_e32 vcc, s24, v13
	s_mov_b64 s[10:11], 0
                                        ; implicit-def: $vgpr13
	s_and_saveexec_b64 s[16:17], vcc
	s_xor_b64 s[16:17], exec, s[16:17]
	s_cbranch_execnz .LBB19_186
; %bb.142:                              ;   in Loop: Header=BB19_65 Depth=1
	s_or_saveexec_b64 s[16:17], s[16:17]
                                        ; implicit-def: $sgpr29
	s_xor_b64 exec, exec, s[16:17]
	s_cbranch_execnz .LBB19_187
.LBB19_143:                             ;   in Loop: Header=BB19_65 Depth=1
	s_or_b64 exec, exec, s[16:17]
	v_mov_b32_e32 v2, s29
	s_and_saveexec_b64 s[16:17], s[10:11]
.LBB19_144:                             ;   in Loop: Header=BB19_65 Depth=1
	v_lshrrev_b32_e32 v2, 24, v6
	v_and_or_b32 v2, v2, s27, v13
.LBB19_145:                             ;   in Loop: Header=BB19_65 Depth=1
	s_or_b64 exec, exec, s[16:17]
.LBB19_146:                             ;   in Loop: Header=BB19_65 Depth=1
	s_or_b64 exec, exec, s[8:9]
	v_mul_f32_e32 v6, v36, v7
	v_mul_f32_e32 v3, v3, v6
	v_div_scale_f32 v6, s[8:9], v12, v12, v3
	v_rcp_f32_e32 v7, v6
	v_div_scale_f32 v13, vcc, v3, v12, v3
	v_fma_f32 v20, -v6, v7, 1.0
	v_fmac_f32_e32 v7, v20, v7
	v_mul_f32_e32 v20, v13, v7
	v_fma_f32 v21, -v6, v20, v13
	v_fmac_f32_e32 v20, v21, v7
	v_fma_f32 v6, -v6, v20, v13
	v_div_fmas_f32 v6, v6, v7, v20
	v_div_fixup_f32 v3, v6, v12, v3
	v_min_f32_e32 v3, 0x43600000, v3
	v_max_f32_e32 v3, 0xc3600000, v3
	v_and_b32_e32 v6, 0x7fffffff, v3
	v_cmp_gt_u32_e32 vcc, s23, v6
	s_and_saveexec_b64 s[8:9], vcc
	s_cbranch_execz .LBB19_152
; %bb.147:                              ;   in Loop: Header=BB19_65 Depth=1
	v_cmp_lt_u32_e32 vcc, s24, v6
	s_mov_b64 s[10:11], 0
                                        ; implicit-def: $vgpr6
	s_and_saveexec_b64 s[16:17], vcc
	s_xor_b64 s[16:17], exec, s[16:17]
	s_cbranch_execnz .LBB19_188
; %bb.148:                              ;   in Loop: Header=BB19_65 Depth=1
	s_or_saveexec_b64 s[16:17], s[16:17]
                                        ; implicit-def: $sgpr29
	s_xor_b64 exec, exec, s[16:17]
	s_cbranch_execnz .LBB19_189
.LBB19_149:                             ;   in Loop: Header=BB19_65 Depth=1
	s_or_b64 exec, exec, s[16:17]
	v_mov_b32_e32 v11, s29
	s_and_saveexec_b64 s[16:17], s[10:11]
.LBB19_150:                             ;   in Loop: Header=BB19_65 Depth=1
	v_lshrrev_b32_e32 v3, 24, v3
	v_and_or_b32 v11, v3, s27, v6
.LBB19_151:                             ;   in Loop: Header=BB19_65 Depth=1
	s_or_b64 exec, exec, s[16:17]
.LBB19_152:                             ;   in Loop: Header=BB19_65 Depth=1
	s_or_b64 exec, exec, s[8:9]
	v_mul_f32_e32 v3, v36, v8
	v_mul_f32_e32 v3, v4, v3
	v_div_scale_f32 v4, s[8:9], v12, v12, v3
	v_rcp_f32_e32 v6, v4
	v_div_scale_f32 v7, vcc, v3, v12, v3
	v_fma_f32 v8, -v4, v6, 1.0
	v_fmac_f32_e32 v6, v8, v6
	v_mul_f32_e32 v8, v7, v6
	v_fma_f32 v13, -v4, v8, v7
	v_fmac_f32_e32 v8, v13, v6
	v_fma_f32 v4, -v4, v8, v7
	v_div_fmas_f32 v4, v4, v6, v8
	v_div_fixup_f32 v3, v4, v12, v3
	v_min_f32_e32 v3, 0x43600000, v3
	v_max_f32_e32 v6, 0xc3600000, v3
	v_and_b32_e32 v7, 0x7fffffff, v6
	v_cmp_gt_u32_e32 vcc, s23, v7
	v_mov_b32_e32 v3, 0x80
	v_mov_b32_e32 v4, 0x80
	s_and_saveexec_b64 s[8:9], vcc
	s_cbranch_execz .LBB19_158
; %bb.153:                              ;   in Loop: Header=BB19_65 Depth=1
	v_cmp_lt_u32_e32 vcc, s24, v7
	s_mov_b64 s[10:11], 0
                                        ; implicit-def: $vgpr7
	s_and_saveexec_b64 s[16:17], vcc
	s_xor_b64 s[16:17], exec, s[16:17]
	s_cbranch_execnz .LBB19_190
; %bb.154:                              ;   in Loop: Header=BB19_65 Depth=1
	s_or_saveexec_b64 s[16:17], s[16:17]
                                        ; implicit-def: $sgpr29
	s_xor_b64 exec, exec, s[16:17]
	s_cbranch_execnz .LBB19_191
.LBB19_155:                             ;   in Loop: Header=BB19_65 Depth=1
	s_or_b64 exec, exec, s[16:17]
	v_mov_b32_e32 v4, s29
	s_and_saveexec_b64 s[16:17], s[10:11]
.LBB19_156:                             ;   in Loop: Header=BB19_65 Depth=1
	v_lshrrev_b32_e32 v4, 24, v6
	v_and_or_b32 v4, v4, s27, v7
.LBB19_157:                             ;   in Loop: Header=BB19_65 Depth=1
	s_or_b64 exec, exec, s[16:17]
.LBB19_158:                             ;   in Loop: Header=BB19_65 Depth=1
	s_or_b64 exec, exec, s[8:9]
	v_mul_f32_e32 v6, v36, v9
	v_mul_f32_e32 v5, v5, v6
	v_div_scale_f32 v6, s[8:9], v12, v12, v5
	v_rcp_f32_e32 v7, v6
	v_div_scale_f32 v8, vcc, v5, v12, v5
	v_fma_f32 v9, -v6, v7, 1.0
	v_fmac_f32_e32 v7, v9, v7
	v_mul_f32_e32 v9, v8, v7
	v_fma_f32 v13, -v6, v9, v8
	v_fmac_f32_e32 v9, v13, v7
	v_fma_f32 v6, -v6, v9, v8
	v_div_fmas_f32 v6, v6, v7, v9
	v_div_fixup_f32 v5, v6, v12, v5
	v_min_f32_e32 v5, 0x43600000, v5
	v_max_f32_e32 v5, 0xc3600000, v5
	v_and_b32_e32 v6, 0x7fffffff, v5
	v_cmp_gt_u32_e32 vcc, s23, v6
	s_and_saveexec_b64 s[8:9], vcc
	s_cbranch_execz .LBB19_61
; %bb.159:                              ;   in Loop: Header=BB19_65 Depth=1
	v_cmp_lt_u32_e32 vcc, s24, v6
	s_mov_b64 s[10:11], 0
                                        ; implicit-def: $vgpr6
	s_and_saveexec_b64 s[16:17], vcc
	s_xor_b64 s[16:17], exec, s[16:17]
	s_cbranch_execnz .LBB19_192
; %bb.160:                              ;   in Loop: Header=BB19_65 Depth=1
	s_or_saveexec_b64 s[16:17], s[16:17]
                                        ; implicit-def: $sgpr29
	s_xor_b64 exec, exec, s[16:17]
	s_cbranch_execnz .LBB19_193
.LBB19_161:                             ;   in Loop: Header=BB19_65 Depth=1
	s_or_b64 exec, exec, s[16:17]
	v_mov_b32_e32 v3, s29
	s_and_saveexec_b64 s[16:17], s[10:11]
	s_cbranch_execz .LBB19_60
	s_branch .LBB19_194
.LBB19_162:                             ;   in Loop: Header=BB19_65 Depth=1
	v_bfe_u32 v2, v6, 20, 1
	v_add3_u32 v2, v6, v2, s25
	s_mov_b64 s[4:5], exec
	v_lshrrev_b32_e32 v12, 20, v2
	s_or_saveexec_b64 s[6:7], s[6:7]
                                        ; implicit-def: $sgpr8
	s_xor_b64 exec, exec, s[6:7]
	s_cbranch_execz .LBB19_68
.LBB19_163:                             ;   in Loop: Header=BB19_65 Depth=1
	v_add_f32_e64 v2, |v6|, s26
	v_and_b32_e32 v12, 0xff, v2
	v_cmp_ne_u32_e32 vcc, 0, v12
	s_andn2_b64 s[4:5], s[4:5], exec
	s_and_b64 s[10:11], vcc, exec
	s_mov_b32 s8, 0
	s_or_b64 s[4:5], s[4:5], s[10:11]
	s_or_b64 exec, exec, s[6:7]
	v_mov_b32_e32 v2, s8
	s_and_saveexec_b64 s[6:7], s[4:5]
	s_cbranch_execnz .LBB19_69
	s_branch .LBB19_70
.LBB19_164:                             ;   in Loop: Header=BB19_65 Depth=1
	v_bfe_u32 v6, v3, 20, 1
	v_add3_u32 v6, v3, v6, s25
	s_mov_b64 s[4:5], exec
	v_lshrrev_b32_e32 v6, 20, v6
	s_or_saveexec_b64 s[6:7], s[6:7]
                                        ; implicit-def: $sgpr8
	s_xor_b64 exec, exec, s[6:7]
	s_cbranch_execz .LBB19_74
.LBB19_165:                             ;   in Loop: Header=BB19_65 Depth=1
	v_add_f32_e64 v6, |v3|, s26
	v_and_b32_e32 v6, 0xff, v6
	v_cmp_ne_u32_e32 vcc, 0, v6
	s_andn2_b64 s[4:5], s[4:5], exec
	s_and_b64 s[10:11], vcc, exec
	s_mov_b32 s8, 0
	s_or_b64 s[4:5], s[4:5], s[10:11]
	s_or_b64 exec, exec, s[6:7]
	v_mov_b32_e32 v10, s8
	s_and_saveexec_b64 s[6:7], s[4:5]
	s_cbranch_execnz .LBB19_75
	s_branch .LBB19_76
.LBB19_166:                             ;   in Loop: Header=BB19_65 Depth=1
	v_bfe_u32 v4, v6, 20, 1
	v_add3_u32 v4, v6, v4, s25
	s_mov_b64 s[4:5], exec
	v_lshrrev_b32_e32 v7, 20, v4
	s_or_saveexec_b64 s[6:7], s[6:7]
                                        ; implicit-def: $sgpr8
	s_xor_b64 exec, exec, s[6:7]
	s_cbranch_execz .LBB19_80
.LBB19_167:                             ;   in Loop: Header=BB19_65 Depth=1
	v_add_f32_e64 v4, |v6|, s26
	v_and_b32_e32 v7, 0xff, v4
	v_cmp_ne_u32_e32 vcc, 0, v7
	s_andn2_b64 s[4:5], s[4:5], exec
	s_and_b64 s[10:11], vcc, exec
	s_mov_b32 s8, 0
	s_or_b64 s[4:5], s[4:5], s[10:11]
	s_or_b64 exec, exec, s[6:7]
	v_mov_b32_e32 v4, s8
	s_and_saveexec_b64 s[6:7], s[4:5]
	s_cbranch_execnz .LBB19_81
	s_branch .LBB19_82
.LBB19_168:                             ;   in Loop: Header=BB19_65 Depth=1
	v_bfe_u32 v3, v5, 20, 1
	v_add3_u32 v3, v5, v3, s25
	s_mov_b64 s[4:5], exec
	v_lshrrev_b32_e32 v6, 20, v3
	s_or_saveexec_b64 s[6:7], s[6:7]
                                        ; implicit-def: $sgpr8
	s_xor_b64 exec, exec, s[6:7]
	s_cbranch_execz .LBB19_86
.LBB19_169:                             ;   in Loop: Header=BB19_65 Depth=1
	v_add_f32_e64 v3, |v5|, s26
	v_and_b32_e32 v6, 0xff, v3
	v_cmp_ne_u32_e32 vcc, 0, v6
	s_andn2_b64 s[4:5], s[4:5], exec
	s_and_b64 s[10:11], vcc, exec
	s_mov_b32 s8, 0
	s_or_b64 s[4:5], s[4:5], s[10:11]
	s_or_b64 exec, exec, s[6:7]
	v_mov_b32_e32 v3, s8
	s_and_saveexec_b64 s[6:7], s[4:5]
	s_cbranch_execnz .LBB19_87
	s_branch .LBB19_88
.LBB19_170:                             ;   in Loop: Header=BB19_65 Depth=1
	v_bfe_u32 v2, v6, 20, 1
	v_add3_u32 v2, v6, v2, s25
	s_mov_b64 s[6:7], exec
	v_lshrrev_b32_e32 v20, 20, v2
	s_or_saveexec_b64 s[8:9], s[8:9]
                                        ; implicit-def: $sgpr10
	s_xor_b64 exec, exec, s[8:9]
	s_cbranch_execz .LBB19_93
.LBB19_171:                             ;   in Loop: Header=BB19_65 Depth=1
	v_add_f32_e64 v2, |v6|, s26
	v_and_b32_e32 v20, 0xff, v2
	v_cmp_ne_u32_e32 vcc, 0, v20
	s_andn2_b64 s[6:7], s[6:7], exec
	s_and_b64 s[16:17], vcc, exec
	s_mov_b32 s10, 0
	s_or_b64 s[6:7], s[6:7], s[16:17]
	s_or_b64 exec, exec, s[8:9]
	v_mov_b32_e32 v2, s10
	s_and_saveexec_b64 s[8:9], s[6:7]
	s_cbranch_execnz .LBB19_94
	s_branch .LBB19_95
.LBB19_172:                             ;   in Loop: Header=BB19_65 Depth=1
	v_bfe_u32 v6, v3, 20, 1
	v_add3_u32 v6, v3, v6, s25
	s_mov_b64 s[6:7], exec
	v_lshrrev_b32_e32 v6, 20, v6
	s_or_saveexec_b64 s[8:9], s[8:9]
                                        ; implicit-def: $sgpr10
	s_xor_b64 exec, exec, s[8:9]
	s_cbranch_execz .LBB19_99
.LBB19_173:                             ;   in Loop: Header=BB19_65 Depth=1
	v_add_f32_e64 v6, |v3|, s26
	v_and_b32_e32 v6, 0xff, v6
	v_cmp_ne_u32_e32 vcc, 0, v6
	s_andn2_b64 s[6:7], s[6:7], exec
	s_and_b64 s[16:17], vcc, exec
	s_mov_b32 s10, 0
	s_or_b64 s[6:7], s[6:7], s[16:17]
	s_or_b64 exec, exec, s[8:9]
	v_mov_b32_e32 v12, s10
	s_and_saveexec_b64 s[8:9], s[6:7]
	s_cbranch_execnz .LBB19_100
	s_branch .LBB19_101
.LBB19_174:                             ;   in Loop: Header=BB19_65 Depth=1
	v_bfe_u32 v4, v6, 20, 1
	v_add3_u32 v4, v6, v4, s25
	s_mov_b64 s[6:7], exec
	v_lshrrev_b32_e32 v7, 20, v4
	s_or_saveexec_b64 s[8:9], s[8:9]
                                        ; implicit-def: $sgpr10
	s_xor_b64 exec, exec, s[8:9]
	s_cbranch_execz .LBB19_105
.LBB19_175:                             ;   in Loop: Header=BB19_65 Depth=1
	v_add_f32_e64 v4, |v6|, s26
	v_and_b32_e32 v7, 0xff, v4
	v_cmp_ne_u32_e32 vcc, 0, v7
	s_andn2_b64 s[6:7], s[6:7], exec
	s_and_b64 s[16:17], vcc, exec
	s_mov_b32 s10, 0
	s_or_b64 s[6:7], s[6:7], s[16:17]
	s_or_b64 exec, exec, s[8:9]
	v_mov_b32_e32 v4, s10
	s_and_saveexec_b64 s[8:9], s[6:7]
	s_cbranch_execnz .LBB19_106
	s_branch .LBB19_107
.LBB19_176:                             ;   in Loop: Header=BB19_65 Depth=1
	v_bfe_u32 v3, v5, 20, 1
	v_add3_u32 v3, v5, v3, s25
	s_mov_b64 s[6:7], exec
	v_lshrrev_b32_e32 v6, 20, v3
	s_or_saveexec_b64 s[8:9], s[8:9]
                                        ; implicit-def: $sgpr10
	s_xor_b64 exec, exec, s[8:9]
	s_cbranch_execz .LBB19_111
.LBB19_177:                             ;   in Loop: Header=BB19_65 Depth=1
	v_add_f32_e64 v3, |v5|, s26
	v_and_b32_e32 v6, 0xff, v3
	v_cmp_ne_u32_e32 vcc, 0, v6
	s_andn2_b64 s[6:7], s[6:7], exec
	s_and_b64 s[16:17], vcc, exec
	s_mov_b32 s10, 0
	s_or_b64 s[6:7], s[6:7], s[16:17]
	s_or_b64 exec, exec, s[8:9]
	v_mov_b32_e32 v3, s10
	s_and_saveexec_b64 s[8:9], s[6:7]
	s_cbranch_execnz .LBB19_112
	s_branch .LBB19_113
.LBB19_178:                             ;   in Loop: Header=BB19_65 Depth=1
	v_bfe_u32 v2, v6, 20, 1
	v_add3_u32 v2, v6, v2, s25
	s_mov_b64 s[8:9], exec
	v_lshrrev_b32_e32 v21, 20, v2
	s_or_saveexec_b64 s[10:11], s[10:11]
                                        ; implicit-def: $sgpr16
	s_xor_b64 exec, exec, s[10:11]
	s_cbranch_execz .LBB19_118
.LBB19_179:                             ;   in Loop: Header=BB19_65 Depth=1
	v_add_f32_e64 v2, |v6|, s26
	v_and_b32_e32 v21, 0xff, v2
	v_cmp_ne_u32_e32 vcc, 0, v21
	s_andn2_b64 s[8:9], s[8:9], exec
	s_and_b64 s[30:31], vcc, exec
	s_mov_b32 s16, 0
	s_or_b64 s[8:9], s[8:9], s[30:31]
	s_or_b64 exec, exec, s[10:11]
	v_mov_b32_e32 v2, s16
	s_and_saveexec_b64 s[10:11], s[8:9]
	s_cbranch_execnz .LBB19_119
	s_branch .LBB19_120
.LBB19_180:                             ;   in Loop: Header=BB19_65 Depth=1
	v_bfe_u32 v6, v3, 20, 1
	v_add3_u32 v6, v3, v6, s25
	s_mov_b64 s[8:9], exec
	v_lshrrev_b32_e32 v6, 20, v6
	s_or_saveexec_b64 s[10:11], s[10:11]
                                        ; implicit-def: $sgpr16
	s_xor_b64 exec, exec, s[10:11]
	s_cbranch_execz .LBB19_124
.LBB19_181:                             ;   in Loop: Header=BB19_65 Depth=1
	v_add_f32_e64 v6, |v3|, s26
	v_and_b32_e32 v6, 0xff, v6
	v_cmp_ne_u32_e32 vcc, 0, v6
	s_andn2_b64 s[8:9], s[8:9], exec
	s_and_b64 s[30:31], vcc, exec
	s_mov_b32 s16, 0
	s_or_b64 s[8:9], s[8:9], s[30:31]
	s_or_b64 exec, exec, s[10:11]
	v_mov_b32_e32 v11, s16
	s_and_saveexec_b64 s[10:11], s[8:9]
	s_cbranch_execnz .LBB19_125
	s_branch .LBB19_126
.LBB19_182:                             ;   in Loop: Header=BB19_65 Depth=1
	v_bfe_u32 v4, v6, 20, 1
	v_add3_u32 v4, v6, v4, s25
	s_mov_b64 s[8:9], exec
	v_lshrrev_b32_e32 v7, 20, v4
	s_or_saveexec_b64 s[10:11], s[10:11]
                                        ; implicit-def: $sgpr16
	s_xor_b64 exec, exec, s[10:11]
	s_cbranch_execz .LBB19_130
.LBB19_183:                             ;   in Loop: Header=BB19_65 Depth=1
	v_add_f32_e64 v4, |v6|, s26
	v_and_b32_e32 v7, 0xff, v4
	v_cmp_ne_u32_e32 vcc, 0, v7
	s_andn2_b64 s[8:9], s[8:9], exec
	s_and_b64 s[30:31], vcc, exec
	s_mov_b32 s16, 0
	s_or_b64 s[8:9], s[8:9], s[30:31]
	s_or_b64 exec, exec, s[10:11]
	v_mov_b32_e32 v4, s16
	s_and_saveexec_b64 s[10:11], s[8:9]
	s_cbranch_execnz .LBB19_131
	s_branch .LBB19_132
.LBB19_184:                             ;   in Loop: Header=BB19_65 Depth=1
	v_bfe_u32 v3, v5, 20, 1
	v_add3_u32 v3, v5, v3, s25
	s_mov_b64 s[8:9], exec
	v_lshrrev_b32_e32 v6, 20, v3
	s_or_saveexec_b64 s[10:11], s[10:11]
                                        ; implicit-def: $sgpr16
	s_xor_b64 exec, exec, s[10:11]
	s_cbranch_execz .LBB19_136
.LBB19_185:                             ;   in Loop: Header=BB19_65 Depth=1
	v_add_f32_e64 v3, |v5|, s26
	v_and_b32_e32 v6, 0xff, v3
	v_cmp_ne_u32_e32 vcc, 0, v6
	s_andn2_b64 s[8:9], s[8:9], exec
	s_and_b64 s[30:31], vcc, exec
	s_mov_b32 s16, 0
	s_or_b64 s[8:9], s[8:9], s[30:31]
	s_or_b64 exec, exec, s[10:11]
	v_mov_b32_e32 v3, s16
	s_and_saveexec_b64 s[10:11], s[8:9]
	s_cbranch_execnz .LBB19_137
	s_branch .LBB19_138
.LBB19_186:                             ;   in Loop: Header=BB19_65 Depth=1
	v_bfe_u32 v2, v6, 20, 1
	v_add3_u32 v2, v6, v2, s25
	s_mov_b64 s[10:11], exec
	v_lshrrev_b32_e32 v13, 20, v2
	s_or_saveexec_b64 s[16:17], s[16:17]
                                        ; implicit-def: $sgpr29
	s_xor_b64 exec, exec, s[16:17]
	s_cbranch_execz .LBB19_143
.LBB19_187:                             ;   in Loop: Header=BB19_65 Depth=1
	v_add_f32_e64 v2, |v6|, s26
	v_and_b32_e32 v13, 0xff, v2
	v_cmp_ne_u32_e32 vcc, 0, v13
	s_andn2_b64 s[10:11], s[10:11], exec
	s_and_b64 s[30:31], vcc, exec
	s_mov_b32 s29, 0
	s_or_b64 s[10:11], s[10:11], s[30:31]
	s_or_b64 exec, exec, s[16:17]
	v_mov_b32_e32 v2, s29
	s_and_saveexec_b64 s[16:17], s[10:11]
	s_cbranch_execnz .LBB19_144
	s_branch .LBB19_145
.LBB19_188:                             ;   in Loop: Header=BB19_65 Depth=1
	v_bfe_u32 v6, v3, 20, 1
	v_add3_u32 v6, v3, v6, s25
	s_mov_b64 s[10:11], exec
	v_lshrrev_b32_e32 v6, 20, v6
	s_or_saveexec_b64 s[16:17], s[16:17]
                                        ; implicit-def: $sgpr29
	s_xor_b64 exec, exec, s[16:17]
	s_cbranch_execz .LBB19_149
.LBB19_189:                             ;   in Loop: Header=BB19_65 Depth=1
	v_add_f32_e64 v6, |v3|, s26
	v_and_b32_e32 v6, 0xff, v6
	v_cmp_ne_u32_e32 vcc, 0, v6
	s_andn2_b64 s[10:11], s[10:11], exec
	s_and_b64 s[30:31], vcc, exec
	s_mov_b32 s29, 0
	s_or_b64 s[10:11], s[10:11], s[30:31]
	s_or_b64 exec, exec, s[16:17]
	v_mov_b32_e32 v11, s29
	s_and_saveexec_b64 s[16:17], s[10:11]
	s_cbranch_execnz .LBB19_150
	s_branch .LBB19_151
.LBB19_190:                             ;   in Loop: Header=BB19_65 Depth=1
	v_bfe_u32 v4, v6, 20, 1
	v_add3_u32 v4, v6, v4, s25
	s_mov_b64 s[10:11], exec
	v_lshrrev_b32_e32 v7, 20, v4
	s_or_saveexec_b64 s[16:17], s[16:17]
                                        ; implicit-def: $sgpr29
	s_xor_b64 exec, exec, s[16:17]
	s_cbranch_execz .LBB19_155
.LBB19_191:                             ;   in Loop: Header=BB19_65 Depth=1
	v_add_f32_e64 v4, |v6|, s26
	v_and_b32_e32 v7, 0xff, v4
	v_cmp_ne_u32_e32 vcc, 0, v7
	s_andn2_b64 s[10:11], s[10:11], exec
	s_and_b64 s[30:31], vcc, exec
	s_mov_b32 s29, 0
	s_or_b64 s[10:11], s[10:11], s[30:31]
	s_or_b64 exec, exec, s[16:17]
	v_mov_b32_e32 v4, s29
	s_and_saveexec_b64 s[16:17], s[10:11]
	s_cbranch_execnz .LBB19_156
	s_branch .LBB19_157
.LBB19_192:                             ;   in Loop: Header=BB19_65 Depth=1
	v_bfe_u32 v3, v5, 20, 1
	v_add3_u32 v3, v5, v3, s25
	s_mov_b64 s[10:11], exec
	v_lshrrev_b32_e32 v6, 20, v3
	s_or_saveexec_b64 s[16:17], s[16:17]
                                        ; implicit-def: $sgpr29
	s_xor_b64 exec, exec, s[16:17]
	s_cbranch_execz .LBB19_161
.LBB19_193:                             ;   in Loop: Header=BB19_65 Depth=1
	v_add_f32_e64 v3, |v5|, s26
	v_and_b32_e32 v6, 0xff, v3
	v_cmp_ne_u32_e32 vcc, 0, v6
	s_andn2_b64 s[10:11], s[10:11], exec
	s_and_b64 s[30:31], vcc, exec
	s_mov_b32 s29, 0
	s_or_b64 s[10:11], s[10:11], s[30:31]
	s_or_b64 exec, exec, s[16:17]
	v_mov_b32_e32 v3, s29
	s_and_saveexec_b64 s[16:17], s[10:11]
	s_cbranch_execz .LBB19_60
.LBB19_194:                             ;   in Loop: Header=BB19_65 Depth=1
	v_lshrrev_b32_e32 v3, 24, v5
	v_and_or_b32 v3, v3, s27, v6
	s_branch .LBB19_60
.LBB19_195:
	s_endpgm
.LBB19_196:
                                        ; implicit-def: $vgpr4_vgpr5
	s_andn2_b64 vcc, exec, s[24:25]
	s_cbranch_vccz .LBB19_53
	s_branch .LBB19_54
.LBB19_197:
                                        ; implicit-def: $vgpr2_vgpr3
	s_andn2_b64 vcc, exec, s[20:21]
	s_cbranch_vccz .LBB19_58
	s_branch .LBB19_59
	.section	.rodata,"a",@progbits
	.p2align	6, 0x0
	.amdhsa_kernel _ZN4vllm31rms_norm_per_block_quant_kernelIfN3c1015Float8_e4m3fnuzELb1ELb1ELi128EEEvPT0_PfPKT_S8_PKffiiPS6_l
		.amdhsa_group_segment_fixed_size 4164
		.amdhsa_private_segment_fixed_size 0
		.amdhsa_kernarg_size 328
		.amdhsa_user_sgpr_count 6
		.amdhsa_user_sgpr_private_segment_buffer 1
		.amdhsa_user_sgpr_dispatch_ptr 0
		.amdhsa_user_sgpr_queue_ptr 0
		.amdhsa_user_sgpr_kernarg_segment_ptr 1
		.amdhsa_user_sgpr_dispatch_id 0
		.amdhsa_user_sgpr_flat_scratch_init 0
		.amdhsa_user_sgpr_kernarg_preload_length 0
		.amdhsa_user_sgpr_kernarg_preload_offset 0
		.amdhsa_user_sgpr_private_segment_size 0
		.amdhsa_uses_dynamic_stack 0
		.amdhsa_system_sgpr_private_segment_wavefront_offset 0
		.amdhsa_system_sgpr_workgroup_id_x 1
		.amdhsa_system_sgpr_workgroup_id_y 0
		.amdhsa_system_sgpr_workgroup_id_z 0
		.amdhsa_system_sgpr_workgroup_info 0
		.amdhsa_system_vgpr_workitem_id 0
		.amdhsa_next_free_vgpr 44
		.amdhsa_next_free_sgpr 49
		.amdhsa_accum_offset 44
		.amdhsa_reserve_vcc 1
		.amdhsa_reserve_flat_scratch 0
		.amdhsa_float_round_mode_32 0
		.amdhsa_float_round_mode_16_64 0
		.amdhsa_float_denorm_mode_32 3
		.amdhsa_float_denorm_mode_16_64 3
		.amdhsa_dx10_clamp 1
		.amdhsa_ieee_mode 1
		.amdhsa_fp16_overflow 0
		.amdhsa_tg_split 0
		.amdhsa_exception_fp_ieee_invalid_op 0
		.amdhsa_exception_fp_denorm_src 0
		.amdhsa_exception_fp_ieee_div_zero 0
		.amdhsa_exception_fp_ieee_overflow 0
		.amdhsa_exception_fp_ieee_underflow 0
		.amdhsa_exception_fp_ieee_inexact 0
		.amdhsa_exception_int_div_zero 0
	.end_amdhsa_kernel
	.section	.text._ZN4vllm31rms_norm_per_block_quant_kernelIfN3c1015Float8_e4m3fnuzELb1ELb1ELi128EEEvPT0_PfPKT_S8_PKffiiPS6_l,"axG",@progbits,_ZN4vllm31rms_norm_per_block_quant_kernelIfN3c1015Float8_e4m3fnuzELb1ELb1ELi128EEEvPT0_PfPKT_S8_PKffiiPS6_l,comdat
.Lfunc_end19:
	.size	_ZN4vllm31rms_norm_per_block_quant_kernelIfN3c1015Float8_e4m3fnuzELb1ELb1ELi128EEEvPT0_PfPKT_S8_PKffiiPS6_l, .Lfunc_end19-_ZN4vllm31rms_norm_per_block_quant_kernelIfN3c1015Float8_e4m3fnuzELb1ELb1ELi128EEEvPT0_PfPKT_S8_PKffiiPS6_l
                                        ; -- End function
	.section	.AMDGPU.csdata,"",@progbits
; Kernel info:
; codeLenInByte = 11208
; NumSgprs: 53
; NumVgprs: 44
; NumAgprs: 0
; TotalNumVgprs: 44
; ScratchSize: 0
; MemoryBound: 0
; FloatMode: 240
; IeeeMode: 1
; LDSByteSize: 4164 bytes/workgroup (compile time only)
; SGPRBlocks: 6
; VGPRBlocks: 5
; NumSGPRsForWavesPerEU: 53
; NumVGPRsForWavesPerEU: 44
; AccumOffset: 44
; Occupancy: 8
; WaveLimiterHint : 0
; COMPUTE_PGM_RSRC2:SCRATCH_EN: 0
; COMPUTE_PGM_RSRC2:USER_SGPR: 6
; COMPUTE_PGM_RSRC2:TRAP_HANDLER: 0
; COMPUTE_PGM_RSRC2:TGID_X_EN: 1
; COMPUTE_PGM_RSRC2:TGID_Y_EN: 0
; COMPUTE_PGM_RSRC2:TGID_Z_EN: 0
; COMPUTE_PGM_RSRC2:TIDIG_COMP_CNT: 0
; COMPUTE_PGM_RSRC3_GFX90A:ACCUM_OFFSET: 10
; COMPUTE_PGM_RSRC3_GFX90A:TG_SPLIT: 0
	.section	.text._ZN4vllm31rms_norm_per_block_quant_kernelIfaLb1ELb1ELi128EEEvPT0_PfPKT_S6_PKffiiPS4_l,"axG",@progbits,_ZN4vllm31rms_norm_per_block_quant_kernelIfaLb1ELb1ELi128EEEvPT0_PfPKT_S6_PKffiiPS4_l,comdat
	.protected	_ZN4vllm31rms_norm_per_block_quant_kernelIfaLb1ELb1ELi128EEEvPT0_PfPKT_S6_PKffiiPS4_l ; -- Begin function _ZN4vllm31rms_norm_per_block_quant_kernelIfaLb1ELb1ELi128EEEvPT0_PfPKT_S6_PKffiiPS4_l
	.globl	_ZN4vllm31rms_norm_per_block_quant_kernelIfaLb1ELb1ELi128EEEvPT0_PfPKT_S6_PKffiiPS4_l
	.p2align	8
	.type	_ZN4vllm31rms_norm_per_block_quant_kernelIfaLb1ELb1ELi128EEEvPT0_PfPKT_S6_PKffiiPS4_l,@function
_ZN4vllm31rms_norm_per_block_quant_kernelIfaLb1ELb1ELi128EEEvPT0_PfPKT_S6_PKffiiPS4_l: ; @_ZN4vllm31rms_norm_per_block_quant_kernelIfaLb1ELb1ELi128EEEvPT0_PfPKT_S6_PKffiiPS4_l
; %bb.0:
	s_load_dwordx4 s[16:19], s[4:5], 0x28
	s_load_dwordx8 s[8:15], s[4:5], 0x0
	s_load_dwordx2 s[0:1], s[4:5], 0x38
	s_load_dword s48, s[4:5], 0x48
	s_mov_b32 s7, 0
	s_waitcnt lgkmcnt(0)
	s_ashr_i32 s2, s18, 31
	s_mul_hi_u32 s3, s18, s6
	s_mul_i32 s2, s2, s6
	s_ashr_i32 s21, s17, 31
	s_add_i32 s3, s3, s2
	s_mul_i32 s2, s18, s6
	s_mul_hi_u32 s18, s17, s6
	s_mul_i32 s19, s21, s6
	s_add_i32 s19, s18, s19
	s_lshl_b64 s[2:3], s[2:3], 2
	s_mul_i32 s18, s17, s6
	s_add_u32 s33, s12, s2
	s_addc_u32 s44, s13, s3
	s_lshl_b64 s[2:3], s[18:19], 2
	s_add_u32 s45, s0, s2
	s_addc_u32 s46, s1, s3
	s_ashr_i32 s12, s17, 2
	s_add_u32 s22, s4, 0x48
	s_mov_b32 s20, s17
	v_cmp_gt_u32_e64 s[0:1], s12, v0
	s_addc_u32 s23, s5, 0
	v_mov_b32_e32 v1, 0
	s_and_saveexec_b64 s[2:3], s[0:1]
	s_cbranch_execz .LBB20_10
; %bb.1:
	s_cmp_lt_u32 s6, s48
	s_cselect_b32 s13, 12, 18
	s_add_u32 s24, s22, s13
	s_addc_u32 s25, s23, 0
	v_mov_b32_e32 v3, 0
	global_load_ushort v8, v3, s[24:25]
	s_mov_b64 s[24:25], 0
	v_mov_b32_e32 v9, s44
	v_mov_b32_e32 v10, s46
	;; [unrolled: 1-line block ×4, first 2 shown]
                                        ; implicit-def: $sgpr26_sgpr27
	s_waitcnt vmcnt(0)
	v_mul_lo_u32 v11, v8, 3
	v_lshlrev_b32_e32 v12, 1, v8
	s_branch .LBB20_5
.LBB20_2:                               ;   in Loop: Header=BB20_5 Depth=1
	s_or_b64 exec, exec, s[34:35]
	s_orn2_b64 s[34:35], s[36:37], exec
.LBB20_3:                               ;   in Loop: Header=BB20_5 Depth=1
	s_or_b64 exec, exec, s[30:31]
	s_andn2_b64 s[26:27], s[26:27], exec
	s_and_b64 s[30:31], s[34:35], exec
	s_or_b64 s[26:27], s[26:27], s[30:31]
.LBB20_4:                               ;   in Loop: Header=BB20_5 Depth=1
	s_or_b64 exec, exec, s[28:29]
	s_and_b64 s[28:29], exec, s[26:27]
	s_or_b64 s[24:25], s[28:29], s[24:25]
	s_andn2_b64 exec, exec, s[24:25]
	s_cbranch_execz .LBB20_9
.LBB20_5:                               ; =>This Inner Loop Header: Depth=1
	v_lshlrev_b64 v[4:5], 4, v[2:3]
	v_add_co_u32_e32 v6, vcc, s33, v4
	v_addc_co_u32_e32 v7, vcc, v9, v5, vcc
	v_add_co_u32_e32 v4, vcc, s45, v4
	v_addc_co_u32_e32 v5, vcc, v10, v5, vcc
	global_load_dwordx4 v[14:17], v[6:7], off
	global_load_dwordx4 v[18:21], v[4:5], off
	v_add_u32_e32 v4, v2, v8
	v_cmp_gt_u32_e32 vcc, s12, v4
	s_or_b64 s[26:27], s[26:27], exec
	s_waitcnt vmcnt(0)
	v_pk_add_f32 v[6:7], v[14:15], v[18:19]
	v_pk_mul_f32 v[6:7], v[6:7], v[6:7]
	v_pk_add_f32 v[14:15], v[16:17], v[20:21]
	v_add_f32_e32 v1, v1, v6
	v_pk_mul_f32 v[14:15], v[14:15], v[14:15]
	v_add_f32_e32 v1, v1, v7
	v_add_f32_e32 v1, v1, v14
	;; [unrolled: 1-line block ×3, first 2 shown]
	s_and_saveexec_b64 s[28:29], vcc
	s_cbranch_execz .LBB20_4
; %bb.6:                                ;   in Loop: Header=BB20_5 Depth=1
	v_mov_b32_e32 v5, v3
	v_lshlrev_b64 v[6:7], 4, v[4:5]
	v_add_co_u32_e32 v22, vcc, s33, v6
	v_addc_co_u32_e32 v23, vcc, v9, v7, vcc
	v_add_co_u32_e32 v6, vcc, s45, v6
	v_addc_co_u32_e32 v7, vcc, v10, v7, vcc
	global_load_dwordx4 v[14:17], v[22:23], off
	global_load_dwordx4 v[18:21], v[6:7], off
	v_add_u32_e32 v6, v12, v2
	v_cmp_gt_u32_e32 vcc, s12, v6
	s_mov_b64 s[34:35], -1
	s_waitcnt vmcnt(0)
	v_pk_add_f32 v[14:15], v[14:15], v[18:19]
	v_pk_mul_f32 v[14:15], v[14:15], v[14:15]
	v_pk_add_f32 v[16:17], v[16:17], v[20:21]
	v_add_f32_e32 v1, v1, v14
	v_pk_mul_f32 v[16:17], v[16:17], v[16:17]
	v_add_f32_e32 v1, v1, v15
	v_add_f32_e32 v1, v1, v16
	;; [unrolled: 1-line block ×3, first 2 shown]
	s_and_saveexec_b64 s[30:31], vcc
	s_cbranch_execz .LBB20_3
; %bb.7:                                ;   in Loop: Header=BB20_5 Depth=1
	v_mov_b32_e32 v7, v3
	v_lshlrev_b64 v[6:7], 4, v[6:7]
	v_add_co_u32_e32 v22, vcc, s33, v6
	v_addc_co_u32_e32 v23, vcc, v9, v7, vcc
	v_add_co_u32_e32 v6, vcc, s45, v6
	v_addc_co_u32_e32 v7, vcc, v10, v7, vcc
	global_load_dwordx4 v[14:17], v[22:23], off
	global_load_dwordx4 v[18:21], v[6:7], off
	v_add_u32_e32 v2, v11, v2
	v_cmp_gt_u32_e32 vcc, s12, v2
	s_mov_b64 s[36:37], -1
	s_waitcnt vmcnt(0)
	v_pk_add_f32 v[6:7], v[14:15], v[18:19]
	v_pk_mul_f32 v[6:7], v[6:7], v[6:7]
	v_pk_add_f32 v[14:15], v[16:17], v[20:21]
	v_add_f32_e32 v1, v1, v6
	v_pk_mul_f32 v[14:15], v[14:15], v[14:15]
	v_add_f32_e32 v1, v1, v7
	v_add_f32_e32 v1, v1, v14
	;; [unrolled: 1-line block ×3, first 2 shown]
	s_and_saveexec_b64 s[34:35], vcc
	s_xor_b64 s[34:35], exec, s[34:35]
	s_cbranch_execz .LBB20_2
; %bb.8:                                ;   in Loop: Header=BB20_5 Depth=1
	v_lshlrev_b64 v[6:7], 4, v[2:3]
	v_mov_b32_e32 v2, s44
	v_add_co_u32_e32 v22, vcc, s33, v6
	v_addc_co_u32_e32 v23, vcc, v2, v7, vcc
	v_mov_b32_e32 v2, s46
	v_add_co_u32_e32 v6, vcc, s45, v6
	v_addc_co_u32_e32 v7, vcc, v2, v7, vcc
	global_load_dwordx4 v[14:17], v[22:23], off
	global_load_dwordx4 v[18:21], v[6:7], off
	v_add_u32_e32 v2, v8, v8
	v_add_u32_e32 v2, v2, v8
	;; [unrolled: 1-line block ×3, first 2 shown]
	v_cmp_le_u32_e32 vcc, s12, v2
	s_orn2_b64 s[36:37], vcc, exec
	s_waitcnt vmcnt(0)
	v_pk_add_f32 v[4:5], v[14:15], v[18:19]
	v_pk_mul_f32 v[4:5], v[4:5], v[4:5]
	v_pk_add_f32 v[6:7], v[16:17], v[20:21]
	v_add_f32_e32 v1, v1, v4
	v_pk_mul_f32 v[6:7], v[6:7], v[6:7]
	v_add_f32_e32 v1, v1, v5
	v_add_f32_e32 v1, v1, v6
	;; [unrolled: 1-line block ×3, first 2 shown]
	s_branch .LBB20_2
.LBB20_9:
	s_or_b64 exec, exec, s[24:25]
.LBB20_10:
	s_or_b64 exec, exec, s[2:3]
	v_mbcnt_lo_u32_b32 v2, -1, 0
	v_mbcnt_hi_u32_b32 v2, -1, v2
	v_and_b32_e32 v3, 63, v2
	v_cmp_ne_u32_e32 vcc, 63, v3
	s_load_dword s2, s[22:23], 0xc
	v_addc_co_u32_e32 v4, vcc, 0, v2, vcc
	v_lshlrev_b32_e32 v4, 2, v4
	ds_bpermute_b32 v4, v4, v1
	s_waitcnt lgkmcnt(0)
	s_and_b32 s13, s2, 0xffff
	v_and_b32_e32 v5, 0x3c0, v0
	v_sub_u32_e64 v5, s13, v5 clamp
	v_add_u32_e32 v6, 1, v2
	v_add_f32_e32 v4, v1, v4
	v_cmp_lt_u32_e32 vcc, v6, v5
	v_cndmask_b32_e32 v1, v1, v4, vcc
	v_cmp_gt_u32_e32 vcc, 62, v3
	v_cndmask_b32_e64 v4, 0, 1, vcc
	v_lshlrev_b32_e32 v4, 1, v4
	v_add_lshl_u32 v4, v4, v2, 2
	ds_bpermute_b32 v4, v4, v1
	v_add_u32_e32 v6, 2, v2
	v_cmp_lt_u32_e32 vcc, v6, v5
	v_add_u32_e32 v6, 4, v2
	s_waitcnt lgkmcnt(0)
	v_add_f32_e32 v4, v1, v4
	v_cndmask_b32_e32 v1, v1, v4, vcc
	v_cmp_gt_u32_e32 vcc, 60, v3
	v_cndmask_b32_e64 v4, 0, 1, vcc
	v_lshlrev_b32_e32 v4, 2, v4
	v_add_lshl_u32 v4, v4, v2, 2
	ds_bpermute_b32 v4, v4, v1
	v_cmp_lt_u32_e32 vcc, v6, v5
	v_add_u32_e32 v6, 8, v2
	s_waitcnt lgkmcnt(0)
	v_add_f32_e32 v4, v1, v4
	v_cndmask_b32_e32 v1, v1, v4, vcc
	v_cmp_gt_u32_e32 vcc, 56, v3
	v_cndmask_b32_e64 v4, 0, 1, vcc
	v_lshlrev_b32_e32 v4, 3, v4
	v_add_lshl_u32 v4, v4, v2, 2
	ds_bpermute_b32 v4, v4, v1
	;; [unrolled: 10-line block ×3, first 2 shown]
	v_cmp_lt_u32_e32 vcc, v6, v5
	s_waitcnt lgkmcnt(0)
	v_add_f32_e32 v4, v1, v4
	v_cndmask_b32_e32 v1, v1, v4, vcc
	v_cmp_gt_u32_e32 vcc, 32, v3
	v_cndmask_b32_e64 v3, 0, 1, vcc
	v_lshlrev_b32_e32 v3, 5, v3
	v_add_lshl_u32 v3, v3, v2, 2
	ds_bpermute_b32 v3, v3, v1
	v_add_u32_e32 v4, 32, v2
	v_cmp_lt_u32_e32 vcc, v4, v5
	s_waitcnt lgkmcnt(0)
	v_add_f32_e32 v3, v1, v3
	v_cndmask_b32_e32 v1, v1, v3, vcc
	v_cmp_eq_u32_e32 vcc, 0, v2
	s_and_saveexec_b64 s[2:3], vcc
	s_cbranch_execz .LBB20_12
; %bb.11:
	v_lshrrev_b32_e32 v3, 4, v0
	v_and_b32_e32 v3, 60, v3
	ds_write_b32 v3, v1 offset:4096
.LBB20_12:
	s_or_b64 exec, exec, s[2:3]
	v_cmp_gt_u32_e32 vcc, 16, v0
	s_waitcnt lgkmcnt(0)
	s_barrier
	s_and_saveexec_b64 s[24:25], vcc
	s_cbranch_execz .LBB20_14
; %bb.13:
	v_lshlrev_b32_e32 v1, 2, v2
	ds_read_b32 v1, v1 offset:4096
	v_and_b32_e32 v3, 15, v2
	v_cmp_ne_u32_e32 vcc, 15, v3
	v_addc_co_u32_e32 v4, vcc, 0, v2, vcc
	v_lshlrev_b32_e32 v4, 2, v4
	s_waitcnt lgkmcnt(0)
	ds_bpermute_b32 v4, v4, v1
	s_add_i32 s13, s13, 63
	s_lshr_b32 s13, s13, 6
	v_add_u32_e32 v5, 1, v3
	v_cmp_gt_u32_e64 s[2:3], 14, v3
	v_cmp_gt_u32_e32 vcc, s13, v5
	v_cndmask_b32_e64 v5, 0, 1, s[2:3]
	s_waitcnt lgkmcnt(0)
	v_add_f32_e32 v4, v1, v4
	v_lshlrev_b32_e32 v5, 1, v5
	v_cndmask_b32_e32 v4, v1, v4, vcc
	v_add_lshl_u32 v5, v5, v2, 2
	ds_bpermute_b32 v5, v5, v4
	v_add_u32_e32 v6, 2, v3
	v_cmp_gt_u32_e64 s[2:3], s13, v6
	v_add_u32_e32 v6, 4, v3
	s_waitcnt lgkmcnt(0)
	v_add_f32_e32 v5, v4, v5
	v_cndmask_b32_e64 v4, v4, v5, s[2:3]
	v_cmp_gt_u32_e64 s[2:3], 12, v3
	v_cndmask_b32_e64 v5, 0, 1, s[2:3]
	v_lshlrev_b32_e32 v5, 2, v5
	v_add_lshl_u32 v5, v5, v2, 2
	ds_bpermute_b32 v5, v5, v4
	v_cmp_gt_u32_e64 s[2:3], s13, v6
	s_waitcnt lgkmcnt(0)
	v_add_f32_e32 v5, v4, v5
	v_cndmask_b32_e64 v4, v4, v5, s[2:3]
	v_cmp_gt_u32_e64 s[2:3], 8, v3
	v_cndmask_b32_e64 v5, 0, 1, s[2:3]
	v_lshlrev_b32_e32 v5, 3, v5
	v_add_lshl_u32 v2, v5, v2, 2
	ds_bpermute_b32 v2, v2, v4
	v_add_u32_e32 v3, 8, v3
	v_cmp_gt_u32_e64 s[2:3], s13, v3
	s_waitcnt lgkmcnt(0)
	v_add_f32_e32 v2, v4, v2
	v_cndmask_b32_e64 v2, v4, v2, s[2:3]
	v_cndmask_b32_e32 v1, v1, v2, vcc
.LBB20_14:
	s_or_b64 exec, exec, s[24:25]
	v_cmp_eq_u32_e32 vcc, 0, v0
	s_and_saveexec_b64 s[2:3], vcc
	s_cbranch_execz .LBB20_16
; %bb.15:
	v_cvt_f32_i32_e32 v2, s20
	s_mov_b32 s13, 0x800000
	v_div_scale_f32 v3, s[24:25], v2, v2, v1
	v_rcp_f32_e32 v4, v3
	v_div_scale_f32 v5, vcc, v1, v2, v1
	v_fma_f32 v6, -v3, v4, 1.0
	v_fmac_f32_e32 v4, v6, v4
	v_mul_f32_e32 v6, v5, v4
	v_fma_f32 v7, -v3, v6, v5
	v_fmac_f32_e32 v6, v7, v4
	v_fma_f32 v3, -v3, v6, v5
	v_div_fmas_f32 v3, v3, v4, v6
	v_div_fixup_f32 v1, v3, v2, v1
	v_add_f32_e32 v1, s16, v1
	v_mul_f32_e32 v2, 0x4b800000, v1
	v_cmp_gt_f32_e32 vcc, s13, v1
	v_cndmask_b32_e32 v1, v1, v2, vcc
	v_rsq_f32_e32 v1, v1
	v_mul_f32_e32 v2, 0x45800000, v1
	v_cndmask_b32_e32 v1, v1, v2, vcc
	v_mov_b32_e32 v2, 0
	ds_write_b32 v2, v1 offset:4160
.LBB20_16:
	s_or_b64 exec, exec, s[2:3]
	s_ashr_i32 s2, s20, 31
	s_lshr_b32 s2, s2, 25
	s_add_i32 s3, s20, s2
	s_ashr_i32 s2, s3, 7
	s_cmp_lt_u32 s6, s48
	s_cselect_b32 s13, 12, 18
	s_add_u32 s16, s22, s13
	v_mov_b32_e32 v5, 0
	s_addc_u32 s17, s23, 0
	s_waitcnt lgkmcnt(0)
	s_barrier
	global_load_ushort v1, v5, s[16:17]
	ds_read_b32 v36, v5 offset:4160
	s_abs_i32 s13, s2
	v_cvt_f32_u32_e32 v2, s13
	s_sub_i32 s16, 0, s13
	s_ashr_i32 s3, s3, 31
	v_mov_b32_e32 v10, s12
	v_rcp_iflag_f32_e32 v2, v2
	v_mul_f32_e32 v2, 0x4f7ffffe, v2
	v_cvt_u32_f32_e32 v2, v2
	v_readfirstlane_b32 s17, v2
	s_mul_i32 s16, s16, s17
	s_mul_hi_u32 s16, s17, s16
	s_add_i32 s17, s17, s16
	s_waitcnt vmcnt(0)
	v_readfirstlane_b32 s47, v1
	s_mul_hi_u32 s16, s47, s17
	s_mul_i32 s17, s16, s13
	s_sub_i32 s17, s47, s17
	s_add_i32 s22, s16, 1
	s_sub_i32 s23, s17, s13
	s_cmp_ge_u32 s17, s13
	s_cselect_b32 s16, s22, s16
	s_cselect_b32 s17, s23, s17
	s_add_i32 s22, s16, 1
	s_cmp_ge_u32 s17, s13
	s_cselect_b32 s13, s22, s16
	s_xor_b32 s13, s13, s3
	s_sub_i32 s16, s13, s3
	s_abs_i32 s3, s16
	v_cvt_f32_u32_e32 v1, s3
	s_sub_i32 s22, 0, s3
	s_ashr_i32 s17, s16, 31
	s_ashr_i32 s13, s12, 31
	v_rcp_iflag_f32_e32 v1, v1
	v_mov_b32_e32 v11, s13
	v_mul_f32_e32 v1, 0x4f7ffffe, v1
	v_cvt_u32_f32_e32 v1, v1
	v_mul_lo_u32 v2, s22, v1
	v_mul_hi_u32 v2, v1, v2
	v_add_u32_e32 v1, v1, v2
	v_mul_hi_u32 v1, v0, v1
	v_mul_lo_u32 v2, v1, s3
	v_sub_u32_e32 v2, v0, v2
	v_add_u32_e32 v3, 1, v1
	v_cmp_le_u32_e32 vcc, s3, v2
	v_cndmask_b32_e32 v1, v1, v3, vcc
	v_subrev_u32_e32 v3, s3, v2
	v_cndmask_b32_e32 v2, v2, v3, vcc
	v_add_u32_e32 v3, 1, v1
	v_cmp_le_u32_e32 vcc, s3, v2
	v_cndmask_b32_e32 v1, v1, v3, vcc
	v_xor_b32_e32 v1, s17, v1
	v_subrev_u32_e32 v2, s17, v1
	v_mul_lo_u32 v1, v2, s16
	v_ashrrev_i32_e32 v3, 31, v2
	v_sub_u32_e32 v4, v0, v1
	v_lshlrev_b64 v[8:9], 5, v[2:3]
	v_add_co_u32_e32 v6, vcc, v8, v4
	v_addc_co_u32_e32 v7, vcc, 0, v9, vcc
	v_add_co_u32_e32 v8, vcc, 32, v8
	v_addc_co_u32_e32 v9, vcc, 0, v9, vcc
	v_cmp_gt_i64_e32 vcc, s[12:13], v[8:9]
	v_cndmask_b32_e32 v8, v10, v8, vcc
	v_cndmask_b32_e32 v9, v11, v9, vcc
	v_ashrrev_i32_e32 v11, 31, v8
	v_mov_b32_e32 v10, v8
	v_cmp_lt_i64_e32 vcc, v[6:7], v[10:11]
	s_and_saveexec_b64 s[22:23], vcc
	s_cbranch_execz .LBB20_26
; %bb.17:
	v_lshlrev_b64 v[12:13], 9, v[2:3]
	v_lshlrev_b64 v[14:15], 4, v[4:5]
	v_add_co_u32_e32 v12, vcc, v12, v14
	v_addc_co_u32_e32 v1, vcc, v13, v15, vcc
	s_lshl_b64 s[24:25], s[16:17], 6
	s_mul_hi_i32 s3, s16, 3
	s_mul_i32 s13, s16, 3
	s_lshl_b64 s[26:27], s[16:17], 1
	s_lshl_b64 s[30:31], s[16:17], 4
	s_mov_b64 s[28:29], 0
	v_mov_b32_e32 v5, 0
	v_mov_b32_e32 v13, s44
	;; [unrolled: 1-line block ×5, first 2 shown]
	v_pk_mov_b32 v[14:15], v[6:7], v[6:7] op_sel:[0,1]
                                        ; implicit-def: $sgpr34_sgpr35
	s_branch .LBB20_21
.LBB20_18:                              ;   in Loop: Header=BB20_21 Depth=1
	s_or_b64 exec, exec, s[40:41]
	s_orn2_b64 s[40:41], s[42:43], exec
.LBB20_19:                              ;   in Loop: Header=BB20_21 Depth=1
	s_or_b64 exec, exec, s[38:39]
	s_andn2_b64 s[34:35], s[34:35], exec
	s_and_b64 s[38:39], s[40:41], exec
	s_or_b64 s[34:35], s[34:35], s[38:39]
.LBB20_20:                              ;   in Loop: Header=BB20_21 Depth=1
	s_or_b64 exec, exec, s[36:37]
	s_and_b64 s[36:37], exec, s[34:35]
	s_or_b64 s[28:29], s[36:37], s[28:29]
	s_andn2_b64 exec, exec, s[28:29]
	s_cbranch_execz .LBB20_25
.LBB20_21:                              ; =>This Inner Loop Header: Depth=1
	v_add_co_u32_e32 v18, vcc, s33, v12
	v_addc_co_u32_e32 v19, vcc, v13, v1, vcc
	v_add_co_u32_e32 v22, vcc, s45, v12
	v_addc_co_u32_e32 v23, vcc, v25, v1, vcc
	global_load_dwordx4 v[28:31], v[18:19], off
	global_load_dwordx4 v[32:35], v[22:23], off
	v_add_co_u32_e32 v20, vcc, s14, v12
	v_addc_co_u32_e32 v21, vcc, v24, v1, vcc
	global_load_dwordx4 v[38:41], v[20:21], off
	v_add_co_u32_e32 v16, vcc, s16, v14
	v_addc_co_u32_e32 v17, vcc, v15, v26, vcc
	v_cmp_lt_i64_e32 vcc, v[16:17], v[10:11]
	s_or_b64 s[34:35], s[34:35], exec
	s_waitcnt vmcnt(1)
	v_add_f32_e32 v27, v28, v32
	v_add_f32_e32 v28, v29, v33
	;; [unrolled: 1-line block ×4, first 2 shown]
	s_waitcnt lgkmcnt(0)
	v_mul_f32_e32 v27, v36, v27
	v_mul_f32_e32 v28, v36, v28
	;; [unrolled: 1-line block ×4, first 2 shown]
	s_waitcnt vmcnt(0)
	v_mul_f32_e32 v27, v38, v27
	v_mul_f32_e32 v28, v39, v28
	;; [unrolled: 1-line block ×4, first 2 shown]
	v_max3_f32 v5, v5, |v27|, |v28|
	v_max3_f32 v5, v5, |v29|, |v30|
	s_and_saveexec_b64 s[36:37], vcc
	s_cbranch_execz .LBB20_20
; %bb.22:                               ;   in Loop: Header=BB20_21 Depth=1
	v_mov_b32_e32 v27, s31
	v_add_co_u32_e32 v18, vcc, s30, v18
	v_addc_co_u32_e32 v19, vcc, v19, v27, vcc
	v_add_co_u32_e32 v22, vcc, s30, v22
	v_addc_co_u32_e32 v23, vcc, v23, v27, vcc
	global_load_dwordx4 v[28:31], v[18:19], off
	global_load_dwordx4 v[32:35], v[22:23], off
	v_add_co_u32_e32 v20, vcc, s30, v20
	v_addc_co_u32_e32 v21, vcc, v21, v27, vcc
	global_load_dwordx4 v[38:41], v[20:21], off
	v_mov_b32_e32 v27, s27
	v_add_co_u32_e32 v42, vcc, s26, v14
	v_addc_co_u32_e32 v43, vcc, v27, v15, vcc
	v_cmp_lt_i64_e32 vcc, v[42:43], v[10:11]
	s_mov_b64 s[40:41], -1
	s_waitcnt vmcnt(1)
	v_add_f32_e32 v27, v28, v32
	v_add_f32_e32 v28, v29, v33
	;; [unrolled: 1-line block ×4, first 2 shown]
	v_mul_f32_e32 v27, v36, v27
	v_mul_f32_e32 v28, v36, v28
	v_mul_f32_e32 v29, v36, v29
	v_mul_f32_e32 v30, v36, v30
	s_waitcnt vmcnt(0)
	v_mul_f32_e32 v27, v38, v27
	v_mul_f32_e32 v28, v39, v28
	;; [unrolled: 1-line block ×4, first 2 shown]
	v_max3_f32 v5, v5, |v27|, |v28|
	v_max3_f32 v5, v5, |v29|, |v30|
	s_and_saveexec_b64 s[38:39], vcc
	s_cbranch_execz .LBB20_19
; %bb.23:                               ;   in Loop: Header=BB20_21 Depth=1
	v_mov_b32_e32 v27, s31
	v_add_co_u32_e32 v18, vcc, s30, v18
	v_addc_co_u32_e32 v19, vcc, v19, v27, vcc
	v_add_co_u32_e32 v22, vcc, s30, v22
	v_addc_co_u32_e32 v23, vcc, v23, v27, vcc
	global_load_dwordx4 v[28:31], v[18:19], off
	global_load_dwordx4 v[32:35], v[22:23], off
	v_add_co_u32_e32 v20, vcc, s30, v20
	v_addc_co_u32_e32 v21, vcc, v21, v27, vcc
	global_load_dwordx4 v[38:41], v[20:21], off
	v_mov_b32_e32 v27, s3
	v_add_co_u32_e32 v14, vcc, s13, v14
	v_addc_co_u32_e32 v15, vcc, v27, v15, vcc
	v_cmp_lt_i64_e32 vcc, v[14:15], v[10:11]
	s_mov_b64 s[42:43], -1
	s_waitcnt vmcnt(1)
	v_add_f32_e32 v14, v28, v32
	v_add_f32_e32 v15, v29, v33
	v_add_f32_e32 v27, v30, v34
	v_add_f32_e32 v28, v31, v35
	v_mul_f32_e32 v14, v36, v14
	v_mul_f32_e32 v15, v36, v15
	v_mul_f32_e32 v27, v36, v27
	v_mul_f32_e32 v28, v36, v28
	s_waitcnt vmcnt(0)
	v_mul_f32_e32 v14, v38, v14
	v_mul_f32_e32 v15, v39, v15
	;; [unrolled: 1-line block ×4, first 2 shown]
	v_max3_f32 v5, v5, |v14|, |v15|
	v_max3_f32 v5, v5, |v27|, |v28|
                                        ; implicit-def: $vgpr14_vgpr15
	s_and_saveexec_b64 s[40:41], vcc
	s_xor_b64 s[40:41], exec, s[40:41]
	s_cbranch_execz .LBB20_18
; %bb.24:                               ;   in Loop: Header=BB20_21 Depth=1
	v_mov_b32_e32 v27, s31
	v_add_co_u32_e32 v14, vcc, s30, v18
	v_addc_co_u32_e32 v15, vcc, v19, v27, vcc
	global_load_dwordx4 v[28:31], v[14:15], off
	v_add_co_u32_e32 v14, vcc, s30, v22
	v_addc_co_u32_e32 v15, vcc, v23, v27, vcc
	global_load_dwordx4 v[32:35], v[14:15], off
	;; [unrolled: 3-line block ×3, first 2 shown]
	s_add_u32 s42, s16, s16
	s_addc_u32 s43, s17, s17
	v_mov_b32_e32 v14, s25
	v_add_co_u32_e32 v12, vcc, s24, v12
	s_add_u32 s42, s42, s16
	v_addc_co_u32_e32 v1, vcc, v1, v14, vcc
	s_addc_u32 s43, s43, s17
	v_mov_b32_e32 v15, s43
	v_add_co_u32_e32 v14, vcc, s42, v16
	v_addc_co_u32_e32 v15, vcc, v15, v17, vcc
	v_cmp_ge_i64_e32 vcc, v[14:15], v[10:11]
	s_orn2_b64 s[42:43], vcc, exec
	s_waitcnt vmcnt(1)
	v_add_f32_e32 v16, v28, v32
	v_add_f32_e32 v17, v29, v33
	;; [unrolled: 1-line block ×4, first 2 shown]
	v_mul_f32_e32 v16, v36, v16
	v_mul_f32_e32 v17, v36, v17
	;; [unrolled: 1-line block ×4, first 2 shown]
	s_waitcnt vmcnt(0)
	v_mul_f32_e32 v16, v18, v16
	v_mul_f32_e32 v17, v19, v17
	v_mul_f32_e32 v18, v20, v22
	v_mul_f32_e32 v19, v21, v23
	v_max3_f32 v5, v5, |v16|, |v17|
	v_max3_f32 v5, v5, |v18|, |v19|
	s_branch .LBB20_18
.LBB20_25:
	s_or_b64 exec, exec, s[28:29]
.LBB20_26:
	s_or_b64 exec, exec, s[22:23]
	s_lshr_b32 s13, s47, 6
	v_cvt_f32_u32_e32 v10, s13
	v_lshlrev_b32_e32 v1, 2, v0
	ds_write_b32 v1, v5
	s_sub_i32 s23, 0, s13
	v_rcp_iflag_f32_e32 v5, v10
	s_add_i32 s3, s2, s13
	s_add_i32 s3, s3, -1
	s_ashr_i32 s22, s3, 31
	v_mul_f32_e32 v5, 0x4f7ffffe, v5
	v_cvt_u32_f32_e32 v5, v5
	s_abs_i32 s3, s3
	s_waitcnt lgkmcnt(0)
	s_barrier
	v_readfirstlane_b32 s24, v5
	s_mul_i32 s23, s23, s24
	s_mul_hi_u32 s23, s24, s23
	s_add_i32 s24, s24, s23
	s_mul_hi_u32 s23, s3, s24
	s_mul_i32 s24, s23, s13
	s_sub_i32 s3, s3, s24
	s_add_i32 s24, s23, 1
	s_sub_i32 s25, s3, s13
	s_cmp_ge_u32 s3, s13
	s_cselect_b32 s23, s24, s23
	s_cselect_b32 s3, s25, s3
	s_add_i32 s24, s23, 1
	s_cmp_ge_u32 s3, s13
	s_cselect_b32 s3, s24, s23
	s_xor_b32 s3, s3, s22
	s_sub_i32 s22, s3, s22
	s_ashr_i32 s23, s22, 31
	v_cmp_lt_i64_e64 s[24:25], s[22:23], 1
	s_and_b64 vcc, exec, s[24:25]
	s_cbranch_vccnz .LBB20_48
; %bb.27:
	v_and_b32_e32 v12, 63, v0
	v_add_co_u32_e32 v14, vcc, 32, v12
	v_addc_co_u32_e64 v15, s[24:25], 0, 0, vcc
	v_add_co_u32_e32 v16, vcc, 16, v12
	v_addc_co_u32_e64 v17, s[24:25], 0, 0, vcc
	;; [unrolled: 2-line block ×4, first 2 shown]
	v_add_co_u32_e32 v22, vcc, 2, v12
	v_lshrrev_b32_e32 v10, 6, v0
	v_addc_co_u32_e64 v23, s[24:25], 0, 0, vcc
	v_add_co_u32_e32 v24, vcc, 1, v12
	v_addc_co_u32_e64 v25, s[24:25], 0, 0, vcc
	v_mul_lo_u32 v5, s16, v10
	v_lshlrev_b32_e32 v5, 2, v5
	v_lshlrev_b32_e32 v26, 2, v12
	s_movk_i32 s24, 0x100
	v_mov_b32_e32 v11, 0
	v_add3_u32 v5, v5, v26, s24
	s_mul_i32 s24, s16, s13
	s_ashr_i32 s3, s2, 31
	v_mov_b32_e32 v13, v11
	s_lshl_b32 s36, s24, 2
	s_mov_b64 s[24:25], 0
	v_mov_b32_e32 v37, s13
	s_mov_b64 s[26:27], src_shared_base
	s_branch .LBB20_30
.LBB20_28:                              ;   in Loop: Header=BB20_30 Depth=1
	s_or_b64 exec, exec, s[30:31]
	v_mov_b32_e32 v27, s27
	flat_load_dword v26, v[26:27] glc
	s_waitcnt vmcnt(0)
.LBB20_29:                              ;   in Loop: Header=BB20_30 Depth=1
	s_or_b64 exec, exec, s[28:29]
	s_add_u32 s24, s24, 1
	s_addc_u32 s25, s25, 0
	s_cmp_eq_u64 s[24:25], s[22:23]
	v_add_u32_e32 v5, s36, v5
	s_cbranch_scc1 .LBB20_48
.LBB20_30:                              ; =>This Loop Header: Depth=1
                                        ;     Child Loop BB20_33 Depth 2
	v_mad_u64_u32 v[30:31], s[28:29], s24, v37, v[10:11]
	s_mul_i32 s26, s25, s13
	v_add_u32_e32 v31, s26, v31
	v_cmp_gt_i64_e32 vcc, s[2:3], v[30:31]
	s_and_saveexec_b64 s[28:29], vcc
	s_cbranch_execz .LBB20_29
; %bb.31:                               ;   in Loop: Header=BB20_30 Depth=1
	v_pk_mov_b32 v[32:33], s[16:17], s[16:17] op_sel:[0,1]
	v_mul_lo_u32 v29, v31, s16
	v_mul_lo_u32 v38, v30, s17
	v_mad_u64_u32 v[32:33], s[30:31], v30, s16, v[32:33]
	v_add3_u32 v33, v29, v33, v38
	v_mov_b32_e32 v28, s21
	v_cmp_gt_i64_e32 vcc, s[20:21], v[32:33]
	s_waitcnt lgkmcnt(0)
	v_mad_u64_u32 v[26:27], s[30:31], v30, s16, v[12:13]
	v_cndmask_b32_e32 v33, v28, v33, vcc
	v_mov_b32_e32 v28, s20
	v_add3_u32 v27, v29, v27, v38
	v_cndmask_b32_e32 v32, v28, v32, vcc
	v_add_co_u32_e32 v34, vcc, 64, v26
	v_addc_co_u32_e32 v35, vcc, 0, v27, vcc
	v_cmp_lt_i64_e32 vcc, v[34:35], v[32:33]
	v_lshlrev_b32_e32 v28, 2, v26
	s_and_saveexec_b64 s[30:31], vcc
	s_cbranch_execz .LBB20_34
; %bb.32:                               ;   in Loop: Header=BB20_30 Depth=1
	ds_read_b32 v31, v28
	s_mov_b64 s[34:35], 0
	v_mov_b32_e32 v27, v5
.LBB20_33:                              ;   Parent Loop BB20_30 Depth=1
                                        ; =>  This Inner Loop Header: Depth=2
	ds_read_b32 v39, v27
	v_add_co_u32_e32 v34, vcc, 64, v34
	v_addc_co_u32_e32 v35, vcc, 0, v35, vcc
	s_waitcnt lgkmcnt(1)
	v_max_f32_e32 v31, v31, v31
	v_cmp_ge_i64_e32 vcc, v[34:35], v[32:33]
	s_waitcnt lgkmcnt(0)
	v_max_f32_e32 v39, v39, v39
	v_add_u32_e32 v27, 0x100, v27
	s_or_b64 s[34:35], vcc, s[34:35]
	v_max_f32_e32 v31, v31, v39
	ds_write_b32 v28, v31
	s_andn2_b64 exec, exec, s[34:35]
	s_cbranch_execnz .LBB20_33
.LBB20_34:                              ;   in Loop: Header=BB20_30 Depth=1
	s_or_b64 exec, exec, s[30:31]
	v_mad_u64_u32 v[30:31], s[30:31], v30, s16, 0
	v_add3_u32 v27, v31, v38, v29
	v_sub_co_u32_e32 v30, vcc, v32, v30
	v_subb_co_u32_e32 v31, vcc, v33, v27, vcc
	v_cmp_gt_i64_e32 vcc, 64, v[30:31]
	v_cndmask_b32_e32 v31, 0, v31, vcc
	v_cndmask_b32_e32 v30, 64, v30, vcc
	v_cmp_lt_i64_e32 vcc, v[14:15], v[30:31]
	s_and_saveexec_b64 s[30:31], vcc
	s_cbranch_execnz .LBB20_46
; %bb.35:                               ;   in Loop: Header=BB20_30 Depth=1
	s_or_b64 exec, exec, s[30:31]
	v_cmp_lt_i64_e32 vcc, v[16:17], v[30:31]
	s_and_saveexec_b64 s[30:31], vcc
	s_cbranch_execnz .LBB20_47
.LBB20_36:                              ;   in Loop: Header=BB20_30 Depth=1
	s_or_b64 exec, exec, s[30:31]
	v_cmp_lt_i64_e32 vcc, v[18:19], v[30:31]
	s_and_saveexec_b64 s[30:31], vcc
	s_cbranch_execz .LBB20_38
.LBB20_37:                              ;   in Loop: Header=BB20_30 Depth=1
	v_mov_b32_e32 v29, s27
	v_add_u32_e32 v32, 32, v28
	v_mov_b32_e32 v33, s27
	flat_load_dword v27, v[28:29] glc
	s_waitcnt vmcnt(0)
	flat_load_dword v34, v[32:33] glc
	s_waitcnt vmcnt(0) lgkmcnt(0)
	v_max_f32_e32 v27, v27, v27
	v_max_f32_e32 v32, v34, v34
	;; [unrolled: 1-line block ×3, first 2 shown]
	flat_store_dword v[28:29], v27
	s_waitcnt vmcnt(0)
.LBB20_38:                              ;   in Loop: Header=BB20_30 Depth=1
	s_or_b64 exec, exec, s[30:31]
	v_cmp_ge_i64_e32 vcc, v[20:21], v[30:31]
	s_and_saveexec_b64 s[30:31], vcc
	s_xor_b64 s[30:31], exec, s[30:31]
; %bb.39:                               ;   in Loop: Header=BB20_30 Depth=1
                                        ; implicit-def: $vgpr28
; %bb.40:                               ;   in Loop: Header=BB20_30 Depth=1
	s_andn2_saveexec_b64 s[30:31], s[30:31]
	s_cbranch_execz .LBB20_42
; %bb.41:                               ;   in Loop: Header=BB20_30 Depth=1
	v_mov_b32_e32 v29, s27
	v_add_u32_e32 v32, 16, v28
	v_mov_b32_e32 v33, s27
	flat_load_dword v27, v[28:29] glc
	s_waitcnt vmcnt(0)
	flat_load_dword v34, v[32:33] glc
	s_waitcnt vmcnt(0) lgkmcnt(0)
	v_max_f32_e32 v27, v27, v27
	v_max_f32_e32 v32, v34, v34
	v_max_f32_e32 v27, v27, v32
	flat_store_dword v[28:29], v27
	s_waitcnt vmcnt(0)
.LBB20_42:                              ;   in Loop: Header=BB20_30 Depth=1
	s_or_b64 exec, exec, s[30:31]
	v_cmp_lt_i64_e32 vcc, v[22:23], v[30:31]
	v_lshlrev_b32_e32 v26, 2, v26
	s_and_saveexec_b64 s[30:31], vcc
	s_cbranch_execz .LBB20_44
; %bb.43:                               ;   in Loop: Header=BB20_30 Depth=1
	v_mov_b32_e32 v27, s27
	v_add_u32_e32 v28, 8, v26
	v_mov_b32_e32 v29, s27
	flat_load_dword v32, v[26:27] glc
	s_waitcnt vmcnt(0)
	flat_load_dword v33, v[28:29] glc
	s_waitcnt vmcnt(0) lgkmcnt(0)
	v_max_f32_e32 v28, v32, v32
	v_max_f32_e32 v29, v33, v33
	;; [unrolled: 1-line block ×3, first 2 shown]
	flat_store_dword v[26:27], v28
	s_waitcnt vmcnt(0)
.LBB20_44:                              ;   in Loop: Header=BB20_30 Depth=1
	s_or_b64 exec, exec, s[30:31]
	v_cmp_lt_i64_e32 vcc, v[24:25], v[30:31]
	s_and_saveexec_b64 s[30:31], vcc
	s_cbranch_execz .LBB20_28
; %bb.45:                               ;   in Loop: Header=BB20_30 Depth=1
	v_mov_b32_e32 v27, s27
	v_add_u32_e32 v28, 4, v26
	v_mov_b32_e32 v29, s27
	flat_load_dword v30, v[26:27] glc
	s_waitcnt vmcnt(0)
	flat_load_dword v31, v[28:29] glc
	s_waitcnt vmcnt(0) lgkmcnt(0)
	v_max_f32_e32 v28, v30, v30
	v_max_f32_e32 v29, v31, v31
	;; [unrolled: 1-line block ×3, first 2 shown]
	flat_store_dword v[26:27], v28
	s_waitcnt vmcnt(0)
	s_branch .LBB20_28
.LBB20_46:                              ;   in Loop: Header=BB20_30 Depth=1
	v_mov_b32_e32 v29, s27
	v_add_u32_e32 v32, 0x80, v28
	v_mov_b32_e32 v33, s27
	flat_load_dword v27, v[28:29] glc
	s_waitcnt vmcnt(0)
	flat_load_dword v34, v[32:33] glc
	s_waitcnt vmcnt(0) lgkmcnt(0)
	v_max_f32_e32 v27, v27, v27
	v_max_f32_e32 v32, v34, v34
	v_max_f32_e32 v27, v27, v32
	flat_store_dword v[28:29], v27
	s_waitcnt vmcnt(0)
	s_or_b64 exec, exec, s[30:31]
	v_cmp_lt_i64_e32 vcc, v[16:17], v[30:31]
	s_and_saveexec_b64 s[30:31], vcc
	s_cbranch_execz .LBB20_36
.LBB20_47:                              ;   in Loop: Header=BB20_30 Depth=1
	v_mov_b32_e32 v29, s27
	v_add_u32_e32 v32, 64, v28
	v_mov_b32_e32 v33, s27
	flat_load_dword v27, v[28:29] glc
	s_waitcnt vmcnt(0)
	flat_load_dword v34, v[32:33] glc
	s_waitcnt vmcnt(0) lgkmcnt(0)
	v_max_f32_e32 v27, v27, v27
	v_max_f32_e32 v32, v34, v34
	;; [unrolled: 1-line block ×3, first 2 shown]
	flat_store_dword v[28:29], v27
	s_waitcnt vmcnt(0)
	s_or_b64 exec, exec, s[30:31]
	v_cmp_lt_i64_e32 vcc, v[18:19], v[30:31]
	s_and_saveexec_b64 s[30:31], vcc
	s_cbranch_execnz .LBB20_37
	s_branch .LBB20_38
.LBB20_48:
	s_load_dwordx2 s[16:17], s[4:5], 0x40
	v_cmp_eq_u32_e32 vcc, 0, v4
	v_cmp_lt_i64_e64 s[2:3], v[6:7], v[8:9]
	s_and_b64 s[2:3], vcc, s[2:3]
	s_waitcnt lgkmcnt(0)
	s_barrier
	s_and_saveexec_b64 s[20:21], s[2:3]
	s_cbranch_execz .LBB20_55
; %bb.49:
	s_load_dwordx2 s[2:3], s[4:5], 0x20
	ds_read_b32 v1, v1
	s_waitcnt lgkmcnt(0)
	s_cmp_eq_u64 s[2:3], 0
	s_cbranch_scc1 .LBB20_51
; %bb.50:
	s_load_dword s2, s[2:3], 0x0
	v_max_f32_e32 v1, v1, v1
	s_waitcnt lgkmcnt(0)
	v_max_f32_e64 v4, s2, s2
	v_min_f32_e32 v1, v1, v4
.LBB20_51:
	s_add_u32 s3, s16, s48
	s_addc_u32 s4, s17, 0
	s_add_u32 s22, s3, -1
	s_addc_u32 s23, s4, -1
	s_or_b64 s[4:5], s[22:23], s[16:17]
	s_mov_b32 s2, 0
	s_mov_b32 s3, s5
	s_cmp_lg_u64 s[2:3], 0
	s_mov_b64 s[24:25], -1
	s_cbranch_scc0 .LBB20_68
; %bb.52:
	s_ashr_i32 s2, s17, 31
	s_add_u32 s4, s16, s2
	s_mov_b32 s3, s2
	s_addc_u32 s5, s17, s2
	s_xor_b64 s[26:27], s[4:5], s[2:3]
	v_cvt_f32_u32_e32 v4, s26
	v_cvt_f32_u32_e32 v5, s27
	s_sub_u32 s2, 0, s26
	s_subb_u32 s3, 0, s27
	v_madmk_f32 v4, v5, 0x4f800000, v4
	v_rcp_f32_e32 v4, v4
	v_mul_f32_e32 v4, 0x5f7ffffc, v4
	v_mul_f32_e32 v5, 0x2f800000, v4
	v_trunc_f32_e32 v5, v5
	v_madmk_f32 v4, v5, 0xcf800000, v4
	v_cvt_u32_f32_e32 v5, v5
	v_cvt_u32_f32_e32 v4, v4
	v_readfirstlane_b32 s4, v5
	v_readfirstlane_b32 s5, v4
	s_mul_i32 s13, s2, s4
	s_mul_hi_u32 s29, s2, s5
	s_mul_i32 s28, s3, s5
	s_add_i32 s13, s29, s13
	s_add_i32 s13, s13, s28
	s_mul_i32 s30, s2, s5
	s_mul_hi_u32 s28, s5, s13
	s_mul_i32 s29, s5, s13
	s_mul_hi_u32 s5, s5, s30
	s_add_u32 s5, s5, s29
	s_addc_u32 s28, 0, s28
	s_mul_hi_u32 s31, s4, s30
	s_mul_i32 s30, s4, s30
	s_add_u32 s5, s5, s30
	s_mul_hi_u32 s29, s4, s13
	s_addc_u32 s5, s28, s31
	s_addc_u32 s28, s29, 0
	s_mul_i32 s13, s4, s13
	s_add_u32 s5, s5, s13
	s_addc_u32 s13, 0, s28
	v_add_co_u32_e32 v4, vcc, s5, v4
	s_cmp_lg_u64 vcc, 0
	s_addc_u32 s4, s4, s13
	v_readfirstlane_b32 s13, v4
	s_mul_i32 s5, s2, s4
	s_mul_hi_u32 s28, s2, s13
	s_add_i32 s5, s28, s5
	s_mul_i32 s3, s3, s13
	s_add_i32 s5, s5, s3
	s_mul_i32 s2, s2, s13
	s_mul_hi_u32 s28, s4, s2
	s_mul_i32 s29, s4, s2
	s_mul_i32 s31, s13, s5
	s_mul_hi_u32 s2, s13, s2
	s_mul_hi_u32 s30, s13, s5
	s_add_u32 s2, s2, s31
	s_addc_u32 s13, 0, s30
	s_add_u32 s2, s2, s29
	s_mul_hi_u32 s3, s4, s5
	s_addc_u32 s2, s13, s28
	s_addc_u32 s3, s3, 0
	s_mul_i32 s5, s4, s5
	s_add_u32 s2, s2, s5
	s_addc_u32 s3, 0, s3
	v_add_co_u32_e32 v4, vcc, s2, v4
	s_cmp_lg_u64 vcc, 0
	s_addc_u32 s4, s4, s3
	s_ashr_i32 s28, s23, 31
	s_add_u32 s2, s22, s28
	s_mov_b32 s29, s28
	s_addc_u32 s3, s23, s28
	s_xor_b64 s[30:31], s[2:3], s[28:29]
	v_readfirstlane_b32 s5, v4
	s_mul_i32 s3, s30, s4
	s_mul_hi_u32 s13, s30, s5
	s_mul_hi_u32 s2, s30, s4
	s_add_u32 s3, s13, s3
	s_addc_u32 s2, 0, s2
	s_mul_hi_u32 s29, s31, s5
	s_mul_i32 s5, s31, s5
	s_add_u32 s3, s3, s5
	s_mul_hi_u32 s13, s31, s4
	s_addc_u32 s2, s2, s29
	s_addc_u32 s3, s13, 0
	s_mul_i32 s4, s31, s4
	s_add_u32 s2, s2, s4
	s_addc_u32 s3, 0, s3
	s_mul_i32 s3, s26, s3
	s_mul_hi_u32 s4, s26, s2
	s_add_i32 s3, s4, s3
	s_mul_i32 s4, s27, s2
	s_mul_i32 s2, s26, s2
	s_add_i32 s13, s3, s4
	v_mov_b32_e32 v4, s2
	s_sub_i32 s3, s31, s13
	v_sub_co_u32_e32 v4, vcc, s30, v4
	s_cmp_lg_u64 vcc, 0
	s_subb_u32 s29, s3, s27
	v_subrev_co_u32_e64 v5, s[2:3], s26, v4
	s_cmp_lg_u64 s[2:3], 0
	s_subb_u32 s30, s29, 0
	s_cmp_ge_u32 s30, s27
	s_cselect_b32 s34, -1, 0
	v_cmp_le_u32_e64 s[4:5], s26, v5
	s_cmp_eq_u32 s30, s27
	v_cndmask_b32_e64 v6, 0, -1, s[4:5]
	v_mov_b32_e32 v7, s34
	s_cselect_b64 s[4:5], -1, 0
	s_cmp_lg_u64 s[2:3], 0
	v_cndmask_b32_e64 v6, v7, v6, s[4:5]
	s_subb_u32 s4, s29, s27
	v_subrev_co_u32_e64 v7, s[2:3], s26, v5
	s_cmp_lg_u64 s[2:3], 0
	s_subb_u32 s4, s4, 0
	v_cmp_ne_u32_e64 s[2:3], 0, v6
	v_cndmask_b32_e64 v5, v5, v7, s[2:3]
	v_mov_b32_e32 v6, s30
	v_mov_b32_e32 v7, s4
	s_cmp_lg_u64 vcc, 0
	v_cndmask_b32_e64 v6, v6, v7, s[2:3]
	s_subb_u32 s2, s31, s13
	s_cmp_ge_u32 s2, s27
	s_cselect_b32 s3, -1, 0
	v_cmp_le_u32_e32 vcc, s26, v4
	s_cmp_eq_u32 s2, s27
	v_cndmask_b32_e64 v7, 0, -1, vcc
	v_mov_b32_e32 v8, s3
	s_cselect_b64 vcc, -1, 0
	v_cndmask_b32_e32 v7, v8, v7, vcc
	v_cmp_ne_u32_e32 vcc, 0, v7
	v_mov_b32_e32 v8, s2
	v_cndmask_b32_e32 v4, v4, v5, vcc
	v_cndmask_b32_e32 v6, v8, v6, vcc
	v_xor_b32_e32 v4, s28, v4
	v_xor_b32_e32 v5, s28, v6
	v_mov_b32_e32 v6, s28
	v_subrev_co_u32_e32 v4, vcc, s28, v4
	v_subb_co_u32_e32 v5, vcc, v5, v6, vcc
	s_cbranch_execnz .LBB20_54
.LBB20_53:
	v_cvt_f32_u32_e32 v4, s16
	s_sub_i32 s2, 0, s16
	v_rcp_iflag_f32_e32 v4, v4
	v_mul_f32_e32 v4, 0x4f7ffffe, v4
	v_cvt_u32_f32_e32 v4, v4
	v_mul_lo_u32 v5, s2, v4
	v_mul_hi_u32 v5, v4, v5
	v_add_u32_e32 v4, v4, v5
	v_mul_hi_u32 v4, s22, v4
	v_mul_lo_u32 v4, v4, s16
	v_sub_u32_e32 v4, s22, v4
	v_subrev_u32_e32 v5, s16, v4
	v_cmp_le_u32_e32 vcc, s16, v4
	v_cndmask_b32_e32 v4, v4, v5, vcc
	v_subrev_u32_e32 v5, s16, v4
	v_cmp_le_u32_e32 vcc, s16, v4
	v_cndmask_b32_e32 v4, v4, v5, vcc
	v_mov_b32_e32 v5, 0
.LBB20_54:
	s_mov_b32 s4, 0x42fe0000
	v_div_scale_f32 v6, s[2:3], s4, s4, v1
	v_rcp_f32_e32 v7, v6
	v_div_scale_f32 v8, vcc, v1, s4, v1
	v_fma_f32 v9, -v6, v7, 1.0
	v_fmac_f32_e32 v7, v9, v7
	v_mul_f32_e32 v9, v8, v7
	v_fma_f32 v10, -v6, v9, v8
	v_fmac_f32_e32 v9, v10, v7
	v_fma_f32 v6, -v6, v9, v8
	v_div_fmas_f32 v6, v6, v7, v9
	v_div_fixup_f32 v1, v6, s4, v1
	v_mov_b32_e32 v6, s23
	v_sub_co_u32_e32 v4, vcc, s22, v4
	v_subb_co_u32_e32 v5, vcc, v6, v5, vcc
	v_mul_lo_u32 v5, v5, v2
	v_mul_lo_u32 v6, v4, v3
	v_mad_u64_u32 v[2:3], s[2:3], v4, v2, 0
	s_lshl_b64 s[2:3], s[6:7], 2
	v_add3_u32 v3, v3, v6, v5
	s_add_u32 s2, s2, s10
	v_lshlrev_b64 v[2:3], 2, v[2:3]
	s_addc_u32 s3, s3, s11
	v_mov_b32_e32 v4, s3
	v_add_co_u32_e32 v2, vcc, s2, v2
	v_max_f32_e32 v1, 0x34000000, v1
	v_addc_co_u32_e32 v3, vcc, v4, v3, vcc
	global_store_dword v[2:3], v1, off
.LBB20_55:
	s_or_b64 exec, exec, s[20:21]
	s_barrier
	s_and_saveexec_b64 s[2:3], s[0:1]
	s_cbranch_execz .LBB20_67
; %bb.56:
	s_add_u32 s1, s16, s48
	s_addc_u32 s2, s17, 0
	s_add_u32 s4, s1, -1
	s_addc_u32 s5, s2, -1
	s_or_b64 s[2:3], s[4:5], s[16:17]
	s_mov_b32 s0, 0
	s_mov_b32 s1, s3
	s_cmp_lg_u64 s[0:1], 0
	s_mov_b64 s[20:21], -1
	s_cbranch_scc0 .LBB20_69
; %bb.57:
	s_ashr_i32 s0, s17, 31
	s_add_u32 s2, s16, s0
	s_mov_b32 s1, s0
	s_addc_u32 s3, s17, s0
	s_xor_b64 s[22:23], s[2:3], s[0:1]
	v_cvt_f32_u32_e32 v1, s22
	v_cvt_f32_u32_e32 v2, s23
	s_sub_u32 s0, 0, s22
	s_subb_u32 s1, 0, s23
	v_madmk_f32 v1, v2, 0x4f800000, v1
	v_rcp_f32_e32 v1, v1
	v_mul_f32_e32 v1, 0x5f7ffffc, v1
	v_mul_f32_e32 v2, 0x2f800000, v1
	v_trunc_f32_e32 v2, v2
	v_madmk_f32 v1, v2, 0xcf800000, v1
	v_cvt_u32_f32_e32 v2, v2
	v_cvt_u32_f32_e32 v1, v1
	v_readfirstlane_b32 s2, v2
	v_readfirstlane_b32 s3, v1
	s_mul_i32 s13, s0, s2
	s_mul_hi_u32 s24, s0, s3
	s_mul_i32 s17, s1, s3
	s_add_i32 s13, s24, s13
	s_add_i32 s13, s13, s17
	s_mul_i32 s25, s0, s3
	s_mul_hi_u32 s17, s3, s13
	s_mul_i32 s24, s3, s13
	s_mul_hi_u32 s3, s3, s25
	s_add_u32 s3, s3, s24
	s_addc_u32 s17, 0, s17
	s_mul_hi_u32 s26, s2, s25
	s_mul_i32 s25, s2, s25
	s_add_u32 s3, s3, s25
	s_mul_hi_u32 s24, s2, s13
	s_addc_u32 s3, s17, s26
	s_addc_u32 s17, s24, 0
	s_mul_i32 s13, s2, s13
	s_add_u32 s3, s3, s13
	s_addc_u32 s13, 0, s17
	v_add_co_u32_e32 v1, vcc, s3, v1
	s_cmp_lg_u64 vcc, 0
	s_addc_u32 s2, s2, s13
	v_readfirstlane_b32 s13, v1
	s_mul_i32 s3, s0, s2
	s_mul_hi_u32 s17, s0, s13
	s_add_i32 s3, s17, s3
	s_mul_i32 s1, s1, s13
	s_add_i32 s3, s3, s1
	s_mul_i32 s0, s0, s13
	s_mul_hi_u32 s17, s2, s0
	s_mul_i32 s24, s2, s0
	s_mul_i32 s26, s13, s3
	s_mul_hi_u32 s0, s13, s0
	s_mul_hi_u32 s25, s13, s3
	s_add_u32 s0, s0, s26
	s_addc_u32 s13, 0, s25
	s_add_u32 s0, s0, s24
	s_mul_hi_u32 s1, s2, s3
	s_addc_u32 s0, s13, s17
	s_addc_u32 s1, s1, 0
	s_mul_i32 s3, s2, s3
	s_add_u32 s0, s0, s3
	s_addc_u32 s1, 0, s1
	v_add_co_u32_e32 v1, vcc, s0, v1
	s_cmp_lg_u64 vcc, 0
	s_addc_u32 s2, s2, s1
	s_ashr_i32 s24, s5, 31
	s_add_u32 s0, s4, s24
	s_mov_b32 s25, s24
	s_addc_u32 s1, s5, s24
	s_xor_b64 s[26:27], s[0:1], s[24:25]
	v_readfirstlane_b32 s3, v1
	s_mul_i32 s1, s26, s2
	s_mul_hi_u32 s13, s26, s3
	s_mul_hi_u32 s0, s26, s2
	s_add_u32 s1, s13, s1
	s_addc_u32 s0, 0, s0
	s_mul_hi_u32 s17, s27, s3
	s_mul_i32 s3, s27, s3
	s_add_u32 s1, s1, s3
	s_mul_hi_u32 s13, s27, s2
	s_addc_u32 s0, s0, s17
	s_addc_u32 s1, s13, 0
	s_mul_i32 s2, s27, s2
	s_add_u32 s0, s0, s2
	s_addc_u32 s1, 0, s1
	s_mul_i32 s1, s22, s1
	s_mul_hi_u32 s2, s22, s0
	s_add_i32 s1, s2, s1
	s_mul_i32 s2, s23, s0
	s_mul_i32 s0, s22, s0
	s_add_i32 s13, s1, s2
	v_mov_b32_e32 v1, s0
	s_sub_i32 s1, s27, s13
	v_sub_co_u32_e32 v1, vcc, s26, v1
	s_cmp_lg_u64 vcc, 0
	s_subb_u32 s17, s1, s23
	v_subrev_co_u32_e64 v2, s[0:1], s22, v1
	s_cmp_lg_u64 s[0:1], 0
	s_subb_u32 s25, s17, 0
	s_cmp_ge_u32 s25, s23
	s_cselect_b32 s26, -1, 0
	v_cmp_le_u32_e64 s[2:3], s22, v2
	s_cmp_eq_u32 s25, s23
	v_cndmask_b32_e64 v3, 0, -1, s[2:3]
	v_mov_b32_e32 v4, s26
	s_cselect_b64 s[2:3], -1, 0
	s_cmp_lg_u64 s[0:1], 0
	v_cndmask_b32_e64 v3, v4, v3, s[2:3]
	s_subb_u32 s2, s17, s23
	v_subrev_co_u32_e64 v4, s[0:1], s22, v2
	s_cmp_lg_u64 s[0:1], 0
	s_subb_u32 s2, s2, 0
	v_cmp_ne_u32_e64 s[0:1], 0, v3
	v_cndmask_b32_e64 v2, v2, v4, s[0:1]
	v_mov_b32_e32 v3, s25
	v_mov_b32_e32 v4, s2
	s_cmp_lg_u64 vcc, 0
	v_cndmask_b32_e64 v3, v3, v4, s[0:1]
	s_subb_u32 s0, s27, s13
	s_cmp_ge_u32 s0, s23
	s_cselect_b32 s1, -1, 0
	v_cmp_le_u32_e32 vcc, s22, v1
	s_cmp_eq_u32 s0, s23
	v_cndmask_b32_e64 v4, 0, -1, vcc
	v_mov_b32_e32 v5, s1
	s_cselect_b64 vcc, -1, 0
	v_cndmask_b32_e32 v4, v5, v4, vcc
	v_cmp_ne_u32_e32 vcc, 0, v4
	v_mov_b32_e32 v5, s0
	v_cndmask_b32_e32 v1, v1, v2, vcc
	v_cndmask_b32_e32 v3, v5, v3, vcc
	v_xor_b32_e32 v1, s24, v1
	v_xor_b32_e32 v3, s24, v3
	v_mov_b32_e32 v4, s24
	v_subrev_co_u32_e32 v2, vcc, s24, v1
	v_subb_co_u32_e32 v3, vcc, v3, v4, vcc
	s_cbranch_execnz .LBB20_59
.LBB20_58:
	v_cvt_f32_u32_e32 v1, s16
	s_sub_i32 s0, 0, s16
	v_mov_b32_e32 v3, 0
	v_rcp_iflag_f32_e32 v1, v1
	v_mul_f32_e32 v1, 0x4f7ffffe, v1
	v_cvt_u32_f32_e32 v1, v1
	v_mul_lo_u32 v2, s0, v1
	v_mul_hi_u32 v2, v1, v2
	v_add_u32_e32 v1, v1, v2
	v_mul_hi_u32 v1, s4, v1
	v_mul_lo_u32 v1, v1, s16
	v_sub_u32_e32 v1, s4, v1
	v_subrev_u32_e32 v2, s16, v1
	v_cmp_le_u32_e32 vcc, s16, v1
	v_cndmask_b32_e32 v1, v1, v2, vcc
	v_subrev_u32_e32 v2, s16, v1
	v_cmp_le_u32_e32 vcc, s16, v1
	v_cndmask_b32_e32 v2, v1, v2, vcc
.LBB20_59:
	s_add_u32 s13, s8, s18
	s_addc_u32 s18, s9, s19
	s_lshl_b64 s[0:1], s[6:7], 2
	s_add_u32 s19, s10, s0
	s_addc_u32 s20, s11, s1
	v_mov_b32_e32 v1, s5
	v_sub_co_u32_e32 v6, vcc, s4, v2
	v_subb_co_u32_e32 v7, vcc, v1, v3, vcc
	s_mul_i32 s21, s47, 3
	s_lshl_b32 s22, s47, 1
	s_mov_b64 s[2:3], 0
	v_mov_b32_e32 v1, 0
	v_mov_b32_e32 v8, s44
	;; [unrolled: 1-line block ×5, first 2 shown]
	s_mov_b32 s23, 0x42fe0000
	v_mov_b32_e32 v12, 0x42fe0000
	s_mov_b32 s24, 0xc3000000
	v_mov_b32_e32 v13, 0xc3000000
	v_mov_b32_e32 v14, s18
	;; [unrolled: 1-line block ×3, first 2 shown]
                                        ; implicit-def: $sgpr4_sgpr5
	s_branch .LBB20_63
.LBB20_60:                              ;   in Loop: Header=BB20_63 Depth=1
	s_or_b64 exec, exec, s[10:11]
	s_orn2_b64 s[10:11], s[16:17], exec
.LBB20_61:                              ;   in Loop: Header=BB20_63 Depth=1
	s_or_b64 exec, exec, s[8:9]
	s_andn2_b64 s[0:1], s[4:5], exec
	s_and_b64 s[4:5], s[10:11], exec
	s_or_b64 s[4:5], s[0:1], s[4:5]
.LBB20_62:                              ;   in Loop: Header=BB20_63 Depth=1
	s_or_b64 exec, exec, s[6:7]
	s_and_b64 s[0:1], exec, s[4:5]
	s_or_b64 s[2:3], s[0:1], s[2:3]
	s_andn2_b64 exec, exec, s[2:3]
	s_cbranch_execz .LBB20_67
.LBB20_63:                              ; =>This Inner Loop Header: Depth=1
	v_lshlrev_b64 v[2:3], 4, v[0:1]
	v_add_co_u32_e32 v4, vcc, s33, v2
	v_addc_co_u32_e32 v5, vcc, v8, v3, vcc
	v_add_co_u32_e32 v16, vcc, s14, v2
	v_addc_co_u32_e32 v17, vcc, v9, v3, vcc
	v_add_co_u32_e32 v28, vcc, s45, v2
	global_load_dwordx4 v[16:19], v[16:17], off
	v_addc_co_u32_e32 v29, vcc, v10, v3, vcc
	global_load_dwordx4 v[20:23], v[4:5], off
	global_load_dwordx4 v[24:27], v[28:29], off
	v_bfe_u32 v5, v0, 5, 25
	v_mad_u64_u32 v[2:3], s[0:1], v6, v5, 0
	v_mov_b32_e32 v4, v3
	v_mad_u64_u32 v[4:5], s[0:1], v7, v5, v[4:5]
	v_mov_b32_e32 v3, v4
	v_lshlrev_b64 v[2:3], 2, v[2:3]
	v_add_co_u32_e32 v2, vcc, s19, v2
	v_addc_co_u32_e32 v3, vcc, v11, v3, vcc
	global_load_dword v3, v[2:3], off
	v_lshlrev_b64 v[4:5], 2, v[0:1]
	v_add_co_u32_e32 v4, vcc, s13, v4
	v_addc_co_u32_e32 v5, vcc, v14, v5, vcc
	v_add_u32_e32 v2, s47, v0
	v_cmp_gt_u32_e64 s[0:1], s12, v2
	s_or_b64 s[4:5], s[4:5], exec
	s_waitcnt vmcnt(1)
	v_pk_add_f32 v[20:21], v[20:21], v[24:25]
	v_pk_add_f32 v[22:23], v[22:23], v[26:27]
	global_store_dwordx4 v[28:29], v[20:23], off
	s_nop 0
	v_mul_f32_e32 v20, v36, v20
	v_mul_f32_e32 v21, v36, v21
	;; [unrolled: 1-line block ×8, first 2 shown]
	s_waitcnt vmcnt(1)
	v_div_scale_f32 v20, s[6:7], v3, v3, 1.0
	v_rcp_f32_e32 v21, v20
	v_div_scale_f32 v22, vcc, 1.0, v3, 1.0
	v_fma_f32 v23, -v20, v21, 1.0
	v_fmac_f32_e32 v21, v23, v21
	v_mul_f32_e32 v23, v22, v21
	v_fma_f32 v24, -v20, v23, v22
	v_fmac_f32_e32 v23, v24, v21
	v_fma_f32 v20, -v20, v23, v22
	v_div_fmas_f32 v20, v20, v21, v23
	v_div_fixup_f32 v3, v20, v3, 1.0
	v_mul_f32_e32 v16, v16, v3
	v_mul_f32_e32 v17, v17, v3
	v_rndne_f32_e32 v16, v16
	v_mul_f32_e32 v18, v18, v3
	v_rndne_f32_e32 v17, v17
	v_cmp_nlt_f32_e32 vcc, s23, v16
	v_mul_f32_e32 v3, v19, v3
	v_rndne_f32_e32 v18, v18
	v_cndmask_b32_e32 v19, v12, v16, vcc
	v_cmp_nlt_f32_e32 vcc, s23, v17
	v_rndne_f32_e32 v3, v3
	v_cndmask_b32_e32 v20, v12, v17, vcc
	v_cmp_nlt_f32_e32 vcc, s23, v18
	v_cndmask_b32_e32 v21, v12, v18, vcc
	v_cmp_nlt_f32_e32 vcc, s23, v3
	v_cndmask_b32_e32 v22, v12, v3, vcc
	v_cmp_ngt_f32_e32 vcc, s24, v16
	v_cndmask_b32_e32 v16, v13, v19, vcc
	v_cmp_ngt_f32_e32 vcc, s24, v17
	;; [unrolled: 2-line block ×4, first 2 shown]
	v_cvt_i32_f32_e32 v18, v18
	v_cndmask_b32_e32 v3, v13, v22, vcc
	v_cvt_i32_f32_e32 v17, v17
	v_cvt_i32_f32_e32 v16, v16
	;; [unrolled: 1-line block ×3, first 2 shown]
	v_and_b32_e32 v18, 0xff, v18
	v_lshlrev_b32_e32 v18, 16, v18
	v_lshlrev_b32_sdwa v17, v15, v17 dst_sel:DWORD dst_unused:UNUSED_PAD src0_sel:DWORD src1_sel:BYTE_0
	v_and_b32_e32 v16, 0xff, v16
	v_lshl_or_b32 v3, v3, 24, v18
	v_or3_b32 v3, v3, v17, v16
	global_store_dword v[4:5], v3, off
	s_and_saveexec_b64 s[6:7], s[0:1]
	s_cbranch_execz .LBB20_62
; %bb.64:                               ;   in Loop: Header=BB20_63 Depth=1
	v_mov_b32_e32 v3, v1
	v_lshlrev_b64 v[4:5], 4, v[2:3]
	v_mov_b32_e32 v16, s44
	v_add_co_u32_e32 v28, vcc, s33, v4
	v_addc_co_u32_e32 v29, vcc, v16, v5, vcc
	v_mov_b32_e32 v17, s15
	v_add_co_u32_e32 v16, vcc, s14, v4
	v_addc_co_u32_e32 v17, vcc, v17, v5, vcc
	v_mov_b32_e32 v20, s46
	v_add_co_u32_e32 v30, vcc, s45, v4
	global_load_dwordx4 v[16:19], v[16:17], off
	v_addc_co_u32_e32 v31, vcc, v20, v5, vcc
	global_load_dwordx4 v[20:23], v[28:29], off
	global_load_dwordx4 v[24:27], v[30:31], off
	v_bfe_u32 v29, v2, 5, 25
	v_mad_u64_u32 v[4:5], s[0:1], v6, v29, 0
	v_mov_b32_e32 v28, v5
	v_mad_u64_u32 v[28:29], s[0:1], v7, v29, v[28:29]
	v_mov_b32_e32 v5, v28
	v_lshlrev_b64 v[4:5], 2, v[4:5]
	v_mov_b32_e32 v28, s20
	v_add_co_u32_e32 v4, vcc, s19, v4
	v_addc_co_u32_e32 v5, vcc, v28, v5, vcc
	global_load_dword v5, v[4:5], off
	v_lshlrev_b64 v[28:29], 2, v[2:3]
	v_mov_b32_e32 v32, s18
	v_add_co_u32_e32 v28, vcc, s13, v28
	v_addc_co_u32_e32 v29, vcc, v32, v29, vcc
	v_add_u32_e32 v4, s22, v0
	v_cmp_gt_u32_e64 s[0:1], s12, v4
	s_mov_b64 s[10:11], -1
	s_waitcnt vmcnt(1)
	v_pk_add_f32 v[20:21], v[20:21], v[24:25]
	v_pk_add_f32 v[22:23], v[22:23], v[26:27]
	global_store_dwordx4 v[30:31], v[20:23], off
	v_mul_f32_e32 v3, v36, v20
	v_mul_f32_e32 v20, v36, v21
	;; [unrolled: 1-line block ×8, first 2 shown]
	s_waitcnt vmcnt(1)
	v_div_scale_f32 v18, s[8:9], v5, v5, 1.0
	v_rcp_f32_e32 v20, v18
	v_div_scale_f32 v21, vcc, 1.0, v5, 1.0
	v_fma_f32 v22, -v18, v20, 1.0
	v_fmac_f32_e32 v20, v22, v20
	v_mul_f32_e32 v22, v21, v20
	v_fma_f32 v23, -v18, v22, v21
	v_fmac_f32_e32 v22, v23, v20
	v_fma_f32 v18, -v18, v22, v21
	v_div_fmas_f32 v18, v18, v20, v22
	v_div_fixup_f32 v5, v18, v5, 1.0
	v_mul_f32_e32 v3, v3, v5
	v_mul_f32_e32 v16, v16, v5
	v_rndne_f32_e32 v3, v3
	v_mul_f32_e32 v17, v17, v5
	v_rndne_f32_e32 v16, v16
	v_cmp_nlt_f32_e32 vcc, s23, v3
	v_mul_f32_e32 v5, v19, v5
	v_rndne_f32_e32 v17, v17
	v_cndmask_b32_e32 v18, v12, v3, vcc
	v_cmp_nlt_f32_e32 vcc, s23, v16
	v_rndne_f32_e32 v5, v5
	v_cndmask_b32_e32 v19, v12, v16, vcc
	v_cmp_nlt_f32_e32 vcc, s23, v17
	v_cndmask_b32_e32 v20, v12, v17, vcc
	v_cmp_nlt_f32_e32 vcc, s23, v5
	v_cndmask_b32_e32 v21, v12, v5, vcc
	v_cmp_ngt_f32_e32 vcc, s24, v3
	v_cndmask_b32_e32 v3, v13, v18, vcc
	v_cmp_ngt_f32_e32 vcc, s24, v16
	;; [unrolled: 2-line block ×4, first 2 shown]
	v_cvt_i32_f32_e32 v17, v17
	v_cndmask_b32_e32 v5, v13, v21, vcc
	v_cvt_i32_f32_e32 v16, v16
	v_cvt_i32_f32_e32 v3, v3
	;; [unrolled: 1-line block ×3, first 2 shown]
	v_and_b32_e32 v17, 0xff, v17
	v_lshlrev_b32_e32 v17, 16, v17
	v_lshlrev_b32_sdwa v16, v15, v16 dst_sel:DWORD dst_unused:UNUSED_PAD src0_sel:DWORD src1_sel:BYTE_0
	v_and_b32_e32 v3, 0xff, v3
	v_lshl_or_b32 v5, v5, 24, v17
	v_or3_b32 v3, v5, v16, v3
	global_store_dword v[28:29], v3, off
	s_and_saveexec_b64 s[8:9], s[0:1]
	s_cbranch_execz .LBB20_61
; %bb.65:                               ;   in Loop: Header=BB20_63 Depth=1
	v_mov_b32_e32 v5, v1
	v_lshlrev_b64 v[20:21], 4, v[4:5]
	v_mov_b32_e32 v3, s44
	v_add_co_u32_e32 v28, vcc, s33, v20
	v_addc_co_u32_e32 v29, vcc, v3, v21, vcc
	v_mov_b32_e32 v3, s15
	v_add_co_u32_e32 v16, vcc, s14, v20
	v_addc_co_u32_e32 v17, vcc, v3, v21, vcc
	;; [unrolled: 3-line block ×3, first 2 shown]
	v_bfe_u32 v3, v4, 5, 25
	global_load_dwordx4 v[16:19], v[16:17], off
	s_nop 0
	global_load_dwordx4 v[20:23], v[28:29], off
	global_load_dwordx4 v[24:27], v[30:31], off
	v_mad_u64_u32 v[28:29], s[0:1], v6, v3, 0
	v_mov_b32_e32 v32, v29
	v_mad_u64_u32 v[32:33], s[0:1], v7, v3, v[32:33]
	v_mov_b32_e32 v29, v32
	v_lshlrev_b64 v[28:29], 2, v[28:29]
	v_mov_b32_e32 v3, s20
	v_add_co_u32_e32 v28, vcc, s19, v28
	v_addc_co_u32_e32 v29, vcc, v3, v29, vcc
	global_load_dword v3, v[28:29], off
	v_lshlrev_b64 v[4:5], 2, v[4:5]
	v_mov_b32_e32 v28, s18
	v_add_co_u32_e32 v4, vcc, s13, v4
	v_addc_co_u32_e32 v5, vcc, v28, v5, vcc
	v_add_u32_e32 v0, s21, v0
	v_cmp_gt_u32_e64 s[0:1], s12, v0
	s_mov_b64 s[16:17], -1
	s_waitcnt vmcnt(1)
	v_pk_add_f32 v[20:21], v[20:21], v[24:25]
	v_pk_add_f32 v[22:23], v[22:23], v[26:27]
	global_store_dwordx4 v[30:31], v[20:23], off
	s_nop 0
	v_mul_f32_e32 v20, v36, v20
	v_mul_f32_e32 v21, v36, v21
	;; [unrolled: 1-line block ×8, first 2 shown]
	s_waitcnt vmcnt(1)
	v_div_scale_f32 v20, s[10:11], v3, v3, 1.0
	v_rcp_f32_e32 v21, v20
	v_div_scale_f32 v22, vcc, 1.0, v3, 1.0
	v_fma_f32 v23, -v20, v21, 1.0
	v_fmac_f32_e32 v21, v23, v21
	v_mul_f32_e32 v23, v22, v21
	v_fma_f32 v24, -v20, v23, v22
	v_fmac_f32_e32 v23, v24, v21
	v_fma_f32 v20, -v20, v23, v22
	v_div_fmas_f32 v20, v20, v21, v23
	v_div_fixup_f32 v3, v20, v3, 1.0
	v_mul_f32_e32 v16, v16, v3
	v_mul_f32_e32 v17, v17, v3
	v_rndne_f32_e32 v16, v16
	v_mul_f32_e32 v18, v18, v3
	v_rndne_f32_e32 v17, v17
	v_cmp_nlt_f32_e32 vcc, s23, v16
	v_mul_f32_e32 v3, v19, v3
	v_rndne_f32_e32 v18, v18
	v_cndmask_b32_e32 v19, v12, v16, vcc
	v_cmp_nlt_f32_e32 vcc, s23, v17
	v_rndne_f32_e32 v3, v3
	v_cndmask_b32_e32 v20, v12, v17, vcc
	v_cmp_nlt_f32_e32 vcc, s23, v18
	v_cndmask_b32_e32 v21, v12, v18, vcc
	v_cmp_nlt_f32_e32 vcc, s23, v3
	v_cndmask_b32_e32 v22, v12, v3, vcc
	v_cmp_ngt_f32_e32 vcc, s24, v16
	v_cndmask_b32_e32 v16, v13, v19, vcc
	v_cmp_ngt_f32_e32 vcc, s24, v17
	v_cndmask_b32_e32 v17, v13, v20, vcc
	v_cmp_ngt_f32_e32 vcc, s24, v18
	v_cndmask_b32_e32 v18, v13, v21, vcc
	v_cmp_ngt_f32_e32 vcc, s24, v3
	v_cvt_i32_f32_e32 v18, v18
	v_cndmask_b32_e32 v3, v13, v22, vcc
	v_cvt_i32_f32_e32 v17, v17
	v_cvt_i32_f32_e32 v16, v16
	;; [unrolled: 1-line block ×3, first 2 shown]
	v_and_b32_e32 v18, 0xff, v18
	v_lshlrev_b32_e32 v18, 16, v18
	v_lshlrev_b32_sdwa v17, v15, v17 dst_sel:DWORD dst_unused:UNUSED_PAD src0_sel:DWORD src1_sel:BYTE_0
	v_and_b32_e32 v16, 0xff, v16
	v_lshl_or_b32 v3, v3, 24, v18
	v_or3_b32 v3, v3, v17, v16
	global_store_dword v[4:5], v3, off
	s_and_saveexec_b64 s[10:11], s[0:1]
	s_cbranch_execz .LBB20_60
; %bb.66:                               ;   in Loop: Header=BB20_63 Depth=1
	v_lshlrev_b64 v[4:5], 4, v[0:1]
	v_mov_b32_e32 v3, s44
	v_add_co_u32_e32 v28, vcc, s33, v4
	v_addc_co_u32_e32 v29, vcc, v3, v5, vcc
	v_mov_b32_e32 v3, s15
	v_add_co_u32_e32 v16, vcc, s14, v4
	v_addc_co_u32_e32 v17, vcc, v3, v5, vcc
	;; [unrolled: 3-line block ×3, first 2 shown]
	v_bfe_u32 v3, v0, 5, 25
	v_mad_u64_u32 v[4:5], s[0:1], v6, v3, 0
	global_load_dwordx4 v[16:19], v[16:17], off
	s_nop 0
	global_load_dwordx4 v[20:23], v[28:29], off
	global_load_dwordx4 v[24:27], v[30:31], off
	v_mov_b32_e32 v28, v5
	v_mad_u64_u32 v[28:29], s[0:1], v7, v3, v[28:29]
	v_mov_b32_e32 v5, v28
	v_lshlrev_b64 v[4:5], 2, v[4:5]
	v_mov_b32_e32 v3, s20
	v_add_co_u32_e32 v4, vcc, s19, v4
	v_addc_co_u32_e32 v5, vcc, v3, v5, vcc
	global_load_dword v32, v[4:5], off
	v_lshlrev_b64 v[4:5], 2, v[0:1]
	s_add_i32 s0, s47, s47
	v_mov_b32_e32 v0, s18
	v_add_co_u32_e32 v28, vcc, s13, v4
	s_add_i32 s0, s0, s47
	v_addc_co_u32_e32 v29, vcc, v0, v5, vcc
	v_add_u32_e32 v0, s0, v2
	v_cmp_le_u32_e64 s[0:1], s12, v0
	s_waitcnt vmcnt(1)
	v_pk_add_f32 v[2:3], v[20:21], v[24:25]
	v_pk_add_f32 v[4:5], v[22:23], v[26:27]
	global_store_dwordx4 v[30:31], v[2:5], off
	s_nop 0
	v_mul_f32_e32 v2, v36, v2
	v_mul_f32_e32 v3, v36, v3
	;; [unrolled: 1-line block ×7, first 2 shown]
	s_waitcnt vmcnt(1)
	v_div_scale_f32 v16, s[16:17], v32, v32, 1.0
	v_rcp_f32_e32 v17, v16
	v_mul_f32_e32 v4, v18, v4
	v_div_scale_f32 v18, vcc, 1.0, v32, 1.0
	v_fma_f32 v19, -v16, v17, 1.0
	v_fmac_f32_e32 v17, v19, v17
	v_mul_f32_e32 v19, v18, v17
	v_fma_f32 v20, -v16, v19, v18
	v_fmac_f32_e32 v19, v20, v17
	v_fma_f32 v16, -v16, v19, v18
	v_div_fmas_f32 v16, v16, v17, v19
	v_div_fixup_f32 v16, v16, v32, 1.0
	v_mul_f32_e32 v2, v2, v16
	v_mul_f32_e32 v3, v3, v16
	v_rndne_f32_e32 v2, v2
	v_mul_f32_e32 v4, v4, v16
	v_rndne_f32_e32 v3, v3
	v_cmp_nlt_f32_e32 vcc, s23, v2
	v_mul_f32_e32 v5, v5, v16
	v_rndne_f32_e32 v4, v4
	v_cndmask_b32_e32 v16, v12, v2, vcc
	v_cmp_nlt_f32_e32 vcc, s23, v3
	v_rndne_f32_e32 v5, v5
	v_cndmask_b32_e32 v17, v12, v3, vcc
	v_cmp_nlt_f32_e32 vcc, s23, v4
	v_cndmask_b32_e32 v18, v12, v4, vcc
	v_cmp_nlt_f32_e32 vcc, s23, v5
	v_cndmask_b32_e32 v19, v12, v5, vcc
	v_cmp_ngt_f32_e32 vcc, s24, v2
	v_cndmask_b32_e32 v2, v13, v16, vcc
	v_cmp_ngt_f32_e32 vcc, s24, v3
	;; [unrolled: 2-line block ×4, first 2 shown]
	v_cvt_i32_f32_e32 v4, v4
	v_cndmask_b32_e32 v5, v13, v19, vcc
	v_cvt_i32_f32_e32 v3, v3
	v_cvt_i32_f32_e32 v2, v2
	;; [unrolled: 1-line block ×3, first 2 shown]
	v_and_b32_e32 v4, 0xff, v4
	v_lshlrev_b32_e32 v4, 16, v4
	v_lshlrev_b32_sdwa v3, v15, v3 dst_sel:DWORD dst_unused:UNUSED_PAD src0_sel:DWORD src1_sel:BYTE_0
	v_and_b32_e32 v2, 0xff, v2
	v_lshl_or_b32 v4, v5, 24, v4
	v_or3_b32 v2, v4, v3, v2
	s_orn2_b64 s[16:17], s[0:1], exec
	global_store_dword v[28:29], v2, off
	s_branch .LBB20_60
.LBB20_67:
	s_endpgm
.LBB20_68:
                                        ; implicit-def: $vgpr4_vgpr5
	s_andn2_b64 vcc, exec, s[24:25]
	s_cbranch_vccz .LBB20_53
	s_branch .LBB20_54
.LBB20_69:
                                        ; implicit-def: $vgpr2_vgpr3
	s_andn2_b64 vcc, exec, s[20:21]
	s_cbranch_vccz .LBB20_58
	s_branch .LBB20_59
	.section	.rodata,"a",@progbits
	.p2align	6, 0x0
	.amdhsa_kernel _ZN4vllm31rms_norm_per_block_quant_kernelIfaLb1ELb1ELi128EEEvPT0_PfPKT_S6_PKffiiPS4_l
		.amdhsa_group_segment_fixed_size 4164
		.amdhsa_private_segment_fixed_size 0
		.amdhsa_kernarg_size 328
		.amdhsa_user_sgpr_count 6
		.amdhsa_user_sgpr_private_segment_buffer 1
		.amdhsa_user_sgpr_dispatch_ptr 0
		.amdhsa_user_sgpr_queue_ptr 0
		.amdhsa_user_sgpr_kernarg_segment_ptr 1
		.amdhsa_user_sgpr_dispatch_id 0
		.amdhsa_user_sgpr_flat_scratch_init 0
		.amdhsa_user_sgpr_kernarg_preload_length 0
		.amdhsa_user_sgpr_kernarg_preload_offset 0
		.amdhsa_user_sgpr_private_segment_size 0
		.amdhsa_uses_dynamic_stack 0
		.amdhsa_system_sgpr_private_segment_wavefront_offset 0
		.amdhsa_system_sgpr_workgroup_id_x 1
		.amdhsa_system_sgpr_workgroup_id_y 0
		.amdhsa_system_sgpr_workgroup_id_z 0
		.amdhsa_system_sgpr_workgroup_info 0
		.amdhsa_system_vgpr_workitem_id 0
		.amdhsa_next_free_vgpr 44
		.amdhsa_next_free_sgpr 49
		.amdhsa_accum_offset 44
		.amdhsa_reserve_vcc 1
		.amdhsa_reserve_flat_scratch 0
		.amdhsa_float_round_mode_32 0
		.amdhsa_float_round_mode_16_64 0
		.amdhsa_float_denorm_mode_32 3
		.amdhsa_float_denorm_mode_16_64 3
		.amdhsa_dx10_clamp 1
		.amdhsa_ieee_mode 1
		.amdhsa_fp16_overflow 0
		.amdhsa_tg_split 0
		.amdhsa_exception_fp_ieee_invalid_op 0
		.amdhsa_exception_fp_denorm_src 0
		.amdhsa_exception_fp_ieee_div_zero 0
		.amdhsa_exception_fp_ieee_overflow 0
		.amdhsa_exception_fp_ieee_underflow 0
		.amdhsa_exception_fp_ieee_inexact 0
		.amdhsa_exception_int_div_zero 0
	.end_amdhsa_kernel
	.section	.text._ZN4vllm31rms_norm_per_block_quant_kernelIfaLb1ELb1ELi128EEEvPT0_PfPKT_S6_PKffiiPS4_l,"axG",@progbits,_ZN4vllm31rms_norm_per_block_quant_kernelIfaLb1ELb1ELi128EEEvPT0_PfPKT_S6_PKffiiPS4_l,comdat
.Lfunc_end20:
	.size	_ZN4vllm31rms_norm_per_block_quant_kernelIfaLb1ELb1ELi128EEEvPT0_PfPKT_S6_PKffiiPS4_l, .Lfunc_end20-_ZN4vllm31rms_norm_per_block_quant_kernelIfaLb1ELb1ELi128EEEvPT0_PfPKT_S6_PKffiiPS4_l
                                        ; -- End function
	.section	.AMDGPU.csdata,"",@progbits
; Kernel info:
; codeLenInByte = 7640
; NumSgprs: 53
; NumVgprs: 44
; NumAgprs: 0
; TotalNumVgprs: 44
; ScratchSize: 0
; MemoryBound: 0
; FloatMode: 240
; IeeeMode: 1
; LDSByteSize: 4164 bytes/workgroup (compile time only)
; SGPRBlocks: 6
; VGPRBlocks: 5
; NumSGPRsForWavesPerEU: 53
; NumVGPRsForWavesPerEU: 44
; AccumOffset: 44
; Occupancy: 8
; WaveLimiterHint : 0
; COMPUTE_PGM_RSRC2:SCRATCH_EN: 0
; COMPUTE_PGM_RSRC2:USER_SGPR: 6
; COMPUTE_PGM_RSRC2:TRAP_HANDLER: 0
; COMPUTE_PGM_RSRC2:TGID_X_EN: 1
; COMPUTE_PGM_RSRC2:TGID_Y_EN: 0
; COMPUTE_PGM_RSRC2:TGID_Z_EN: 0
; COMPUTE_PGM_RSRC2:TIDIG_COMP_CNT: 0
; COMPUTE_PGM_RSRC3_GFX90A:ACCUM_OFFSET: 10
; COMPUTE_PGM_RSRC3_GFX90A:TG_SPLIT: 0
	.section	.text._ZN4vllm31rms_norm_per_block_quant_kernelIfN3c1013Float8_e4m3fnELb1ELb0ELi128EEEvPT0_PfPKT_S8_PKffiiPS6_l,"axG",@progbits,_ZN4vllm31rms_norm_per_block_quant_kernelIfN3c1013Float8_e4m3fnELb1ELb0ELi128EEEvPT0_PfPKT_S8_PKffiiPS6_l,comdat
	.protected	_ZN4vllm31rms_norm_per_block_quant_kernelIfN3c1013Float8_e4m3fnELb1ELb0ELi128EEEvPT0_PfPKT_S8_PKffiiPS6_l ; -- Begin function _ZN4vllm31rms_norm_per_block_quant_kernelIfN3c1013Float8_e4m3fnELb1ELb0ELi128EEEvPT0_PfPKT_S8_PKffiiPS6_l
	.globl	_ZN4vllm31rms_norm_per_block_quant_kernelIfN3c1013Float8_e4m3fnELb1ELb0ELi128EEEvPT0_PfPKT_S8_PKffiiPS6_l
	.p2align	8
	.type	_ZN4vllm31rms_norm_per_block_quant_kernelIfN3c1013Float8_e4m3fnELb1ELb0ELi128EEEvPT0_PfPKT_S8_PKffiiPS6_l,@function
_ZN4vllm31rms_norm_per_block_quant_kernelIfN3c1013Float8_e4m3fnELb1ELb0ELi128EEEvPT0_PfPKT_S8_PKffiiPS6_l: ; @_ZN4vllm31rms_norm_per_block_quant_kernelIfN3c1013Float8_e4m3fnELb1ELb0ELi128EEEvPT0_PfPKT_S8_PKffiiPS6_l
; %bb.0:
	s_load_dwordx4 s[16:19], s[4:5], 0x28
	s_load_dwordx8 s[8:15], s[4:5], 0x0
	s_load_dwordx2 s[0:1], s[4:5], 0x38
	v_mov_b32_e32 v1, 0
	s_waitcnt lgkmcnt(0)
	s_ashr_i32 s2, s18, 31
	s_mul_hi_u32 s3, s18, s6
	s_mul_i32 s2, s2, s6
	s_ashr_i32 s21, s17, 31
	s_add_i32 s3, s3, s2
	s_mul_i32 s2, s18, s6
	s_mul_hi_u32 s7, s17, s6
	s_mul_i32 s18, s21, s6
	s_add_i32 s19, s7, s18
	s_lshl_b64 s[2:3], s[2:3], 2
	s_mul_i32 s18, s17, s6
	s_add_u32 s33, s12, s2
	s_addc_u32 s44, s13, s3
	s_lshl_b64 s[2:3], s[18:19], 2
	s_add_u32 s45, s0, s2
	s_addc_u32 s46, s1, s3
	s_ashr_i32 s12, s17, 2
	s_add_u32 s2, s4, 0x48
	s_mov_b32 s20, s17
	v_cmp_gt_u32_e64 s[0:1], s12, v0
	s_addc_u32 s3, s5, 0
	s_and_saveexec_b64 s[22:23], s[0:1]
	s_cbranch_execz .LBB21_10
; %bb.1:
	s_load_dword s7, s[2:3], 0x0
	v_mov_b32_e32 v3, 0
	v_mov_b32_e32 v9, s44
	;; [unrolled: 1-line block ×4, first 2 shown]
	s_waitcnt lgkmcnt(0)
	s_cmp_lt_u32 s6, s7
	s_cselect_b32 s7, 12, 18
	s_add_u32 s24, s2, s7
	s_addc_u32 s25, s3, 0
	global_load_ushort v8, v3, s[24:25]
	s_mov_b64 s[24:25], 0
	v_mov_b32_e32 v1, v3
                                        ; implicit-def: $sgpr26_sgpr27
	s_waitcnt vmcnt(0)
	v_mul_lo_u32 v11, v8, 3
	v_lshlrev_b32_e32 v12, 1, v8
	s_branch .LBB21_5
.LBB21_2:                               ;   in Loop: Header=BB21_5 Depth=1
	s_or_b64 exec, exec, s[34:35]
	s_orn2_b64 s[34:35], s[36:37], exec
.LBB21_3:                               ;   in Loop: Header=BB21_5 Depth=1
	s_or_b64 exec, exec, s[30:31]
	s_andn2_b64 s[26:27], s[26:27], exec
	s_and_b64 s[30:31], s[34:35], exec
	s_or_b64 s[26:27], s[26:27], s[30:31]
.LBB21_4:                               ;   in Loop: Header=BB21_5 Depth=1
	s_or_b64 exec, exec, s[28:29]
	s_and_b64 s[28:29], exec, s[26:27]
	s_or_b64 s[24:25], s[28:29], s[24:25]
	s_andn2_b64 exec, exec, s[24:25]
	s_cbranch_execz .LBB21_9
.LBB21_5:                               ; =>This Inner Loop Header: Depth=1
	v_lshlrev_b64 v[4:5], 4, v[2:3]
	v_add_co_u32_e32 v6, vcc, s33, v4
	v_addc_co_u32_e32 v7, vcc, v9, v5, vcc
	v_add_co_u32_e32 v4, vcc, s45, v4
	v_addc_co_u32_e32 v5, vcc, v10, v5, vcc
	global_load_dwordx4 v[14:17], v[6:7], off
	global_load_dwordx4 v[18:21], v[4:5], off
	v_add_u32_e32 v4, v2, v8
	v_cmp_gt_u32_e32 vcc, s12, v4
	s_or_b64 s[26:27], s[26:27], exec
	s_waitcnt vmcnt(0)
	v_pk_add_f32 v[6:7], v[14:15], v[18:19]
	v_pk_mul_f32 v[6:7], v[6:7], v[6:7]
	v_pk_add_f32 v[14:15], v[16:17], v[20:21]
	v_add_f32_e32 v1, v1, v6
	v_pk_mul_f32 v[14:15], v[14:15], v[14:15]
	v_add_f32_e32 v1, v1, v7
	v_add_f32_e32 v1, v1, v14
	v_add_f32_e32 v1, v1, v15
	s_and_saveexec_b64 s[28:29], vcc
	s_cbranch_execz .LBB21_4
; %bb.6:                                ;   in Loop: Header=BB21_5 Depth=1
	v_mov_b32_e32 v5, v3
	v_lshlrev_b64 v[6:7], 4, v[4:5]
	v_add_co_u32_e32 v22, vcc, s33, v6
	v_addc_co_u32_e32 v23, vcc, v9, v7, vcc
	v_add_co_u32_e32 v6, vcc, s45, v6
	v_addc_co_u32_e32 v7, vcc, v10, v7, vcc
	global_load_dwordx4 v[14:17], v[22:23], off
	global_load_dwordx4 v[18:21], v[6:7], off
	v_add_u32_e32 v6, v12, v2
	v_cmp_gt_u32_e32 vcc, s12, v6
	s_mov_b64 s[34:35], -1
	s_waitcnt vmcnt(0)
	v_pk_add_f32 v[14:15], v[14:15], v[18:19]
	v_pk_mul_f32 v[14:15], v[14:15], v[14:15]
	v_pk_add_f32 v[16:17], v[16:17], v[20:21]
	v_add_f32_e32 v1, v1, v14
	v_pk_mul_f32 v[16:17], v[16:17], v[16:17]
	v_add_f32_e32 v1, v1, v15
	v_add_f32_e32 v1, v1, v16
	;; [unrolled: 1-line block ×3, first 2 shown]
	s_and_saveexec_b64 s[30:31], vcc
	s_cbranch_execz .LBB21_3
; %bb.7:                                ;   in Loop: Header=BB21_5 Depth=1
	v_mov_b32_e32 v7, v3
	v_lshlrev_b64 v[6:7], 4, v[6:7]
	v_add_co_u32_e32 v22, vcc, s33, v6
	v_addc_co_u32_e32 v23, vcc, v9, v7, vcc
	v_add_co_u32_e32 v6, vcc, s45, v6
	v_addc_co_u32_e32 v7, vcc, v10, v7, vcc
	global_load_dwordx4 v[14:17], v[22:23], off
	global_load_dwordx4 v[18:21], v[6:7], off
	v_add_u32_e32 v2, v11, v2
	v_cmp_gt_u32_e32 vcc, s12, v2
	s_mov_b64 s[36:37], -1
	s_waitcnt vmcnt(0)
	v_pk_add_f32 v[6:7], v[14:15], v[18:19]
	v_pk_mul_f32 v[6:7], v[6:7], v[6:7]
	v_pk_add_f32 v[14:15], v[16:17], v[20:21]
	v_add_f32_e32 v1, v1, v6
	v_pk_mul_f32 v[14:15], v[14:15], v[14:15]
	v_add_f32_e32 v1, v1, v7
	v_add_f32_e32 v1, v1, v14
	;; [unrolled: 1-line block ×3, first 2 shown]
	s_and_saveexec_b64 s[34:35], vcc
	s_xor_b64 s[34:35], exec, s[34:35]
	s_cbranch_execz .LBB21_2
; %bb.8:                                ;   in Loop: Header=BB21_5 Depth=1
	v_lshlrev_b64 v[6:7], 4, v[2:3]
	v_mov_b32_e32 v2, s44
	v_add_co_u32_e32 v22, vcc, s33, v6
	v_addc_co_u32_e32 v23, vcc, v2, v7, vcc
	v_mov_b32_e32 v2, s46
	v_add_co_u32_e32 v6, vcc, s45, v6
	v_addc_co_u32_e32 v7, vcc, v2, v7, vcc
	global_load_dwordx4 v[14:17], v[22:23], off
	global_load_dwordx4 v[18:21], v[6:7], off
	v_add_u32_e32 v2, v8, v8
	v_add_u32_e32 v2, v2, v8
	;; [unrolled: 1-line block ×3, first 2 shown]
	v_cmp_le_u32_e32 vcc, s12, v2
	s_orn2_b64 s[36:37], vcc, exec
	s_waitcnt vmcnt(0)
	v_pk_add_f32 v[4:5], v[14:15], v[18:19]
	v_pk_mul_f32 v[4:5], v[4:5], v[4:5]
	v_pk_add_f32 v[6:7], v[16:17], v[20:21]
	v_add_f32_e32 v1, v1, v4
	v_pk_mul_f32 v[6:7], v[6:7], v[6:7]
	v_add_f32_e32 v1, v1, v5
	v_add_f32_e32 v1, v1, v6
	;; [unrolled: 1-line block ×3, first 2 shown]
	s_branch .LBB21_2
.LBB21_9:
	s_or_b64 exec, exec, s[24:25]
.LBB21_10:
	s_or_b64 exec, exec, s[22:23]
	v_mbcnt_lo_u32_b32 v2, -1, 0
	v_mbcnt_hi_u32_b32 v2, -1, v2
	v_and_b32_e32 v3, 63, v2
	v_cmp_ne_u32_e32 vcc, 63, v3
	s_load_dword s2, s[2:3], 0xc
	v_addc_co_u32_e32 v4, vcc, 0, v2, vcc
	v_lshlrev_b32_e32 v4, 2, v4
	ds_bpermute_b32 v4, v4, v1
	s_waitcnt lgkmcnt(0)
	s_and_b32 s47, s2, 0xffff
	v_and_b32_e32 v5, 0x3c0, v0
	v_sub_u32_e64 v5, s47, v5 clamp
	v_add_u32_e32 v6, 1, v2
	v_add_f32_e32 v4, v1, v4
	v_cmp_lt_u32_e32 vcc, v6, v5
	v_cndmask_b32_e32 v1, v1, v4, vcc
	v_cmp_gt_u32_e32 vcc, 62, v3
	v_cndmask_b32_e64 v4, 0, 1, vcc
	v_lshlrev_b32_e32 v4, 1, v4
	v_add_lshl_u32 v4, v4, v2, 2
	ds_bpermute_b32 v4, v4, v1
	v_add_u32_e32 v6, 2, v2
	v_cmp_lt_u32_e32 vcc, v6, v5
	v_add_u32_e32 v6, 4, v2
	s_waitcnt lgkmcnt(0)
	v_add_f32_e32 v4, v1, v4
	v_cndmask_b32_e32 v1, v1, v4, vcc
	v_cmp_gt_u32_e32 vcc, 60, v3
	v_cndmask_b32_e64 v4, 0, 1, vcc
	v_lshlrev_b32_e32 v4, 2, v4
	v_add_lshl_u32 v4, v4, v2, 2
	ds_bpermute_b32 v4, v4, v1
	v_cmp_lt_u32_e32 vcc, v6, v5
	v_add_u32_e32 v6, 8, v2
	s_waitcnt lgkmcnt(0)
	v_add_f32_e32 v4, v1, v4
	v_cndmask_b32_e32 v1, v1, v4, vcc
	v_cmp_gt_u32_e32 vcc, 56, v3
	v_cndmask_b32_e64 v4, 0, 1, vcc
	v_lshlrev_b32_e32 v4, 3, v4
	v_add_lshl_u32 v4, v4, v2, 2
	ds_bpermute_b32 v4, v4, v1
	;; [unrolled: 10-line block ×3, first 2 shown]
	v_cmp_lt_u32_e32 vcc, v6, v5
	s_waitcnt lgkmcnt(0)
	v_add_f32_e32 v4, v1, v4
	v_cndmask_b32_e32 v1, v1, v4, vcc
	v_cmp_gt_u32_e32 vcc, 32, v3
	v_cndmask_b32_e64 v3, 0, 1, vcc
	v_lshlrev_b32_e32 v3, 5, v3
	v_add_lshl_u32 v3, v3, v2, 2
	ds_bpermute_b32 v3, v3, v1
	v_add_u32_e32 v4, 32, v2
	v_cmp_lt_u32_e32 vcc, v4, v5
	s_waitcnt lgkmcnt(0)
	v_add_f32_e32 v3, v1, v3
	v_cndmask_b32_e32 v1, v1, v3, vcc
	v_cmp_eq_u32_e32 vcc, 0, v2
	s_and_saveexec_b64 s[2:3], vcc
	s_cbranch_execz .LBB21_12
; %bb.11:
	v_lshrrev_b32_e32 v3, 4, v0
	v_and_b32_e32 v3, 60, v3
	ds_write_b32 v3, v1 offset:4096
.LBB21_12:
	s_or_b64 exec, exec, s[2:3]
	v_cmp_gt_u32_e32 vcc, 16, v0
	s_waitcnt lgkmcnt(0)
	s_barrier
	s_and_saveexec_b64 s[22:23], vcc
	s_cbranch_execz .LBB21_14
; %bb.13:
	v_lshlrev_b32_e32 v1, 2, v2
	ds_read_b32 v1, v1 offset:4096
	v_and_b32_e32 v3, 15, v2
	v_cmp_ne_u32_e32 vcc, 15, v3
	v_addc_co_u32_e32 v4, vcc, 0, v2, vcc
	v_lshlrev_b32_e32 v4, 2, v4
	s_waitcnt lgkmcnt(0)
	ds_bpermute_b32 v4, v4, v1
	s_add_i32 s2, s47, 63
	s_lshr_b32 s7, s2, 6
	v_add_u32_e32 v5, 1, v3
	v_cmp_gt_u32_e64 s[2:3], 14, v3
	v_cmp_gt_u32_e32 vcc, s7, v5
	v_cndmask_b32_e64 v5, 0, 1, s[2:3]
	s_waitcnt lgkmcnt(0)
	v_add_f32_e32 v4, v1, v4
	v_lshlrev_b32_e32 v5, 1, v5
	v_cndmask_b32_e32 v4, v1, v4, vcc
	v_add_lshl_u32 v5, v5, v2, 2
	ds_bpermute_b32 v5, v5, v4
	v_add_u32_e32 v6, 2, v3
	v_cmp_gt_u32_e64 s[2:3], s7, v6
	v_add_u32_e32 v6, 4, v3
	s_waitcnt lgkmcnt(0)
	v_add_f32_e32 v5, v4, v5
	v_cndmask_b32_e64 v4, v4, v5, s[2:3]
	v_cmp_gt_u32_e64 s[2:3], 12, v3
	v_cndmask_b32_e64 v5, 0, 1, s[2:3]
	v_lshlrev_b32_e32 v5, 2, v5
	v_add_lshl_u32 v5, v5, v2, 2
	ds_bpermute_b32 v5, v5, v4
	v_cmp_gt_u32_e64 s[2:3], s7, v6
	s_waitcnt lgkmcnt(0)
	v_add_f32_e32 v5, v4, v5
	v_cndmask_b32_e64 v4, v4, v5, s[2:3]
	v_cmp_gt_u32_e64 s[2:3], 8, v3
	v_cndmask_b32_e64 v5, 0, 1, s[2:3]
	v_lshlrev_b32_e32 v5, 3, v5
	v_add_lshl_u32 v2, v5, v2, 2
	ds_bpermute_b32 v2, v2, v4
	v_add_u32_e32 v3, 8, v3
	v_cmp_gt_u32_e64 s[2:3], s7, v3
	s_waitcnt lgkmcnt(0)
	v_add_f32_e32 v2, v4, v2
	v_cndmask_b32_e64 v2, v4, v2, s[2:3]
	v_cndmask_b32_e32 v1, v1, v2, vcc
.LBB21_14:
	s_or_b64 exec, exec, s[22:23]
	v_cmp_eq_u32_e32 vcc, 0, v0
	s_and_saveexec_b64 s[2:3], vcc
	s_cbranch_execz .LBB21_16
; %bb.15:
	v_cvt_f32_i32_e32 v2, s20
	s_mov_b32 s7, 0x800000
	v_div_scale_f32 v3, s[22:23], v2, v2, v1
	v_rcp_f32_e32 v4, v3
	v_div_scale_f32 v5, vcc, v1, v2, v1
	v_fma_f32 v6, -v3, v4, 1.0
	v_fmac_f32_e32 v4, v6, v4
	v_mul_f32_e32 v6, v5, v4
	v_fma_f32 v7, -v3, v6, v5
	v_fmac_f32_e32 v6, v7, v4
	v_fma_f32 v3, -v3, v6, v5
	v_div_fmas_f32 v3, v3, v4, v6
	v_div_fixup_f32 v1, v3, v2, v1
	v_add_f32_e32 v1, s16, v1
	v_mul_f32_e32 v2, 0x4b800000, v1
	v_cmp_gt_f32_e32 vcc, s7, v1
	v_cndmask_b32_e32 v1, v1, v2, vcc
	v_rsq_f32_e32 v1, v1
	v_mul_f32_e32 v2, 0x45800000, v1
	v_cndmask_b32_e32 v1, v1, v2, vcc
	v_mov_b32_e32 v2, 0
	ds_write_b32 v2, v1 offset:4160
.LBB21_16:
	s_or_b64 exec, exec, s[2:3]
	s_ashr_i32 s2, s20, 31
	s_lshr_b32 s2, s2, 25
	s_add_i32 s2, s20, s2
	s_ashr_i32 s16, s2, 7
	s_abs_i32 s3, s16
	v_cvt_f32_u32_e32 v1, s3
	s_sub_i32 s7, 0, s3
	s_ashr_i32 s2, s2, 31
	v_mov_b32_e32 v5, 0
	v_rcp_iflag_f32_e32 v1, v1
	s_waitcnt lgkmcnt(0)
	s_barrier
	v_mul_f32_e32 v1, 0x4f7ffffe, v1
	v_cvt_u32_f32_e32 v1, v1
	ds_read_b32 v36, v5 offset:4160
	v_readfirstlane_b32 s13, v1
	s_mul_i32 s7, s7, s13
	s_mul_hi_u32 s7, s13, s7
	s_add_i32 s13, s13, s7
	s_mul_hi_u32 s7, s47, s13
	s_mul_i32 s13, s7, s3
	s_sub_i32 s13, s47, s13
	s_add_i32 s17, s7, 1
	s_sub_i32 s22, s13, s3
	s_cmp_ge_u32 s13, s3
	s_cselect_b32 s7, s17, s7
	s_cselect_b32 s13, s22, s13
	s_add_i32 s17, s7, 1
	s_cmp_ge_u32 s13, s3
	s_cselect_b32 s3, s17, s7
	s_xor_b32 s3, s3, s2
	s_sub_i32 s2, s3, s2
	s_abs_i32 s7, s2
	v_cvt_f32_u32_e32 v1, s7
	s_sub_i32 s13, 0, s7
	s_ashr_i32 s3, s2, 31
	v_rcp_iflag_f32_e32 v1, v1
	v_mul_f32_e32 v1, 0x4f7ffffe, v1
	v_cvt_u32_f32_e32 v1, v1
	v_mul_lo_u32 v2, s13, v1
	v_mul_hi_u32 v2, v1, v2
	v_add_u32_e32 v1, v1, v2
	v_mul_hi_u32 v1, v0, v1
	v_mul_lo_u32 v2, v1, s7
	v_sub_u32_e32 v2, v0, v2
	v_add_u32_e32 v3, 1, v1
	v_cmp_le_u32_e32 vcc, s7, v2
	v_cndmask_b32_e32 v1, v1, v3, vcc
	v_subrev_u32_e32 v3, s7, v2
	v_cndmask_b32_e32 v2, v2, v3, vcc
	v_add_u32_e32 v3, 1, v1
	v_cmp_le_u32_e32 vcc, s7, v2
	v_cndmask_b32_e32 v1, v1, v3, vcc
	v_xor_b32_e32 v1, s3, v1
	v_subrev_u32_e32 v2, s3, v1
	v_mul_lo_u32 v1, v2, s2
	v_ashrrev_i32_e32 v3, 31, v2
	v_sub_u32_e32 v4, v0, v1
	v_lshlrev_b64 v[8:9], 5, v[2:3]
	v_add_co_u32_e32 v6, vcc, v8, v4
	v_addc_co_u32_e32 v7, vcc, 0, v9, vcc
	v_add_co_u32_e32 v8, vcc, 32, v8
	v_addc_co_u32_e32 v9, vcc, 0, v9, vcc
	s_ashr_i32 s13, s12, 31
	v_mov_b32_e32 v1, s13
	v_cmp_gt_i64_e32 vcc, s[12:13], v[8:9]
	v_cndmask_b32_e32 v9, v1, v9, vcc
	v_mov_b32_e32 v1, s12
	v_cndmask_b32_e32 v8, v1, v8, vcc
	v_ashrrev_i32_e32 v11, 31, v8
	v_mov_b32_e32 v10, v8
	v_cmp_lt_i64_e32 vcc, v[6:7], v[10:11]
	s_and_saveexec_b64 s[22:23], vcc
	s_cbranch_execz .LBB21_26
; %bb.17:
	v_lshlrev_b64 v[12:13], 9, v[2:3]
	v_lshlrev_b64 v[14:15], 4, v[4:5]
	v_add_co_u32_e32 v12, vcc, v12, v14
	v_addc_co_u32_e32 v1, vcc, v13, v15, vcc
	s_lshl_b64 s[24:25], s[2:3], 6
	s_mul_hi_i32 s7, s2, 3
	s_mul_i32 s13, s2, 3
	s_lshl_b64 s[26:27], s[2:3], 1
	s_lshl_b64 s[30:31], s[2:3], 4
	s_mov_b64 s[28:29], 0
	v_mov_b32_e32 v5, 0
	v_mov_b32_e32 v13, s44
	;; [unrolled: 1-line block ×5, first 2 shown]
	v_pk_mov_b32 v[14:15], v[6:7], v[6:7] op_sel:[0,1]
                                        ; implicit-def: $sgpr34_sgpr35
	s_branch .LBB21_21
.LBB21_18:                              ;   in Loop: Header=BB21_21 Depth=1
	s_or_b64 exec, exec, s[40:41]
	s_orn2_b64 s[40:41], s[42:43], exec
.LBB21_19:                              ;   in Loop: Header=BB21_21 Depth=1
	s_or_b64 exec, exec, s[38:39]
	s_andn2_b64 s[34:35], s[34:35], exec
	s_and_b64 s[38:39], s[40:41], exec
	s_or_b64 s[34:35], s[34:35], s[38:39]
.LBB21_20:                              ;   in Loop: Header=BB21_21 Depth=1
	s_or_b64 exec, exec, s[36:37]
	s_and_b64 s[36:37], exec, s[34:35]
	s_or_b64 s[28:29], s[36:37], s[28:29]
	s_andn2_b64 exec, exec, s[28:29]
	s_cbranch_execz .LBB21_25
.LBB21_21:                              ; =>This Inner Loop Header: Depth=1
	v_add_co_u32_e32 v18, vcc, s33, v12
	v_addc_co_u32_e32 v19, vcc, v13, v1, vcc
	v_add_co_u32_e32 v22, vcc, s45, v12
	v_addc_co_u32_e32 v23, vcc, v25, v1, vcc
	global_load_dwordx4 v[28:31], v[18:19], off
	global_load_dwordx4 v[32:35], v[22:23], off
	v_add_co_u32_e32 v20, vcc, s14, v12
	v_addc_co_u32_e32 v21, vcc, v24, v1, vcc
	global_load_dwordx4 v[38:41], v[20:21], off
	v_add_co_u32_e32 v16, vcc, s2, v14
	v_addc_co_u32_e32 v17, vcc, v15, v26, vcc
	v_cmp_lt_i64_e32 vcc, v[16:17], v[10:11]
	s_or_b64 s[34:35], s[34:35], exec
	s_waitcnt vmcnt(1)
	v_add_f32_e32 v27, v28, v32
	v_add_f32_e32 v28, v29, v33
	;; [unrolled: 1-line block ×4, first 2 shown]
	s_waitcnt lgkmcnt(0)
	v_mul_f32_e32 v27, v36, v27
	v_mul_f32_e32 v28, v36, v28
	;; [unrolled: 1-line block ×4, first 2 shown]
	s_waitcnt vmcnt(0)
	v_mul_f32_e32 v27, v38, v27
	v_mul_f32_e32 v28, v39, v28
	;; [unrolled: 1-line block ×4, first 2 shown]
	v_max3_f32 v5, v5, |v27|, |v28|
	v_max3_f32 v5, v5, |v29|, |v30|
	s_and_saveexec_b64 s[36:37], vcc
	s_cbranch_execz .LBB21_20
; %bb.22:                               ;   in Loop: Header=BB21_21 Depth=1
	v_mov_b32_e32 v27, s31
	v_add_co_u32_e32 v18, vcc, s30, v18
	v_addc_co_u32_e32 v19, vcc, v19, v27, vcc
	v_add_co_u32_e32 v22, vcc, s30, v22
	v_addc_co_u32_e32 v23, vcc, v23, v27, vcc
	global_load_dwordx4 v[28:31], v[18:19], off
	global_load_dwordx4 v[32:35], v[22:23], off
	v_add_co_u32_e32 v20, vcc, s30, v20
	v_addc_co_u32_e32 v21, vcc, v21, v27, vcc
	global_load_dwordx4 v[38:41], v[20:21], off
	v_mov_b32_e32 v27, s27
	v_add_co_u32_e32 v42, vcc, s26, v14
	v_addc_co_u32_e32 v43, vcc, v27, v15, vcc
	v_cmp_lt_i64_e32 vcc, v[42:43], v[10:11]
	s_mov_b64 s[40:41], -1
	s_waitcnt vmcnt(1)
	v_add_f32_e32 v27, v28, v32
	v_add_f32_e32 v28, v29, v33
	;; [unrolled: 1-line block ×4, first 2 shown]
	v_mul_f32_e32 v27, v36, v27
	v_mul_f32_e32 v28, v36, v28
	;; [unrolled: 1-line block ×4, first 2 shown]
	s_waitcnt vmcnt(0)
	v_mul_f32_e32 v27, v38, v27
	v_mul_f32_e32 v28, v39, v28
	;; [unrolled: 1-line block ×4, first 2 shown]
	v_max3_f32 v5, v5, |v27|, |v28|
	v_max3_f32 v5, v5, |v29|, |v30|
	s_and_saveexec_b64 s[38:39], vcc
	s_cbranch_execz .LBB21_19
; %bb.23:                               ;   in Loop: Header=BB21_21 Depth=1
	v_mov_b32_e32 v27, s31
	v_add_co_u32_e32 v18, vcc, s30, v18
	v_addc_co_u32_e32 v19, vcc, v19, v27, vcc
	v_add_co_u32_e32 v22, vcc, s30, v22
	v_addc_co_u32_e32 v23, vcc, v23, v27, vcc
	global_load_dwordx4 v[28:31], v[18:19], off
	global_load_dwordx4 v[32:35], v[22:23], off
	v_add_co_u32_e32 v20, vcc, s30, v20
	v_addc_co_u32_e32 v21, vcc, v21, v27, vcc
	global_load_dwordx4 v[38:41], v[20:21], off
	v_mov_b32_e32 v27, s7
	v_add_co_u32_e32 v14, vcc, s13, v14
	v_addc_co_u32_e32 v15, vcc, v27, v15, vcc
	v_cmp_lt_i64_e32 vcc, v[14:15], v[10:11]
	s_mov_b64 s[42:43], -1
	s_waitcnt vmcnt(1)
	v_add_f32_e32 v14, v28, v32
	v_add_f32_e32 v15, v29, v33
	;; [unrolled: 1-line block ×4, first 2 shown]
	v_mul_f32_e32 v14, v36, v14
	v_mul_f32_e32 v15, v36, v15
	;; [unrolled: 1-line block ×4, first 2 shown]
	s_waitcnt vmcnt(0)
	v_mul_f32_e32 v14, v38, v14
	v_mul_f32_e32 v15, v39, v15
	;; [unrolled: 1-line block ×4, first 2 shown]
	v_max3_f32 v5, v5, |v14|, |v15|
	v_max3_f32 v5, v5, |v27|, |v28|
                                        ; implicit-def: $vgpr14_vgpr15
	s_and_saveexec_b64 s[40:41], vcc
	s_xor_b64 s[40:41], exec, s[40:41]
	s_cbranch_execz .LBB21_18
; %bb.24:                               ;   in Loop: Header=BB21_21 Depth=1
	v_mov_b32_e32 v27, s31
	v_add_co_u32_e32 v14, vcc, s30, v18
	v_addc_co_u32_e32 v15, vcc, v19, v27, vcc
	global_load_dwordx4 v[28:31], v[14:15], off
	v_add_co_u32_e32 v14, vcc, s30, v22
	v_addc_co_u32_e32 v15, vcc, v23, v27, vcc
	global_load_dwordx4 v[32:35], v[14:15], off
	;; [unrolled: 3-line block ×3, first 2 shown]
	s_add_u32 s17, s2, s2
	s_addc_u32 s42, s3, s3
	v_mov_b32_e32 v14, s25
	v_add_co_u32_e32 v12, vcc, s24, v12
	s_add_u32 s17, s17, s2
	v_addc_co_u32_e32 v1, vcc, v1, v14, vcc
	s_addc_u32 s42, s42, s3
	v_mov_b32_e32 v15, s42
	v_add_co_u32_e32 v14, vcc, s17, v16
	v_addc_co_u32_e32 v15, vcc, v15, v17, vcc
	v_cmp_ge_i64_e32 vcc, v[14:15], v[10:11]
	s_orn2_b64 s[42:43], vcc, exec
	s_waitcnt vmcnt(1)
	v_add_f32_e32 v16, v28, v32
	v_add_f32_e32 v17, v29, v33
	;; [unrolled: 1-line block ×4, first 2 shown]
	v_mul_f32_e32 v16, v36, v16
	v_mul_f32_e32 v17, v36, v17
	;; [unrolled: 1-line block ×4, first 2 shown]
	s_waitcnt vmcnt(0)
	v_mul_f32_e32 v16, v18, v16
	v_mul_f32_e32 v17, v19, v17
	;; [unrolled: 1-line block ×4, first 2 shown]
	v_max3_f32 v5, v5, |v16|, |v17|
	v_max3_f32 v5, v5, |v18|, |v19|
	s_branch .LBB21_18
.LBB21_25:
	s_or_b64 exec, exec, s[28:29]
.LBB21_26:
	s_or_b64 exec, exec, s[22:23]
	s_lshr_b32 s7, s47, 6
	v_cvt_f32_u32_e32 v10, s7
	v_lshlrev_b32_e32 v1, 2, v0
	ds_write_b32 v1, v5
	s_sub_i32 s23, 0, s7
	v_rcp_iflag_f32_e32 v5, v10
	s_add_i32 s13, s16, s7
	s_add_i32 s13, s13, -1
	s_ashr_i32 s22, s13, 31
	v_mul_f32_e32 v5, 0x4f7ffffe, v5
	v_cvt_u32_f32_e32 v5, v5
	s_abs_i32 s13, s13
	s_ashr_i32 s17, s16, 31
	s_waitcnt lgkmcnt(0)
	v_readfirstlane_b32 s24, v5
	s_mul_i32 s23, s23, s24
	s_mul_hi_u32 s23, s24, s23
	s_add_i32 s24, s24, s23
	s_mul_hi_u32 s23, s13, s24
	s_mul_i32 s24, s23, s7
	s_sub_i32 s13, s13, s24
	s_add_i32 s24, s23, 1
	s_sub_i32 s25, s13, s7
	s_cmp_ge_u32 s13, s7
	s_cselect_b32 s23, s24, s23
	s_cselect_b32 s13, s25, s13
	s_add_i32 s24, s23, 1
	s_cmp_ge_u32 s13, s7
	s_cselect_b32 s13, s24, s23
	s_xor_b32 s13, s13, s22
	s_sub_i32 s22, s13, s22
	s_ashr_i32 s23, s22, 31
	v_cmp_lt_i64_e64 s[24:25], s[22:23], 1
	s_and_b64 vcc, exec, s[24:25]
	s_barrier
	s_cbranch_vccnz .LBB21_48
; %bb.27:
	v_and_b32_e32 v12, 63, v0
	v_add_co_u32_e32 v14, vcc, 32, v12
	v_addc_co_u32_e64 v15, s[24:25], 0, 0, vcc
	v_add_co_u32_e32 v16, vcc, 16, v12
	v_addc_co_u32_e64 v17, s[24:25], 0, 0, vcc
	v_add_co_u32_e32 v18, vcc, 8, v12
	v_lshrrev_b32_e32 v10, 6, v0
	v_addc_co_u32_e64 v19, s[24:25], 0, 0, vcc
	v_add_co_u32_e32 v20, vcc, 4, v12
	v_addc_co_u32_e64 v21, s[24:25], 0, 0, vcc
	v_add_co_u32_e32 v22, vcc, 2, v12
	v_mul_lo_u32 v5, s2, v10
	v_addc_co_u32_e64 v23, s[24:25], 0, 0, vcc
	v_add_co_u32_e32 v24, vcc, 1, v12
	v_lshlrev_b32_e32 v5, 2, v5
	v_lshlrev_b32_e32 v26, 2, v12
	s_movk_i32 s13, 0x100
	v_mov_b32_e32 v11, 0
	v_addc_co_u32_e64 v25, s[24:25], 0, 0, vcc
	v_add3_u32 v5, v5, v26, s13
	s_mul_i32 s13, s2, s7
	v_mov_b32_e32 v13, v11
	s_lshl_b32 s13, s13, 2
	s_mov_b64 s[24:25], 0
	v_mov_b32_e32 v37, s7
	s_mov_b64 s[26:27], src_shared_base
	s_branch .LBB21_30
.LBB21_28:                              ;   in Loop: Header=BB21_30 Depth=1
	s_or_b64 exec, exec, s[30:31]
	v_mov_b32_e32 v27, s27
	flat_load_dword v26, v[26:27] glc
	s_waitcnt vmcnt(0)
.LBB21_29:                              ;   in Loop: Header=BB21_30 Depth=1
	s_or_b64 exec, exec, s[28:29]
	s_add_u32 s24, s24, 1
	s_addc_u32 s25, s25, 0
	s_cmp_eq_u64 s[24:25], s[22:23]
	v_add_u32_e32 v5, s13, v5
	s_cbranch_scc1 .LBB21_48
.LBB21_30:                              ; =>This Loop Header: Depth=1
                                        ;     Child Loop BB21_33 Depth 2
	v_mad_u64_u32 v[30:31], s[28:29], s24, v37, v[10:11]
	s_mul_i32 s26, s25, s7
	v_add_u32_e32 v31, s26, v31
	v_cmp_gt_i64_e32 vcc, s[16:17], v[30:31]
	s_and_saveexec_b64 s[28:29], vcc
	s_cbranch_execz .LBB21_29
; %bb.31:                               ;   in Loop: Header=BB21_30 Depth=1
	v_pk_mov_b32 v[32:33], s[2:3], s[2:3] op_sel:[0,1]
	v_mul_lo_u32 v29, v31, s2
	v_mul_lo_u32 v38, v30, s3
	v_mad_u64_u32 v[32:33], s[30:31], v30, s2, v[32:33]
	v_add3_u32 v33, v29, v33, v38
	v_mov_b32_e32 v28, s21
	v_cmp_gt_i64_e32 vcc, s[20:21], v[32:33]
	s_waitcnt lgkmcnt(0)
	v_mad_u64_u32 v[26:27], s[30:31], v30, s2, v[12:13]
	v_cndmask_b32_e32 v33, v28, v33, vcc
	v_mov_b32_e32 v28, s20
	v_add3_u32 v27, v29, v27, v38
	v_cndmask_b32_e32 v32, v28, v32, vcc
	v_add_co_u32_e32 v34, vcc, 64, v26
	v_addc_co_u32_e32 v35, vcc, 0, v27, vcc
	v_cmp_lt_i64_e32 vcc, v[34:35], v[32:33]
	v_lshlrev_b32_e32 v28, 2, v26
	s_and_saveexec_b64 s[30:31], vcc
	s_cbranch_execz .LBB21_34
; %bb.32:                               ;   in Loop: Header=BB21_30 Depth=1
	ds_read_b32 v31, v28
	s_mov_b64 s[34:35], 0
	v_mov_b32_e32 v27, v5
.LBB21_33:                              ;   Parent Loop BB21_30 Depth=1
                                        ; =>  This Inner Loop Header: Depth=2
	ds_read_b32 v39, v27
	v_add_co_u32_e32 v34, vcc, 64, v34
	v_addc_co_u32_e32 v35, vcc, 0, v35, vcc
	s_waitcnt lgkmcnt(1)
	v_max_f32_e32 v31, v31, v31
	v_cmp_ge_i64_e32 vcc, v[34:35], v[32:33]
	s_waitcnt lgkmcnt(0)
	v_max_f32_e32 v39, v39, v39
	v_add_u32_e32 v27, 0x100, v27
	s_or_b64 s[34:35], vcc, s[34:35]
	v_max_f32_e32 v31, v31, v39
	ds_write_b32 v28, v31
	s_andn2_b64 exec, exec, s[34:35]
	s_cbranch_execnz .LBB21_33
.LBB21_34:                              ;   in Loop: Header=BB21_30 Depth=1
	s_or_b64 exec, exec, s[30:31]
	v_mad_u64_u32 v[30:31], s[30:31], v30, s2, 0
	v_add3_u32 v27, v31, v38, v29
	v_sub_co_u32_e32 v30, vcc, v32, v30
	v_subb_co_u32_e32 v31, vcc, v33, v27, vcc
	v_cmp_gt_i64_e32 vcc, 64, v[30:31]
	v_cndmask_b32_e32 v31, 0, v31, vcc
	v_cndmask_b32_e32 v30, 64, v30, vcc
	v_cmp_lt_i64_e32 vcc, v[14:15], v[30:31]
	s_and_saveexec_b64 s[30:31], vcc
	s_cbranch_execnz .LBB21_46
; %bb.35:                               ;   in Loop: Header=BB21_30 Depth=1
	s_or_b64 exec, exec, s[30:31]
	v_cmp_lt_i64_e32 vcc, v[16:17], v[30:31]
	s_and_saveexec_b64 s[30:31], vcc
	s_cbranch_execnz .LBB21_47
.LBB21_36:                              ;   in Loop: Header=BB21_30 Depth=1
	s_or_b64 exec, exec, s[30:31]
	v_cmp_lt_i64_e32 vcc, v[18:19], v[30:31]
	s_and_saveexec_b64 s[30:31], vcc
	s_cbranch_execz .LBB21_38
.LBB21_37:                              ;   in Loop: Header=BB21_30 Depth=1
	v_mov_b32_e32 v29, s27
	v_add_u32_e32 v32, 32, v28
	v_mov_b32_e32 v33, s27
	flat_load_dword v27, v[28:29] glc
	s_waitcnt vmcnt(0)
	flat_load_dword v34, v[32:33] glc
	s_waitcnt vmcnt(0) lgkmcnt(0)
	v_max_f32_e32 v27, v27, v27
	v_max_f32_e32 v32, v34, v34
	;; [unrolled: 1-line block ×3, first 2 shown]
	flat_store_dword v[28:29], v27
	s_waitcnt vmcnt(0)
.LBB21_38:                              ;   in Loop: Header=BB21_30 Depth=1
	s_or_b64 exec, exec, s[30:31]
	v_cmp_ge_i64_e32 vcc, v[20:21], v[30:31]
	s_and_saveexec_b64 s[30:31], vcc
	s_xor_b64 s[30:31], exec, s[30:31]
; %bb.39:                               ;   in Loop: Header=BB21_30 Depth=1
                                        ; implicit-def: $vgpr28
; %bb.40:                               ;   in Loop: Header=BB21_30 Depth=1
	s_andn2_saveexec_b64 s[30:31], s[30:31]
	s_cbranch_execz .LBB21_42
; %bb.41:                               ;   in Loop: Header=BB21_30 Depth=1
	v_mov_b32_e32 v29, s27
	v_add_u32_e32 v32, 16, v28
	v_mov_b32_e32 v33, s27
	flat_load_dword v27, v[28:29] glc
	s_waitcnt vmcnt(0)
	flat_load_dword v34, v[32:33] glc
	s_waitcnt vmcnt(0) lgkmcnt(0)
	v_max_f32_e32 v27, v27, v27
	v_max_f32_e32 v32, v34, v34
	;; [unrolled: 1-line block ×3, first 2 shown]
	flat_store_dword v[28:29], v27
	s_waitcnt vmcnt(0)
.LBB21_42:                              ;   in Loop: Header=BB21_30 Depth=1
	s_or_b64 exec, exec, s[30:31]
	v_cmp_lt_i64_e32 vcc, v[22:23], v[30:31]
	v_lshlrev_b32_e32 v26, 2, v26
	s_and_saveexec_b64 s[30:31], vcc
	s_cbranch_execz .LBB21_44
; %bb.43:                               ;   in Loop: Header=BB21_30 Depth=1
	v_mov_b32_e32 v27, s27
	v_add_u32_e32 v28, 8, v26
	v_mov_b32_e32 v29, s27
	flat_load_dword v32, v[26:27] glc
	s_waitcnt vmcnt(0)
	flat_load_dword v33, v[28:29] glc
	s_waitcnt vmcnt(0) lgkmcnt(0)
	v_max_f32_e32 v28, v32, v32
	v_max_f32_e32 v29, v33, v33
	;; [unrolled: 1-line block ×3, first 2 shown]
	flat_store_dword v[26:27], v28
	s_waitcnt vmcnt(0)
.LBB21_44:                              ;   in Loop: Header=BB21_30 Depth=1
	s_or_b64 exec, exec, s[30:31]
	v_cmp_lt_i64_e32 vcc, v[24:25], v[30:31]
	s_and_saveexec_b64 s[30:31], vcc
	s_cbranch_execz .LBB21_28
; %bb.45:                               ;   in Loop: Header=BB21_30 Depth=1
	v_mov_b32_e32 v27, s27
	v_add_u32_e32 v28, 4, v26
	v_mov_b32_e32 v29, s27
	flat_load_dword v30, v[26:27] glc
	s_waitcnt vmcnt(0)
	flat_load_dword v31, v[28:29] glc
	s_waitcnt vmcnt(0) lgkmcnt(0)
	v_max_f32_e32 v28, v30, v30
	v_max_f32_e32 v29, v31, v31
	;; [unrolled: 1-line block ×3, first 2 shown]
	flat_store_dword v[26:27], v28
	s_waitcnt vmcnt(0)
	s_branch .LBB21_28
.LBB21_46:                              ;   in Loop: Header=BB21_30 Depth=1
	v_mov_b32_e32 v29, s27
	v_add_u32_e32 v32, 0x80, v28
	v_mov_b32_e32 v33, s27
	flat_load_dword v27, v[28:29] glc
	s_waitcnt vmcnt(0)
	flat_load_dword v34, v[32:33] glc
	s_waitcnt vmcnt(0) lgkmcnt(0)
	v_max_f32_e32 v27, v27, v27
	v_max_f32_e32 v32, v34, v34
	v_max_f32_e32 v27, v27, v32
	flat_store_dword v[28:29], v27
	s_waitcnt vmcnt(0)
	s_or_b64 exec, exec, s[30:31]
	v_cmp_lt_i64_e32 vcc, v[16:17], v[30:31]
	s_and_saveexec_b64 s[30:31], vcc
	s_cbranch_execz .LBB21_36
.LBB21_47:                              ;   in Loop: Header=BB21_30 Depth=1
	v_mov_b32_e32 v29, s27
	v_add_u32_e32 v32, 64, v28
	v_mov_b32_e32 v33, s27
	flat_load_dword v27, v[28:29] glc
	s_waitcnt vmcnt(0)
	flat_load_dword v34, v[32:33] glc
	s_waitcnt vmcnt(0) lgkmcnt(0)
	v_max_f32_e32 v27, v27, v27
	v_max_f32_e32 v32, v34, v34
	;; [unrolled: 1-line block ×3, first 2 shown]
	flat_store_dword v[28:29], v27
	s_waitcnt vmcnt(0)
	s_or_b64 exec, exec, s[30:31]
	v_cmp_lt_i64_e32 vcc, v[18:19], v[30:31]
	s_and_saveexec_b64 s[30:31], vcc
	s_cbranch_execnz .LBB21_37
	s_branch .LBB21_38
.LBB21_48:
	v_cmp_eq_u32_e32 vcc, 0, v4
	v_cmp_lt_i64_e64 s[2:3], v[6:7], v[8:9]
	s_and_b64 s[22:23], vcc, s[2:3]
	s_mul_i32 s17, s17, s6
	s_mul_hi_u32 s20, s16, s6
	s_mul_i32 s2, s16, s6
	s_waitcnt lgkmcnt(0)
	s_barrier
	s_and_saveexec_b64 s[6:7], s[22:23]
	s_cbranch_execz .LBB21_52
; %bb.49:
	s_load_dwordx2 s[4:5], s[4:5], 0x20
	ds_read_b32 v1, v1
	s_waitcnt lgkmcnt(0)
	s_cmp_eq_u64 s[4:5], 0
	s_cbranch_scc1 .LBB21_51
; %bb.50:
	s_load_dword s3, s[4:5], 0x0
	v_max_f32_e32 v1, v1, v1
	s_waitcnt lgkmcnt(0)
	v_max_f32_e64 v4, s3, s3
	v_min_f32_e32 v1, v1, v4
.LBB21_51:
	s_mov_b32 s3, 0x43e00000
	v_div_scale_f32 v4, s[4:5], s3, s3, v1
	v_rcp_f32_e32 v5, v4
	v_div_scale_f32 v6, vcc, v1, s3, v1
	v_lshlrev_b64 v[2:3], 2, v[2:3]
	v_fma_f32 v7, -v4, v5, 1.0
	v_fmac_f32_e32 v5, v7, v5
	v_mul_f32_e32 v7, v6, v5
	v_fma_f32 v8, -v4, v7, v6
	v_fmac_f32_e32 v7, v8, v5
	v_fma_f32 v4, -v4, v7, v6
	v_div_fmas_f32 v4, v4, v5, v7
	v_div_fixup_f32 v1, v4, s3, v1
	s_add_i32 s3, s20, s17
	s_lshl_b64 s[4:5], s[2:3], 2
	s_add_u32 s3, s10, s4
	s_addc_u32 s4, s11, s5
	v_mov_b32_e32 v4, s4
	v_add_co_u32_e32 v2, vcc, s3, v2
	v_max_f32_e32 v1, 0x36924925, v1
	v_addc_co_u32_e32 v3, vcc, v4, v3, vcc
	global_store_dword v[2:3], v1, off
.LBB21_52:
	s_or_b64 exec, exec, s[6:7]
	s_barrier
	s_and_saveexec_b64 s[4:5], s[0:1]
	s_cbranch_execz .LBB21_157
; %bb.53:
	s_add_u32 s13, s8, s18
	s_addc_u32 s18, s9, s19
	s_add_i32 s3, s20, s17
	s_lshl_b64 s[0:1], s[2:3], 2
	s_add_u32 s0, s10, s0
	s_addc_u32 s1, s11, s1
	s_mul_i32 s19, s47, 3
	s_lshl_b32 s20, s47, 1
	s_mov_b64 s[2:3], 0
	v_mov_b32_e32 v1, 0
	v_mov_b32_e32 v14, s44
	v_mov_b32_e32 v15, s15
	v_mov_b32_e32 v16, s46
	s_mov_b32 s21, 0x43f00000
	s_mov_b32 s22, 0x3c7fffff
	;; [unrolled: 1-line block ×4, first 2 shown]
	s_movk_i32 s25, 0x80
	s_movk_i32 s26, 0xff
	s_branch .LBB21_59
.LBB21_54:                              ;   in Loop: Header=BB21_59 Depth=1
	s_or_b64 exec, exec, s[16:17]
.LBB21_55:                              ;   in Loop: Header=BB21_59 Depth=1
	s_or_b64 exec, exec, s[10:11]
	v_and_b32_sdwa v12, v8, s25 dst_sel:DWORD dst_unused:UNUSED_PAD src0_sel:BYTE_3 src1_sel:DWORD
	v_lshlrev_b64 v[8:9], 2, v[0:1]
	v_and_b32_sdwa v3, v3, s25 dst_sel:DWORD dst_unused:UNUSED_PAD src0_sel:BYTE_3 src1_sel:DWORD
	v_mov_b32_e32 v0, s18
	v_add_co_u32_e32 v8, vcc, s13, v8
	v_and_or_b32 v4, v4, s26, v12
	v_lshrrev_b32_e32 v6, 24, v6
	v_addc_co_u32_e32 v9, vcc, v0, v9, vcc
	v_lshlrev_b32_e32 v0, 24, v7
	v_and_b32_e32 v5, 0x80000000, v5
	v_lshlrev_b32_e32 v4, 16, v4
	v_and_or_b32 v3, v11, s26, v3
	v_and_b32_e32 v2, 0xff, v2
	v_or3_b32 v0, v5, v0, v4
	v_lshlrev_b32_e32 v3, 8, v3
	v_and_or_b32 v2, v6, s25, v2
	s_add_i32 s10, s47, s47
	v_or3_b32 v0, v0, v3, v2
	s_add_i32 s10, s10, s47
	global_store_dword v[8:9], v0, off
	v_add_u32_e32 v0, s10, v10
	v_cmp_le_u32_e32 vcc, s12, v0
	s_orn2_b64 s[10:11], vcc, exec
.LBB21_56:                              ;   in Loop: Header=BB21_59 Depth=1
	s_or_b64 exec, exec, s[8:9]
	s_orn2_b64 s[8:9], s[10:11], exec
.LBB21_57:                              ;   in Loop: Header=BB21_59 Depth=1
	s_or_b64 exec, exec, s[6:7]
	s_orn2_b64 s[6:7], s[8:9], exec
.LBB21_58:                              ;   in Loop: Header=BB21_59 Depth=1
	s_or_b64 exec, exec, s[4:5]
	s_and_b64 s[4:5], exec, s[6:7]
	s_or_b64 s[2:3], s[4:5], s[2:3]
	s_andn2_b64 exec, exec, s[2:3]
	s_cbranch_execz .LBB21_157
.LBB21_59:                              ; =>This Inner Loop Header: Depth=1
	v_lshlrev_b64 v[2:3], 4, v[0:1]
	v_add_co_u32_e32 v4, vcc, s33, v2
	v_addc_co_u32_e32 v5, vcc, v14, v3, vcc
	v_add_co_u32_e32 v12, vcc, s45, v2
	v_addc_co_u32_e32 v13, vcc, v16, v3, vcc
	global_load_dwordx4 v[6:9], v[4:5], off
	global_load_dwordx4 v[18:21], v[12:13], off
	v_add_co_u32_e32 v2, vcc, s14, v2
	v_addc_co_u32_e32 v3, vcc, v15, v3, vcc
	v_lshrrev_b32_e32 v10, 3, v0
	global_load_dwordx4 v[2:5], v[2:3], off
	v_and_b32_e32 v10, 0x7fffffc, v10
	global_load_dword v11, v10, s[0:1]
	v_mov_b32_e32 v10, 0x7f
	s_waitcnt vmcnt(2)
	v_pk_add_f32 v[6:7], v[6:7], v[18:19]
	v_mul_f32_e32 v17, v36, v6
	v_pk_add_f32 v[8:9], v[8:9], v[20:21]
	global_store_dwordx4 v[12:13], v[6:9], off
	s_waitcnt vmcnt(2)
	v_mul_f32_e32 v2, v2, v17
	s_waitcnt vmcnt(1)
	v_div_scale_f32 v17, s[4:5], v11, v11, v2
	v_rcp_f32_e32 v18, v17
	v_div_scale_f32 v6, vcc, v2, v11, v2
	v_fma_f32 v12, -v17, v18, 1.0
	v_fmac_f32_e32 v18, v12, v18
	v_mul_f32_e32 v12, v6, v18
	v_fma_f32 v13, -v17, v12, v6
	v_fmac_f32_e32 v12, v13, v18
	v_fma_f32 v6, -v17, v12, v6
	v_div_fmas_f32 v6, v6, v18, v12
	v_div_fixup_f32 v2, v6, v11, v2
	v_min_f32_e32 v2, 0x43e00000, v2
	v_max_f32_e32 v6, 0xc3e00000, v2
	v_and_b32_e32 v12, 0x7fffffff, v6
	v_cmp_gt_u32_e32 vcc, s21, v12
	v_mov_b32_e32 v2, 0x7f
	s_and_saveexec_b64 s[4:5], vcc
	s_cbranch_execz .LBB21_65
; %bb.60:                               ;   in Loop: Header=BB21_59 Depth=1
	v_cmp_lt_u32_e32 vcc, s22, v12
                                        ; implicit-def: $vgpr2
	s_and_saveexec_b64 s[6:7], vcc
	s_xor_b64 s[6:7], exec, s[6:7]
; %bb.61:                               ;   in Loop: Header=BB21_59 Depth=1
	v_bfe_u32 v2, v6, 20, 1
	v_add3_u32 v2, v6, v2, s23
	v_lshrrev_b32_e32 v2, 20, v2
; %bb.62:                               ;   in Loop: Header=BB21_59 Depth=1
	s_andn2_saveexec_b64 s[6:7], s[6:7]
; %bb.63:                               ;   in Loop: Header=BB21_59 Depth=1
	v_add_f32_e64 v2, |v6|, s24
; %bb.64:                               ;   in Loop: Header=BB21_59 Depth=1
	s_or_b64 exec, exec, s[6:7]
.LBB21_65:                              ;   in Loop: Header=BB21_59 Depth=1
	s_or_b64 exec, exec, s[4:5]
	v_mul_f32_e32 v7, v36, v7
	v_mul_f32_e32 v3, v3, v7
	v_div_scale_f32 v7, s[4:5], v11, v11, v3
	v_rcp_f32_e32 v12, v7
	v_div_scale_f32 v13, vcc, v3, v11, v3
	v_fma_f32 v17, -v7, v12, 1.0
	v_fmac_f32_e32 v12, v17, v12
	v_mul_f32_e32 v17, v13, v12
	v_fma_f32 v18, -v7, v17, v13
	v_fmac_f32_e32 v17, v18, v12
	v_fma_f32 v7, -v7, v17, v13
	v_div_fmas_f32 v7, v7, v12, v17
	v_div_fixup_f32 v3, v7, v11, v3
	v_min_f32_e32 v3, 0x43e00000, v3
	v_max_f32_e32 v3, 0xc3e00000, v3
	v_and_b32_e32 v7, 0x7fffffff, v3
	v_cmp_gt_u32_e32 vcc, s21, v7
	s_and_saveexec_b64 s[4:5], vcc
	s_cbranch_execz .LBB21_71
; %bb.66:                               ;   in Loop: Header=BB21_59 Depth=1
	v_cmp_lt_u32_e32 vcc, s22, v7
                                        ; implicit-def: $vgpr10
	s_and_saveexec_b64 s[6:7], vcc
	s_xor_b64 s[6:7], exec, s[6:7]
; %bb.67:                               ;   in Loop: Header=BB21_59 Depth=1
	v_bfe_u32 v7, v3, 20, 1
	v_add3_u32 v7, v3, v7, s23
	v_lshrrev_b32_e32 v10, 20, v7
; %bb.68:                               ;   in Loop: Header=BB21_59 Depth=1
	s_andn2_saveexec_b64 s[6:7], s[6:7]
; %bb.69:                               ;   in Loop: Header=BB21_59 Depth=1
	v_add_f32_e64 v10, |v3|, s24
; %bb.70:                               ;   in Loop: Header=BB21_59 Depth=1
	s_or_b64 exec, exec, s[6:7]
.LBB21_71:                              ;   in Loop: Header=BB21_59 Depth=1
	s_or_b64 exec, exec, s[4:5]
	v_mul_f32_e32 v7, v36, v8
	v_mul_f32_e32 v4, v4, v7
	v_div_scale_f32 v7, s[4:5], v11, v11, v4
	v_rcp_f32_e32 v8, v7
	v_div_scale_f32 v12, vcc, v4, v11, v4
	v_fma_f32 v13, -v7, v8, 1.0
	v_fmac_f32_e32 v8, v13, v8
	v_mul_f32_e32 v13, v12, v8
	v_fma_f32 v17, -v7, v13, v12
	v_fmac_f32_e32 v13, v17, v8
	v_fma_f32 v7, -v7, v13, v12
	v_div_fmas_f32 v7, v7, v8, v13
	v_div_fixup_f32 v4, v7, v11, v4
	v_min_f32_e32 v4, 0x43e00000, v4
	v_max_f32_e32 v8, 0xc3e00000, v4
	v_and_b32_e32 v12, 0x7fffffff, v8
	v_cmp_gt_u32_e32 vcc, s21, v12
	v_mov_b32_e32 v7, 0x7f
	v_mov_b32_e32 v4, 0x7f
	s_and_saveexec_b64 s[4:5], vcc
	s_cbranch_execz .LBB21_77
; %bb.72:                               ;   in Loop: Header=BB21_59 Depth=1
	v_cmp_lt_u32_e32 vcc, s22, v12
                                        ; implicit-def: $vgpr4
	s_and_saveexec_b64 s[6:7], vcc
	s_xor_b64 s[6:7], exec, s[6:7]
; %bb.73:                               ;   in Loop: Header=BB21_59 Depth=1
	v_bfe_u32 v4, v8, 20, 1
	v_add3_u32 v4, v8, v4, s23
	v_lshrrev_b32_e32 v4, 20, v4
; %bb.74:                               ;   in Loop: Header=BB21_59 Depth=1
	s_andn2_saveexec_b64 s[6:7], s[6:7]
; %bb.75:                               ;   in Loop: Header=BB21_59 Depth=1
	v_add_f32_e64 v4, |v8|, s24
; %bb.76:                               ;   in Loop: Header=BB21_59 Depth=1
	s_or_b64 exec, exec, s[6:7]
.LBB21_77:                              ;   in Loop: Header=BB21_59 Depth=1
	s_or_b64 exec, exec, s[4:5]
	v_mul_f32_e32 v9, v36, v9
	v_mul_f32_e32 v5, v5, v9
	v_div_scale_f32 v9, s[4:5], v11, v11, v5
	v_rcp_f32_e32 v12, v9
	v_div_scale_f32 v13, vcc, v5, v11, v5
	v_fma_f32 v17, -v9, v12, 1.0
	v_fmac_f32_e32 v12, v17, v12
	v_mul_f32_e32 v17, v13, v12
	v_fma_f32 v18, -v9, v17, v13
	v_fmac_f32_e32 v17, v18, v12
	v_fma_f32 v9, -v9, v17, v13
	v_div_fmas_f32 v9, v9, v12, v17
	v_div_fixup_f32 v5, v9, v11, v5
	v_min_f32_e32 v5, 0x43e00000, v5
	v_max_f32_e32 v5, 0xc3e00000, v5
	v_and_b32_e32 v9, 0x7fffffff, v5
	v_cmp_gt_u32_e32 vcc, s21, v9
	s_and_saveexec_b64 s[4:5], vcc
	s_cbranch_execz .LBB21_83
; %bb.78:                               ;   in Loop: Header=BB21_59 Depth=1
	v_cmp_lt_u32_e32 vcc, s22, v9
                                        ; implicit-def: $vgpr7
	s_and_saveexec_b64 s[6:7], vcc
	s_xor_b64 s[6:7], exec, s[6:7]
; %bb.79:                               ;   in Loop: Header=BB21_59 Depth=1
	v_bfe_u32 v7, v5, 20, 1
	v_add3_u32 v7, v5, v7, s23
	v_lshrrev_b32_e32 v7, 20, v7
; %bb.80:                               ;   in Loop: Header=BB21_59 Depth=1
	s_andn2_saveexec_b64 s[6:7], s[6:7]
; %bb.81:                               ;   in Loop: Header=BB21_59 Depth=1
	v_add_f32_e64 v7, |v5|, s24
; %bb.82:                               ;   in Loop: Header=BB21_59 Depth=1
	s_or_b64 exec, exec, s[6:7]
.LBB21_83:                              ;   in Loop: Header=BB21_59 Depth=1
	s_or_b64 exec, exec, s[4:5]
	v_and_b32_sdwa v11, v8, s25 dst_sel:DWORD dst_unused:UNUSED_PAD src0_sel:BYTE_3 src1_sel:DWORD
	v_and_b32_sdwa v3, v3, s25 dst_sel:DWORD dst_unused:UNUSED_PAD src0_sel:BYTE_3 src1_sel:DWORD
	v_lshlrev_b64 v[8:9], 2, v[0:1]
	v_and_or_b32 v4, v4, s26, v11
	v_lshrrev_b32_e32 v6, 24, v6
	v_mov_b32_e32 v12, s18
	v_add_co_u32_e32 v8, vcc, s13, v8
	v_lshlrev_b32_e32 v7, 24, v7
	v_and_b32_e32 v5, 0x80000000, v5
	v_lshlrev_b32_e32 v4, 16, v4
	v_and_or_b32 v3, v10, s26, v3
	v_and_b32_e32 v2, 0xff, v2
	v_addc_co_u32_e32 v9, vcc, v12, v9, vcc
	v_or3_b32 v4, v5, v7, v4
	v_lshlrev_b32_e32 v3, 8, v3
	v_and_or_b32 v2, v6, s25, v2
	v_add_u32_e32 v10, s47, v0
	v_or3_b32 v2, v4, v3, v2
	v_cmp_gt_u32_e32 vcc, s12, v10
	s_mov_b64 s[6:7], -1
	global_store_dword v[8:9], v2, off
	s_and_saveexec_b64 s[4:5], vcc
	s_cbranch_execz .LBB21_58
; %bb.84:                               ;   in Loop: Header=BB21_59 Depth=1
	v_mov_b32_e32 v11, v1
	v_lshlrev_b64 v[2:3], 4, v[10:11]
	v_mov_b32_e32 v5, s44
	v_add_co_u32_e32 v4, vcc, s33, v2
	v_addc_co_u32_e32 v5, vcc, v5, v3, vcc
	v_mov_b32_e32 v6, s46
	v_add_co_u32_e32 v22, vcc, s45, v2
	v_addc_co_u32_e32 v23, vcc, v6, v3, vcc
	v_mov_b32_e32 v12, s15
	global_load_dwordx4 v[6:9], v[4:5], off
	global_load_dwordx4 v[18:21], v[22:23], off
	v_add_co_u32_e32 v2, vcc, s14, v2
	v_addc_co_u32_e32 v3, vcc, v12, v3, vcc
	v_lshrrev_b32_e32 v12, 3, v10
	global_load_dwordx4 v[2:5], v[2:3], off
	v_and_b32_e32 v12, 0x7fffffc, v12
	global_load_dword v13, v12, s[0:1]
	v_mov_b32_e32 v12, 0x7f
	s_waitcnt vmcnt(2)
	v_pk_add_f32 v[6:7], v[6:7], v[18:19]
	v_mul_f32_e32 v17, v36, v6
	v_pk_add_f32 v[8:9], v[8:9], v[20:21]
	global_store_dwordx4 v[22:23], v[6:9], off
	s_waitcnt vmcnt(2)
	v_mul_f32_e32 v2, v2, v17
	s_waitcnt vmcnt(1)
	v_div_scale_f32 v17, s[6:7], v13, v13, v2
	v_rcp_f32_e32 v18, v17
	v_div_scale_f32 v6, vcc, v2, v13, v2
	v_fma_f32 v19, -v17, v18, 1.0
	v_fmac_f32_e32 v18, v19, v18
	v_mul_f32_e32 v19, v6, v18
	v_fma_f32 v20, -v17, v19, v6
	v_fmac_f32_e32 v19, v20, v18
	v_fma_f32 v6, -v17, v19, v6
	v_div_fmas_f32 v6, v6, v18, v19
	v_div_fixup_f32 v2, v6, v13, v2
	v_min_f32_e32 v2, 0x43e00000, v2
	v_max_f32_e32 v6, 0xc3e00000, v2
	v_and_b32_e32 v17, 0x7fffffff, v6
	v_cmp_gt_u32_e32 vcc, s21, v17
	v_mov_b32_e32 v2, 0x7f
	s_and_saveexec_b64 s[6:7], vcc
	s_cbranch_execz .LBB21_90
; %bb.85:                               ;   in Loop: Header=BB21_59 Depth=1
	v_cmp_lt_u32_e32 vcc, s22, v17
                                        ; implicit-def: $vgpr2
	s_and_saveexec_b64 s[8:9], vcc
	s_xor_b64 s[8:9], exec, s[8:9]
; %bb.86:                               ;   in Loop: Header=BB21_59 Depth=1
	v_bfe_u32 v2, v6, 20, 1
	v_add3_u32 v2, v6, v2, s23
	v_lshrrev_b32_e32 v2, 20, v2
; %bb.87:                               ;   in Loop: Header=BB21_59 Depth=1
	s_andn2_saveexec_b64 s[8:9], s[8:9]
; %bb.88:                               ;   in Loop: Header=BB21_59 Depth=1
	v_add_f32_e64 v2, |v6|, s24
; %bb.89:                               ;   in Loop: Header=BB21_59 Depth=1
	s_or_b64 exec, exec, s[8:9]
.LBB21_90:                              ;   in Loop: Header=BB21_59 Depth=1
	s_or_b64 exec, exec, s[6:7]
	v_mul_f32_e32 v7, v36, v7
	v_mul_f32_e32 v3, v3, v7
	v_div_scale_f32 v7, s[6:7], v13, v13, v3
	v_rcp_f32_e32 v17, v7
	v_div_scale_f32 v18, vcc, v3, v13, v3
	v_fma_f32 v19, -v7, v17, 1.0
	v_fmac_f32_e32 v17, v19, v17
	v_mul_f32_e32 v19, v18, v17
	v_fma_f32 v20, -v7, v19, v18
	v_fmac_f32_e32 v19, v20, v17
	v_fma_f32 v7, -v7, v19, v18
	v_div_fmas_f32 v7, v7, v17, v19
	v_div_fixup_f32 v3, v7, v13, v3
	v_min_f32_e32 v3, 0x43e00000, v3
	v_max_f32_e32 v3, 0xc3e00000, v3
	v_and_b32_e32 v7, 0x7fffffff, v3
	v_cmp_gt_u32_e32 vcc, s21, v7
	s_and_saveexec_b64 s[6:7], vcc
	s_cbranch_execz .LBB21_96
; %bb.91:                               ;   in Loop: Header=BB21_59 Depth=1
	v_cmp_lt_u32_e32 vcc, s22, v7
                                        ; implicit-def: $vgpr12
	s_and_saveexec_b64 s[8:9], vcc
	s_xor_b64 s[8:9], exec, s[8:9]
; %bb.92:                               ;   in Loop: Header=BB21_59 Depth=1
	v_bfe_u32 v7, v3, 20, 1
	v_add3_u32 v7, v3, v7, s23
	v_lshrrev_b32_e32 v12, 20, v7
; %bb.93:                               ;   in Loop: Header=BB21_59 Depth=1
	s_andn2_saveexec_b64 s[8:9], s[8:9]
; %bb.94:                               ;   in Loop: Header=BB21_59 Depth=1
	v_add_f32_e64 v12, |v3|, s24
; %bb.95:                               ;   in Loop: Header=BB21_59 Depth=1
	s_or_b64 exec, exec, s[8:9]
.LBB21_96:                              ;   in Loop: Header=BB21_59 Depth=1
	s_or_b64 exec, exec, s[6:7]
	v_mul_f32_e32 v7, v36, v8
	v_mul_f32_e32 v4, v4, v7
	v_div_scale_f32 v7, s[6:7], v13, v13, v4
	v_rcp_f32_e32 v8, v7
	v_div_scale_f32 v17, vcc, v4, v13, v4
	v_fma_f32 v18, -v7, v8, 1.0
	v_fmac_f32_e32 v8, v18, v8
	v_mul_f32_e32 v18, v17, v8
	v_fma_f32 v19, -v7, v18, v17
	v_fmac_f32_e32 v18, v19, v8
	v_fma_f32 v7, -v7, v18, v17
	v_div_fmas_f32 v7, v7, v8, v18
	v_div_fixup_f32 v4, v7, v13, v4
	v_min_f32_e32 v4, 0x43e00000, v4
	v_max_f32_e32 v8, 0xc3e00000, v4
	v_and_b32_e32 v17, 0x7fffffff, v8
	v_cmp_gt_u32_e32 vcc, s21, v17
	v_mov_b32_e32 v7, 0x7f
	v_mov_b32_e32 v4, 0x7f
	s_and_saveexec_b64 s[6:7], vcc
	s_cbranch_execz .LBB21_102
; %bb.97:                               ;   in Loop: Header=BB21_59 Depth=1
	v_cmp_lt_u32_e32 vcc, s22, v17
                                        ; implicit-def: $vgpr4
	s_and_saveexec_b64 s[8:9], vcc
	s_xor_b64 s[8:9], exec, s[8:9]
; %bb.98:                               ;   in Loop: Header=BB21_59 Depth=1
	v_bfe_u32 v4, v8, 20, 1
	v_add3_u32 v4, v8, v4, s23
	v_lshrrev_b32_e32 v4, 20, v4
; %bb.99:                               ;   in Loop: Header=BB21_59 Depth=1
	s_andn2_saveexec_b64 s[8:9], s[8:9]
; %bb.100:                              ;   in Loop: Header=BB21_59 Depth=1
	v_add_f32_e64 v4, |v8|, s24
; %bb.101:                              ;   in Loop: Header=BB21_59 Depth=1
	s_or_b64 exec, exec, s[8:9]
.LBB21_102:                             ;   in Loop: Header=BB21_59 Depth=1
	s_or_b64 exec, exec, s[6:7]
	v_mul_f32_e32 v9, v36, v9
	v_mul_f32_e32 v5, v5, v9
	v_div_scale_f32 v9, s[6:7], v13, v13, v5
	v_rcp_f32_e32 v17, v9
	v_div_scale_f32 v18, vcc, v5, v13, v5
	v_fma_f32 v19, -v9, v17, 1.0
	v_fmac_f32_e32 v17, v19, v17
	v_mul_f32_e32 v19, v18, v17
	v_fma_f32 v20, -v9, v19, v18
	v_fmac_f32_e32 v19, v20, v17
	v_fma_f32 v9, -v9, v19, v18
	v_div_fmas_f32 v9, v9, v17, v19
	v_div_fixup_f32 v5, v9, v13, v5
	v_min_f32_e32 v5, 0x43e00000, v5
	v_max_f32_e32 v5, 0xc3e00000, v5
	v_and_b32_e32 v9, 0x7fffffff, v5
	v_cmp_gt_u32_e32 vcc, s21, v9
	s_and_saveexec_b64 s[6:7], vcc
	s_cbranch_execz .LBB21_108
; %bb.103:                              ;   in Loop: Header=BB21_59 Depth=1
	v_cmp_lt_u32_e32 vcc, s22, v9
                                        ; implicit-def: $vgpr7
	s_and_saveexec_b64 s[8:9], vcc
	s_xor_b64 s[8:9], exec, s[8:9]
; %bb.104:                              ;   in Loop: Header=BB21_59 Depth=1
	v_bfe_u32 v7, v5, 20, 1
	v_add3_u32 v7, v5, v7, s23
	v_lshrrev_b32_e32 v7, 20, v7
; %bb.105:                              ;   in Loop: Header=BB21_59 Depth=1
	s_andn2_saveexec_b64 s[8:9], s[8:9]
; %bb.106:                              ;   in Loop: Header=BB21_59 Depth=1
	v_add_f32_e64 v7, |v5|, s24
; %bb.107:                              ;   in Loop: Header=BB21_59 Depth=1
	s_or_b64 exec, exec, s[8:9]
.LBB21_108:                             ;   in Loop: Header=BB21_59 Depth=1
	s_or_b64 exec, exec, s[6:7]
	v_and_b32_sdwa v13, v8, s25 dst_sel:DWORD dst_unused:UNUSED_PAD src0_sel:BYTE_3 src1_sel:DWORD
	v_and_b32_sdwa v3, v3, s25 dst_sel:DWORD dst_unused:UNUSED_PAD src0_sel:BYTE_3 src1_sel:DWORD
	v_lshlrev_b64 v[8:9], 2, v[10:11]
	v_and_or_b32 v4, v4, s26, v13
	v_lshrrev_b32_e32 v6, 24, v6
	v_mov_b32_e32 v11, s18
	v_add_co_u32_e32 v8, vcc, s13, v8
	v_lshlrev_b32_e32 v7, 24, v7
	v_and_b32_e32 v5, 0x80000000, v5
	v_lshlrev_b32_e32 v4, 16, v4
	v_and_or_b32 v3, v12, s26, v3
	v_and_b32_e32 v2, 0xff, v2
	v_addc_co_u32_e32 v9, vcc, v11, v9, vcc
	v_or3_b32 v4, v5, v7, v4
	v_lshlrev_b32_e32 v3, 8, v3
	v_and_or_b32 v2, v6, s25, v2
	v_add_u32_e32 v12, s20, v0
	v_or3_b32 v2, v4, v3, v2
	v_cmp_gt_u32_e32 vcc, s12, v12
	s_mov_b64 s[8:9], -1
	global_store_dword v[8:9], v2, off
	s_and_saveexec_b64 s[6:7], vcc
	s_cbranch_execz .LBB21_57
; %bb.109:                              ;   in Loop: Header=BB21_59 Depth=1
	v_mov_b32_e32 v13, v1
	v_lshlrev_b64 v[2:3], 4, v[12:13]
	v_mov_b32_e32 v5, s44
	v_add_co_u32_e32 v4, vcc, s33, v2
	v_addc_co_u32_e32 v5, vcc, v5, v3, vcc
	v_mov_b32_e32 v6, s46
	v_add_co_u32_e32 v22, vcc, s45, v2
	v_addc_co_u32_e32 v23, vcc, v6, v3, vcc
	v_mov_b32_e32 v11, s15
	global_load_dwordx4 v[6:9], v[4:5], off
	global_load_dwordx4 v[18:21], v[22:23], off
	v_add_co_u32_e32 v2, vcc, s14, v2
	v_addc_co_u32_e32 v3, vcc, v11, v3, vcc
	v_lshrrev_b32_e32 v11, 3, v12
	global_load_dwordx4 v[2:5], v[2:3], off
	v_and_b32_e32 v11, 0x7fffffc, v11
	global_load_dword v17, v11, s[0:1]
	v_mov_b32_e32 v11, 0x7f
	s_waitcnt vmcnt(2)
	v_pk_add_f32 v[6:7], v[6:7], v[18:19]
	v_mul_f32_e32 v18, v36, v6
	v_pk_add_f32 v[8:9], v[8:9], v[20:21]
	global_store_dwordx4 v[22:23], v[6:9], off
	s_waitcnt vmcnt(2)
	v_mul_f32_e32 v2, v2, v18
	s_waitcnt vmcnt(1)
	v_div_scale_f32 v18, s[8:9], v17, v17, v2
	v_rcp_f32_e32 v19, v18
	v_div_scale_f32 v6, vcc, v2, v17, v2
	v_fma_f32 v20, -v18, v19, 1.0
	v_fmac_f32_e32 v19, v20, v19
	v_mul_f32_e32 v20, v6, v19
	v_fma_f32 v21, -v18, v20, v6
	v_fmac_f32_e32 v20, v21, v19
	v_fma_f32 v6, -v18, v20, v6
	v_div_fmas_f32 v6, v6, v19, v20
	v_div_fixup_f32 v2, v6, v17, v2
	v_min_f32_e32 v2, 0x43e00000, v2
	v_max_f32_e32 v6, 0xc3e00000, v2
	v_and_b32_e32 v18, 0x7fffffff, v6
	v_cmp_gt_u32_e32 vcc, s21, v18
	v_mov_b32_e32 v2, 0x7f
	s_and_saveexec_b64 s[8:9], vcc
	s_cbranch_execz .LBB21_115
; %bb.110:                              ;   in Loop: Header=BB21_59 Depth=1
	v_cmp_lt_u32_e32 vcc, s22, v18
                                        ; implicit-def: $vgpr2
	s_and_saveexec_b64 s[10:11], vcc
	s_xor_b64 s[10:11], exec, s[10:11]
; %bb.111:                              ;   in Loop: Header=BB21_59 Depth=1
	v_bfe_u32 v2, v6, 20, 1
	v_add3_u32 v2, v6, v2, s23
	v_lshrrev_b32_e32 v2, 20, v2
; %bb.112:                              ;   in Loop: Header=BB21_59 Depth=1
	s_andn2_saveexec_b64 s[10:11], s[10:11]
; %bb.113:                              ;   in Loop: Header=BB21_59 Depth=1
	v_add_f32_e64 v2, |v6|, s24
; %bb.114:                              ;   in Loop: Header=BB21_59 Depth=1
	s_or_b64 exec, exec, s[10:11]
.LBB21_115:                             ;   in Loop: Header=BB21_59 Depth=1
	s_or_b64 exec, exec, s[8:9]
	v_mul_f32_e32 v7, v36, v7
	v_mul_f32_e32 v3, v3, v7
	v_div_scale_f32 v7, s[8:9], v17, v17, v3
	v_rcp_f32_e32 v18, v7
	v_div_scale_f32 v19, vcc, v3, v17, v3
	v_fma_f32 v20, -v7, v18, 1.0
	v_fmac_f32_e32 v18, v20, v18
	v_mul_f32_e32 v20, v19, v18
	v_fma_f32 v21, -v7, v20, v19
	v_fmac_f32_e32 v20, v21, v18
	v_fma_f32 v7, -v7, v20, v19
	v_div_fmas_f32 v7, v7, v18, v20
	v_div_fixup_f32 v3, v7, v17, v3
	v_min_f32_e32 v3, 0x43e00000, v3
	v_max_f32_e32 v3, 0xc3e00000, v3
	v_and_b32_e32 v7, 0x7fffffff, v3
	v_cmp_gt_u32_e32 vcc, s21, v7
	s_and_saveexec_b64 s[8:9], vcc
	s_cbranch_execz .LBB21_121
; %bb.116:                              ;   in Loop: Header=BB21_59 Depth=1
	v_cmp_lt_u32_e32 vcc, s22, v7
                                        ; implicit-def: $vgpr11
	s_and_saveexec_b64 s[10:11], vcc
	s_xor_b64 s[10:11], exec, s[10:11]
; %bb.117:                              ;   in Loop: Header=BB21_59 Depth=1
	v_bfe_u32 v7, v3, 20, 1
	v_add3_u32 v7, v3, v7, s23
	v_lshrrev_b32_e32 v11, 20, v7
; %bb.118:                              ;   in Loop: Header=BB21_59 Depth=1
	s_andn2_saveexec_b64 s[10:11], s[10:11]
; %bb.119:                              ;   in Loop: Header=BB21_59 Depth=1
	v_add_f32_e64 v11, |v3|, s24
; %bb.120:                              ;   in Loop: Header=BB21_59 Depth=1
	s_or_b64 exec, exec, s[10:11]
.LBB21_121:                             ;   in Loop: Header=BB21_59 Depth=1
	s_or_b64 exec, exec, s[8:9]
	v_mul_f32_e32 v7, v36, v8
	v_mul_f32_e32 v4, v4, v7
	v_div_scale_f32 v7, s[8:9], v17, v17, v4
	v_rcp_f32_e32 v8, v7
	v_div_scale_f32 v18, vcc, v4, v17, v4
	v_fma_f32 v19, -v7, v8, 1.0
	v_fmac_f32_e32 v8, v19, v8
	v_mul_f32_e32 v19, v18, v8
	v_fma_f32 v20, -v7, v19, v18
	v_fmac_f32_e32 v19, v20, v8
	v_fma_f32 v7, -v7, v19, v18
	v_div_fmas_f32 v7, v7, v8, v19
	v_div_fixup_f32 v4, v7, v17, v4
	v_min_f32_e32 v4, 0x43e00000, v4
	v_max_f32_e32 v8, 0xc3e00000, v4
	v_and_b32_e32 v18, 0x7fffffff, v8
	v_cmp_gt_u32_e32 vcc, s21, v18
	v_mov_b32_e32 v7, 0x7f
	v_mov_b32_e32 v4, 0x7f
	s_and_saveexec_b64 s[8:9], vcc
	s_cbranch_execz .LBB21_127
; %bb.122:                              ;   in Loop: Header=BB21_59 Depth=1
	v_cmp_lt_u32_e32 vcc, s22, v18
                                        ; implicit-def: $vgpr4
	s_and_saveexec_b64 s[10:11], vcc
	s_xor_b64 s[10:11], exec, s[10:11]
; %bb.123:                              ;   in Loop: Header=BB21_59 Depth=1
	v_bfe_u32 v4, v8, 20, 1
	v_add3_u32 v4, v8, v4, s23
	v_lshrrev_b32_e32 v4, 20, v4
; %bb.124:                              ;   in Loop: Header=BB21_59 Depth=1
	s_andn2_saveexec_b64 s[10:11], s[10:11]
; %bb.125:                              ;   in Loop: Header=BB21_59 Depth=1
	v_add_f32_e64 v4, |v8|, s24
; %bb.126:                              ;   in Loop: Header=BB21_59 Depth=1
	s_or_b64 exec, exec, s[10:11]
.LBB21_127:                             ;   in Loop: Header=BB21_59 Depth=1
	s_or_b64 exec, exec, s[8:9]
	v_mul_f32_e32 v9, v36, v9
	v_mul_f32_e32 v5, v5, v9
	v_div_scale_f32 v9, s[8:9], v17, v17, v5
	v_rcp_f32_e32 v18, v9
	v_div_scale_f32 v19, vcc, v5, v17, v5
	v_fma_f32 v20, -v9, v18, 1.0
	v_fmac_f32_e32 v18, v20, v18
	v_mul_f32_e32 v20, v19, v18
	v_fma_f32 v21, -v9, v20, v19
	v_fmac_f32_e32 v20, v21, v18
	v_fma_f32 v9, -v9, v20, v19
	v_div_fmas_f32 v9, v9, v18, v20
	v_div_fixup_f32 v5, v9, v17, v5
	v_min_f32_e32 v5, 0x43e00000, v5
	v_max_f32_e32 v5, 0xc3e00000, v5
	v_and_b32_e32 v9, 0x7fffffff, v5
	v_cmp_gt_u32_e32 vcc, s21, v9
	s_and_saveexec_b64 s[8:9], vcc
	s_cbranch_execz .LBB21_133
; %bb.128:                              ;   in Loop: Header=BB21_59 Depth=1
	v_cmp_lt_u32_e32 vcc, s22, v9
                                        ; implicit-def: $vgpr7
	s_and_saveexec_b64 s[10:11], vcc
	s_xor_b64 s[10:11], exec, s[10:11]
; %bb.129:                              ;   in Loop: Header=BB21_59 Depth=1
	v_bfe_u32 v7, v5, 20, 1
	v_add3_u32 v7, v5, v7, s23
	v_lshrrev_b32_e32 v7, 20, v7
; %bb.130:                              ;   in Loop: Header=BB21_59 Depth=1
	s_andn2_saveexec_b64 s[10:11], s[10:11]
; %bb.131:                              ;   in Loop: Header=BB21_59 Depth=1
	v_add_f32_e64 v7, |v5|, s24
; %bb.132:                              ;   in Loop: Header=BB21_59 Depth=1
	s_or_b64 exec, exec, s[10:11]
.LBB21_133:                             ;   in Loop: Header=BB21_59 Depth=1
	s_or_b64 exec, exec, s[8:9]
	v_and_b32_sdwa v17, v8, s25 dst_sel:DWORD dst_unused:UNUSED_PAD src0_sel:BYTE_3 src1_sel:DWORD
	v_and_b32_sdwa v3, v3, s25 dst_sel:DWORD dst_unused:UNUSED_PAD src0_sel:BYTE_3 src1_sel:DWORD
	v_lshlrev_b64 v[8:9], 2, v[12:13]
	v_and_or_b32 v4, v4, s26, v17
	v_lshrrev_b32_e32 v6, 24, v6
	v_mov_b32_e32 v12, s18
	v_add_co_u32_e32 v8, vcc, s13, v8
	v_lshlrev_b32_e32 v7, 24, v7
	v_and_b32_e32 v5, 0x80000000, v5
	v_lshlrev_b32_e32 v4, 16, v4
	v_and_or_b32 v3, v11, s26, v3
	v_and_b32_e32 v2, 0xff, v2
	v_addc_co_u32_e32 v9, vcc, v12, v9, vcc
	v_or3_b32 v4, v5, v7, v4
	v_lshlrev_b32_e32 v3, 8, v3
	v_and_or_b32 v2, v6, s25, v2
	v_add_u32_e32 v0, s19, v0
	v_or3_b32 v2, v4, v3, v2
	v_cmp_gt_u32_e32 vcc, s12, v0
	s_mov_b64 s[10:11], -1
	global_store_dword v[8:9], v2, off
	s_and_saveexec_b64 s[8:9], vcc
	s_cbranch_execz .LBB21_56
; %bb.134:                              ;   in Loop: Header=BB21_59 Depth=1
	v_lshlrev_b64 v[2:3], 4, v[0:1]
	v_mov_b32_e32 v5, s44
	v_add_co_u32_e32 v4, vcc, s33, v2
	v_addc_co_u32_e32 v5, vcc, v5, v3, vcc
	v_mov_b32_e32 v6, s46
	v_add_co_u32_e32 v22, vcc, s45, v2
	v_addc_co_u32_e32 v23, vcc, v6, v3, vcc
	v_mov_b32_e32 v11, s15
	global_load_dwordx4 v[6:9], v[4:5], off
	global_load_dwordx4 v[18:21], v[22:23], off
	v_add_co_u32_e32 v2, vcc, s14, v2
	v_addc_co_u32_e32 v3, vcc, v11, v3, vcc
	v_lshrrev_b32_e32 v11, 3, v0
	global_load_dwordx4 v[2:5], v[2:3], off
	v_and_b32_e32 v11, 0x7fffffc, v11
	global_load_dword v12, v11, s[0:1]
	v_mov_b32_e32 v11, 0x7f
	s_waitcnt vmcnt(2)
	v_pk_add_f32 v[6:7], v[6:7], v[18:19]
	v_mul_f32_e32 v13, v36, v6
	v_pk_add_f32 v[8:9], v[8:9], v[20:21]
	global_store_dwordx4 v[22:23], v[6:9], off
	s_waitcnt vmcnt(2)
	v_mul_f32_e32 v2, v2, v13
	s_waitcnt vmcnt(1)
	v_div_scale_f32 v13, s[10:11], v12, v12, v2
	v_rcp_f32_e32 v17, v13
	v_div_scale_f32 v6, vcc, v2, v12, v2
	v_fma_f32 v18, -v13, v17, 1.0
	v_fmac_f32_e32 v17, v18, v17
	v_mul_f32_e32 v18, v6, v17
	v_fma_f32 v19, -v13, v18, v6
	v_fmac_f32_e32 v18, v19, v17
	v_fma_f32 v6, -v13, v18, v6
	v_div_fmas_f32 v6, v6, v17, v18
	v_div_fixup_f32 v2, v6, v12, v2
	v_min_f32_e32 v2, 0x43e00000, v2
	v_max_f32_e32 v6, 0xc3e00000, v2
	v_and_b32_e32 v13, 0x7fffffff, v6
	v_cmp_gt_u32_e32 vcc, s21, v13
	v_mov_b32_e32 v2, 0x7f
	s_and_saveexec_b64 s[10:11], vcc
	s_cbranch_execz .LBB21_140
; %bb.135:                              ;   in Loop: Header=BB21_59 Depth=1
	v_cmp_lt_u32_e32 vcc, s22, v13
                                        ; implicit-def: $vgpr2
	s_and_saveexec_b64 s[16:17], vcc
	s_xor_b64 s[16:17], exec, s[16:17]
; %bb.136:                              ;   in Loop: Header=BB21_59 Depth=1
	v_bfe_u32 v2, v6, 20, 1
	v_add3_u32 v2, v6, v2, s23
	v_lshrrev_b32_e32 v2, 20, v2
; %bb.137:                              ;   in Loop: Header=BB21_59 Depth=1
	s_andn2_saveexec_b64 s[16:17], s[16:17]
; %bb.138:                              ;   in Loop: Header=BB21_59 Depth=1
	v_add_f32_e64 v2, |v6|, s24
; %bb.139:                              ;   in Loop: Header=BB21_59 Depth=1
	s_or_b64 exec, exec, s[16:17]
.LBB21_140:                             ;   in Loop: Header=BB21_59 Depth=1
	s_or_b64 exec, exec, s[10:11]
	v_mul_f32_e32 v7, v36, v7
	v_mul_f32_e32 v3, v3, v7
	v_div_scale_f32 v7, s[10:11], v12, v12, v3
	v_rcp_f32_e32 v13, v7
	v_div_scale_f32 v17, vcc, v3, v12, v3
	v_fma_f32 v18, -v7, v13, 1.0
	v_fmac_f32_e32 v13, v18, v13
	v_mul_f32_e32 v18, v17, v13
	v_fma_f32 v19, -v7, v18, v17
	v_fmac_f32_e32 v18, v19, v13
	v_fma_f32 v7, -v7, v18, v17
	v_div_fmas_f32 v7, v7, v13, v18
	v_div_fixup_f32 v3, v7, v12, v3
	v_min_f32_e32 v3, 0x43e00000, v3
	v_max_f32_e32 v3, 0xc3e00000, v3
	v_and_b32_e32 v7, 0x7fffffff, v3
	v_cmp_gt_u32_e32 vcc, s21, v7
	s_and_saveexec_b64 s[10:11], vcc
	s_cbranch_execz .LBB21_146
; %bb.141:                              ;   in Loop: Header=BB21_59 Depth=1
	v_cmp_lt_u32_e32 vcc, s22, v7
                                        ; implicit-def: $vgpr11
	s_and_saveexec_b64 s[16:17], vcc
	s_xor_b64 s[16:17], exec, s[16:17]
; %bb.142:                              ;   in Loop: Header=BB21_59 Depth=1
	v_bfe_u32 v7, v3, 20, 1
	v_add3_u32 v7, v3, v7, s23
	v_lshrrev_b32_e32 v11, 20, v7
; %bb.143:                              ;   in Loop: Header=BB21_59 Depth=1
	s_andn2_saveexec_b64 s[16:17], s[16:17]
; %bb.144:                              ;   in Loop: Header=BB21_59 Depth=1
	v_add_f32_e64 v11, |v3|, s24
; %bb.145:                              ;   in Loop: Header=BB21_59 Depth=1
	s_or_b64 exec, exec, s[16:17]
.LBB21_146:                             ;   in Loop: Header=BB21_59 Depth=1
	s_or_b64 exec, exec, s[10:11]
	v_mul_f32_e32 v7, v36, v8
	v_mul_f32_e32 v4, v4, v7
	v_div_scale_f32 v7, s[10:11], v12, v12, v4
	v_rcp_f32_e32 v8, v7
	v_div_scale_f32 v13, vcc, v4, v12, v4
	v_fma_f32 v17, -v7, v8, 1.0
	v_fmac_f32_e32 v8, v17, v8
	v_mul_f32_e32 v17, v13, v8
	v_fma_f32 v18, -v7, v17, v13
	v_fmac_f32_e32 v17, v18, v8
	v_fma_f32 v7, -v7, v17, v13
	v_div_fmas_f32 v7, v7, v8, v17
	v_div_fixup_f32 v4, v7, v12, v4
	v_min_f32_e32 v4, 0x43e00000, v4
	v_max_f32_e32 v8, 0xc3e00000, v4
	v_and_b32_e32 v13, 0x7fffffff, v8
	v_cmp_gt_u32_e32 vcc, s21, v13
	v_mov_b32_e32 v7, 0x7f
	v_mov_b32_e32 v4, 0x7f
	s_and_saveexec_b64 s[10:11], vcc
	s_cbranch_execz .LBB21_152
; %bb.147:                              ;   in Loop: Header=BB21_59 Depth=1
	v_cmp_lt_u32_e32 vcc, s22, v13
                                        ; implicit-def: $vgpr4
	s_and_saveexec_b64 s[16:17], vcc
	s_xor_b64 s[16:17], exec, s[16:17]
; %bb.148:                              ;   in Loop: Header=BB21_59 Depth=1
	v_bfe_u32 v4, v8, 20, 1
	v_add3_u32 v4, v8, v4, s23
	v_lshrrev_b32_e32 v4, 20, v4
; %bb.149:                              ;   in Loop: Header=BB21_59 Depth=1
	s_andn2_saveexec_b64 s[16:17], s[16:17]
; %bb.150:                              ;   in Loop: Header=BB21_59 Depth=1
	v_add_f32_e64 v4, |v8|, s24
; %bb.151:                              ;   in Loop: Header=BB21_59 Depth=1
	s_or_b64 exec, exec, s[16:17]
.LBB21_152:                             ;   in Loop: Header=BB21_59 Depth=1
	s_or_b64 exec, exec, s[10:11]
	v_mul_f32_e32 v9, v36, v9
	v_mul_f32_e32 v5, v5, v9
	v_div_scale_f32 v9, s[10:11], v12, v12, v5
	v_rcp_f32_e32 v13, v9
	v_div_scale_f32 v17, vcc, v5, v12, v5
	v_fma_f32 v18, -v9, v13, 1.0
	v_fmac_f32_e32 v13, v18, v13
	v_mul_f32_e32 v18, v17, v13
	v_fma_f32 v19, -v9, v18, v17
	v_fmac_f32_e32 v18, v19, v13
	v_fma_f32 v9, -v9, v18, v17
	v_div_fmas_f32 v9, v9, v13, v18
	v_div_fixup_f32 v5, v9, v12, v5
	v_min_f32_e32 v5, 0x43e00000, v5
	v_max_f32_e32 v5, 0xc3e00000, v5
	v_and_b32_e32 v9, 0x7fffffff, v5
	v_cmp_gt_u32_e32 vcc, s21, v9
	s_and_saveexec_b64 s[10:11], vcc
	s_cbranch_execz .LBB21_55
; %bb.153:                              ;   in Loop: Header=BB21_59 Depth=1
	v_cmp_lt_u32_e32 vcc, s22, v9
                                        ; implicit-def: $vgpr7
	s_and_saveexec_b64 s[16:17], vcc
	s_xor_b64 s[16:17], exec, s[16:17]
; %bb.154:                              ;   in Loop: Header=BB21_59 Depth=1
	v_bfe_u32 v7, v5, 20, 1
	v_add3_u32 v7, v5, v7, s23
	v_lshrrev_b32_e32 v7, 20, v7
; %bb.155:                              ;   in Loop: Header=BB21_59 Depth=1
	s_andn2_saveexec_b64 s[16:17], s[16:17]
	s_cbranch_execz .LBB21_54
; %bb.156:                              ;   in Loop: Header=BB21_59 Depth=1
	v_add_f32_e64 v7, |v5|, s24
	s_branch .LBB21_54
.LBB21_157:
	s_endpgm
	.section	.rodata,"a",@progbits
	.p2align	6, 0x0
	.amdhsa_kernel _ZN4vllm31rms_norm_per_block_quant_kernelIfN3c1013Float8_e4m3fnELb1ELb0ELi128EEEvPT0_PfPKT_S8_PKffiiPS6_l
		.amdhsa_group_segment_fixed_size 4164
		.amdhsa_private_segment_fixed_size 0
		.amdhsa_kernarg_size 328
		.amdhsa_user_sgpr_count 6
		.amdhsa_user_sgpr_private_segment_buffer 1
		.amdhsa_user_sgpr_dispatch_ptr 0
		.amdhsa_user_sgpr_queue_ptr 0
		.amdhsa_user_sgpr_kernarg_segment_ptr 1
		.amdhsa_user_sgpr_dispatch_id 0
		.amdhsa_user_sgpr_flat_scratch_init 0
		.amdhsa_user_sgpr_kernarg_preload_length 0
		.amdhsa_user_sgpr_kernarg_preload_offset 0
		.amdhsa_user_sgpr_private_segment_size 0
		.amdhsa_uses_dynamic_stack 0
		.amdhsa_system_sgpr_private_segment_wavefront_offset 0
		.amdhsa_system_sgpr_workgroup_id_x 1
		.amdhsa_system_sgpr_workgroup_id_y 0
		.amdhsa_system_sgpr_workgroup_id_z 0
		.amdhsa_system_sgpr_workgroup_info 0
		.amdhsa_system_vgpr_workitem_id 0
		.amdhsa_next_free_vgpr 44
		.amdhsa_next_free_sgpr 48
		.amdhsa_accum_offset 44
		.amdhsa_reserve_vcc 1
		.amdhsa_reserve_flat_scratch 0
		.amdhsa_float_round_mode_32 0
		.amdhsa_float_round_mode_16_64 0
		.amdhsa_float_denorm_mode_32 3
		.amdhsa_float_denorm_mode_16_64 3
		.amdhsa_dx10_clamp 1
		.amdhsa_ieee_mode 1
		.amdhsa_fp16_overflow 0
		.amdhsa_tg_split 0
		.amdhsa_exception_fp_ieee_invalid_op 0
		.amdhsa_exception_fp_denorm_src 0
		.amdhsa_exception_fp_ieee_div_zero 0
		.amdhsa_exception_fp_ieee_overflow 0
		.amdhsa_exception_fp_ieee_underflow 0
		.amdhsa_exception_fp_ieee_inexact 0
		.amdhsa_exception_int_div_zero 0
	.end_amdhsa_kernel
	.section	.text._ZN4vllm31rms_norm_per_block_quant_kernelIfN3c1013Float8_e4m3fnELb1ELb0ELi128EEEvPT0_PfPKT_S8_PKffiiPS6_l,"axG",@progbits,_ZN4vllm31rms_norm_per_block_quant_kernelIfN3c1013Float8_e4m3fnELb1ELb0ELi128EEEvPT0_PfPKT_S8_PKffiiPS6_l,comdat
.Lfunc_end21:
	.size	_ZN4vllm31rms_norm_per_block_quant_kernelIfN3c1013Float8_e4m3fnELb1ELb0ELi128EEEvPT0_PfPKT_S8_PKffiiPS6_l, .Lfunc_end21-_ZN4vllm31rms_norm_per_block_quant_kernelIfN3c1013Float8_e4m3fnELb1ELb0ELi128EEEvPT0_PfPKT_S8_PKffiiPS6_l
                                        ; -- End function
	.section	.AMDGPU.csdata,"",@progbits
; Kernel info:
; codeLenInByte = 8000
; NumSgprs: 52
; NumVgprs: 44
; NumAgprs: 0
; TotalNumVgprs: 44
; ScratchSize: 0
; MemoryBound: 0
; FloatMode: 240
; IeeeMode: 1
; LDSByteSize: 4164 bytes/workgroup (compile time only)
; SGPRBlocks: 6
; VGPRBlocks: 5
; NumSGPRsForWavesPerEU: 52
; NumVGPRsForWavesPerEU: 44
; AccumOffset: 44
; Occupancy: 8
; WaveLimiterHint : 0
; COMPUTE_PGM_RSRC2:SCRATCH_EN: 0
; COMPUTE_PGM_RSRC2:USER_SGPR: 6
; COMPUTE_PGM_RSRC2:TRAP_HANDLER: 0
; COMPUTE_PGM_RSRC2:TGID_X_EN: 1
; COMPUTE_PGM_RSRC2:TGID_Y_EN: 0
; COMPUTE_PGM_RSRC2:TGID_Z_EN: 0
; COMPUTE_PGM_RSRC2:TIDIG_COMP_CNT: 0
; COMPUTE_PGM_RSRC3_GFX90A:ACCUM_OFFSET: 10
; COMPUTE_PGM_RSRC3_GFX90A:TG_SPLIT: 0
	.section	.text._ZN4vllm31rms_norm_per_block_quant_kernelIfN3c1015Float8_e4m3fnuzELb1ELb0ELi128EEEvPT0_PfPKT_S8_PKffiiPS6_l,"axG",@progbits,_ZN4vllm31rms_norm_per_block_quant_kernelIfN3c1015Float8_e4m3fnuzELb1ELb0ELi128EEEvPT0_PfPKT_S8_PKffiiPS6_l,comdat
	.protected	_ZN4vllm31rms_norm_per_block_quant_kernelIfN3c1015Float8_e4m3fnuzELb1ELb0ELi128EEEvPT0_PfPKT_S8_PKffiiPS6_l ; -- Begin function _ZN4vllm31rms_norm_per_block_quant_kernelIfN3c1015Float8_e4m3fnuzELb1ELb0ELi128EEEvPT0_PfPKT_S8_PKffiiPS6_l
	.globl	_ZN4vllm31rms_norm_per_block_quant_kernelIfN3c1015Float8_e4m3fnuzELb1ELb0ELi128EEEvPT0_PfPKT_S8_PKffiiPS6_l
	.p2align	8
	.type	_ZN4vllm31rms_norm_per_block_quant_kernelIfN3c1015Float8_e4m3fnuzELb1ELb0ELi128EEEvPT0_PfPKT_S8_PKffiiPS6_l,@function
_ZN4vllm31rms_norm_per_block_quant_kernelIfN3c1015Float8_e4m3fnuzELb1ELb0ELi128EEEvPT0_PfPKT_S8_PKffiiPS6_l: ; @_ZN4vllm31rms_norm_per_block_quant_kernelIfN3c1015Float8_e4m3fnuzELb1ELb0ELi128EEEvPT0_PfPKT_S8_PKffiiPS6_l
; %bb.0:
	s_load_dwordx4 s[16:19], s[4:5], 0x28
	s_load_dwordx8 s[8:15], s[4:5], 0x0
	s_load_dwordx2 s[0:1], s[4:5], 0x38
	v_mov_b32_e32 v1, 0
	s_waitcnt lgkmcnt(0)
	s_ashr_i32 s2, s18, 31
	s_mul_hi_u32 s3, s18, s6
	s_mul_i32 s2, s2, s6
	s_ashr_i32 s21, s17, 31
	s_add_i32 s3, s3, s2
	s_mul_i32 s2, s18, s6
	s_mul_hi_u32 s7, s17, s6
	s_mul_i32 s18, s21, s6
	s_add_i32 s19, s7, s18
	s_lshl_b64 s[2:3], s[2:3], 2
	s_mul_i32 s18, s17, s6
	s_add_u32 s33, s12, s2
	s_addc_u32 s44, s13, s3
	s_lshl_b64 s[2:3], s[18:19], 2
	s_add_u32 s45, s0, s2
	s_addc_u32 s46, s1, s3
	s_ashr_i32 s12, s17, 2
	s_add_u32 s2, s4, 0x48
	s_mov_b32 s20, s17
	v_cmp_gt_u32_e64 s[0:1], s12, v0
	s_addc_u32 s3, s5, 0
	s_and_saveexec_b64 s[22:23], s[0:1]
	s_cbranch_execz .LBB22_10
; %bb.1:
	s_load_dword s7, s[2:3], 0x0
	v_mov_b32_e32 v3, 0
	v_mov_b32_e32 v9, s44
	;; [unrolled: 1-line block ×4, first 2 shown]
	s_waitcnt lgkmcnt(0)
	s_cmp_lt_u32 s6, s7
	s_cselect_b32 s7, 12, 18
	s_add_u32 s24, s2, s7
	s_addc_u32 s25, s3, 0
	global_load_ushort v8, v3, s[24:25]
	s_mov_b64 s[24:25], 0
	v_mov_b32_e32 v1, v3
                                        ; implicit-def: $sgpr26_sgpr27
	s_waitcnt vmcnt(0)
	v_mul_lo_u32 v11, v8, 3
	v_lshlrev_b32_e32 v12, 1, v8
	s_branch .LBB22_5
.LBB22_2:                               ;   in Loop: Header=BB22_5 Depth=1
	s_or_b64 exec, exec, s[34:35]
	s_orn2_b64 s[34:35], s[36:37], exec
.LBB22_3:                               ;   in Loop: Header=BB22_5 Depth=1
	s_or_b64 exec, exec, s[30:31]
	s_andn2_b64 s[26:27], s[26:27], exec
	s_and_b64 s[30:31], s[34:35], exec
	s_or_b64 s[26:27], s[26:27], s[30:31]
.LBB22_4:                               ;   in Loop: Header=BB22_5 Depth=1
	s_or_b64 exec, exec, s[28:29]
	s_and_b64 s[28:29], exec, s[26:27]
	s_or_b64 s[24:25], s[28:29], s[24:25]
	s_andn2_b64 exec, exec, s[24:25]
	s_cbranch_execz .LBB22_9
.LBB22_5:                               ; =>This Inner Loop Header: Depth=1
	v_lshlrev_b64 v[4:5], 4, v[2:3]
	v_add_co_u32_e32 v6, vcc, s33, v4
	v_addc_co_u32_e32 v7, vcc, v9, v5, vcc
	v_add_co_u32_e32 v4, vcc, s45, v4
	v_addc_co_u32_e32 v5, vcc, v10, v5, vcc
	global_load_dwordx4 v[14:17], v[6:7], off
	global_load_dwordx4 v[18:21], v[4:5], off
	v_add_u32_e32 v4, v2, v8
	v_cmp_gt_u32_e32 vcc, s12, v4
	s_or_b64 s[26:27], s[26:27], exec
	s_waitcnt vmcnt(0)
	v_pk_add_f32 v[6:7], v[14:15], v[18:19]
	v_pk_mul_f32 v[6:7], v[6:7], v[6:7]
	v_pk_add_f32 v[14:15], v[16:17], v[20:21]
	v_add_f32_e32 v1, v1, v6
	v_pk_mul_f32 v[14:15], v[14:15], v[14:15]
	v_add_f32_e32 v1, v1, v7
	v_add_f32_e32 v1, v1, v14
	;; [unrolled: 1-line block ×3, first 2 shown]
	s_and_saveexec_b64 s[28:29], vcc
	s_cbranch_execz .LBB22_4
; %bb.6:                                ;   in Loop: Header=BB22_5 Depth=1
	v_mov_b32_e32 v5, v3
	v_lshlrev_b64 v[6:7], 4, v[4:5]
	v_add_co_u32_e32 v22, vcc, s33, v6
	v_addc_co_u32_e32 v23, vcc, v9, v7, vcc
	v_add_co_u32_e32 v6, vcc, s45, v6
	v_addc_co_u32_e32 v7, vcc, v10, v7, vcc
	global_load_dwordx4 v[14:17], v[22:23], off
	global_load_dwordx4 v[18:21], v[6:7], off
	v_add_u32_e32 v6, v12, v2
	v_cmp_gt_u32_e32 vcc, s12, v6
	s_mov_b64 s[34:35], -1
	s_waitcnt vmcnt(0)
	v_pk_add_f32 v[14:15], v[14:15], v[18:19]
	v_pk_mul_f32 v[14:15], v[14:15], v[14:15]
	v_pk_add_f32 v[16:17], v[16:17], v[20:21]
	v_add_f32_e32 v1, v1, v14
	v_pk_mul_f32 v[16:17], v[16:17], v[16:17]
	v_add_f32_e32 v1, v1, v15
	v_add_f32_e32 v1, v1, v16
	;; [unrolled: 1-line block ×3, first 2 shown]
	s_and_saveexec_b64 s[30:31], vcc
	s_cbranch_execz .LBB22_3
; %bb.7:                                ;   in Loop: Header=BB22_5 Depth=1
	v_mov_b32_e32 v7, v3
	v_lshlrev_b64 v[6:7], 4, v[6:7]
	v_add_co_u32_e32 v22, vcc, s33, v6
	v_addc_co_u32_e32 v23, vcc, v9, v7, vcc
	v_add_co_u32_e32 v6, vcc, s45, v6
	v_addc_co_u32_e32 v7, vcc, v10, v7, vcc
	global_load_dwordx4 v[14:17], v[22:23], off
	global_load_dwordx4 v[18:21], v[6:7], off
	v_add_u32_e32 v2, v11, v2
	v_cmp_gt_u32_e32 vcc, s12, v2
	s_mov_b64 s[36:37], -1
	s_waitcnt vmcnt(0)
	v_pk_add_f32 v[6:7], v[14:15], v[18:19]
	v_pk_mul_f32 v[6:7], v[6:7], v[6:7]
	v_pk_add_f32 v[14:15], v[16:17], v[20:21]
	v_add_f32_e32 v1, v1, v6
	v_pk_mul_f32 v[14:15], v[14:15], v[14:15]
	v_add_f32_e32 v1, v1, v7
	v_add_f32_e32 v1, v1, v14
	;; [unrolled: 1-line block ×3, first 2 shown]
	s_and_saveexec_b64 s[34:35], vcc
	s_xor_b64 s[34:35], exec, s[34:35]
	s_cbranch_execz .LBB22_2
; %bb.8:                                ;   in Loop: Header=BB22_5 Depth=1
	v_lshlrev_b64 v[6:7], 4, v[2:3]
	v_mov_b32_e32 v2, s44
	v_add_co_u32_e32 v22, vcc, s33, v6
	v_addc_co_u32_e32 v23, vcc, v2, v7, vcc
	v_mov_b32_e32 v2, s46
	v_add_co_u32_e32 v6, vcc, s45, v6
	v_addc_co_u32_e32 v7, vcc, v2, v7, vcc
	global_load_dwordx4 v[14:17], v[22:23], off
	global_load_dwordx4 v[18:21], v[6:7], off
	v_add_u32_e32 v2, v8, v8
	v_add_u32_e32 v2, v2, v8
	;; [unrolled: 1-line block ×3, first 2 shown]
	v_cmp_le_u32_e32 vcc, s12, v2
	s_orn2_b64 s[36:37], vcc, exec
	s_waitcnt vmcnt(0)
	v_pk_add_f32 v[4:5], v[14:15], v[18:19]
	v_pk_mul_f32 v[4:5], v[4:5], v[4:5]
	v_pk_add_f32 v[6:7], v[16:17], v[20:21]
	v_add_f32_e32 v1, v1, v4
	v_pk_mul_f32 v[6:7], v[6:7], v[6:7]
	v_add_f32_e32 v1, v1, v5
	v_add_f32_e32 v1, v1, v6
	;; [unrolled: 1-line block ×3, first 2 shown]
	s_branch .LBB22_2
.LBB22_9:
	s_or_b64 exec, exec, s[24:25]
.LBB22_10:
	s_or_b64 exec, exec, s[22:23]
	v_mbcnt_lo_u32_b32 v2, -1, 0
	v_mbcnt_hi_u32_b32 v2, -1, v2
	v_and_b32_e32 v3, 63, v2
	v_cmp_ne_u32_e32 vcc, 63, v3
	s_load_dword s2, s[2:3], 0xc
	v_addc_co_u32_e32 v4, vcc, 0, v2, vcc
	v_lshlrev_b32_e32 v4, 2, v4
	ds_bpermute_b32 v4, v4, v1
	s_waitcnt lgkmcnt(0)
	s_and_b32 s47, s2, 0xffff
	v_and_b32_e32 v5, 0x3c0, v0
	v_sub_u32_e64 v5, s47, v5 clamp
	v_add_u32_e32 v6, 1, v2
	v_add_f32_e32 v4, v1, v4
	v_cmp_lt_u32_e32 vcc, v6, v5
	v_cndmask_b32_e32 v1, v1, v4, vcc
	v_cmp_gt_u32_e32 vcc, 62, v3
	v_cndmask_b32_e64 v4, 0, 1, vcc
	v_lshlrev_b32_e32 v4, 1, v4
	v_add_lshl_u32 v4, v4, v2, 2
	ds_bpermute_b32 v4, v4, v1
	v_add_u32_e32 v6, 2, v2
	v_cmp_lt_u32_e32 vcc, v6, v5
	v_add_u32_e32 v6, 4, v2
	s_waitcnt lgkmcnt(0)
	v_add_f32_e32 v4, v1, v4
	v_cndmask_b32_e32 v1, v1, v4, vcc
	v_cmp_gt_u32_e32 vcc, 60, v3
	v_cndmask_b32_e64 v4, 0, 1, vcc
	v_lshlrev_b32_e32 v4, 2, v4
	v_add_lshl_u32 v4, v4, v2, 2
	ds_bpermute_b32 v4, v4, v1
	v_cmp_lt_u32_e32 vcc, v6, v5
	v_add_u32_e32 v6, 8, v2
	s_waitcnt lgkmcnt(0)
	v_add_f32_e32 v4, v1, v4
	v_cndmask_b32_e32 v1, v1, v4, vcc
	v_cmp_gt_u32_e32 vcc, 56, v3
	v_cndmask_b32_e64 v4, 0, 1, vcc
	v_lshlrev_b32_e32 v4, 3, v4
	v_add_lshl_u32 v4, v4, v2, 2
	ds_bpermute_b32 v4, v4, v1
	;; [unrolled: 10-line block ×3, first 2 shown]
	v_cmp_lt_u32_e32 vcc, v6, v5
	s_waitcnt lgkmcnt(0)
	v_add_f32_e32 v4, v1, v4
	v_cndmask_b32_e32 v1, v1, v4, vcc
	v_cmp_gt_u32_e32 vcc, 32, v3
	v_cndmask_b32_e64 v3, 0, 1, vcc
	v_lshlrev_b32_e32 v3, 5, v3
	v_add_lshl_u32 v3, v3, v2, 2
	ds_bpermute_b32 v3, v3, v1
	v_add_u32_e32 v4, 32, v2
	v_cmp_lt_u32_e32 vcc, v4, v5
	s_waitcnt lgkmcnt(0)
	v_add_f32_e32 v3, v1, v3
	v_cndmask_b32_e32 v1, v1, v3, vcc
	v_cmp_eq_u32_e32 vcc, 0, v2
	s_and_saveexec_b64 s[2:3], vcc
	s_cbranch_execz .LBB22_12
; %bb.11:
	v_lshrrev_b32_e32 v3, 4, v0
	v_and_b32_e32 v3, 60, v3
	ds_write_b32 v3, v1 offset:4096
.LBB22_12:
	s_or_b64 exec, exec, s[2:3]
	v_cmp_gt_u32_e32 vcc, 16, v0
	s_waitcnt lgkmcnt(0)
	s_barrier
	s_and_saveexec_b64 s[22:23], vcc
	s_cbranch_execz .LBB22_14
; %bb.13:
	v_lshlrev_b32_e32 v1, 2, v2
	ds_read_b32 v1, v1 offset:4096
	v_and_b32_e32 v3, 15, v2
	v_cmp_ne_u32_e32 vcc, 15, v3
	v_addc_co_u32_e32 v4, vcc, 0, v2, vcc
	v_lshlrev_b32_e32 v4, 2, v4
	s_waitcnt lgkmcnt(0)
	ds_bpermute_b32 v4, v4, v1
	s_add_i32 s2, s47, 63
	s_lshr_b32 s7, s2, 6
	v_add_u32_e32 v5, 1, v3
	v_cmp_gt_u32_e64 s[2:3], 14, v3
	v_cmp_gt_u32_e32 vcc, s7, v5
	v_cndmask_b32_e64 v5, 0, 1, s[2:3]
	s_waitcnt lgkmcnt(0)
	v_add_f32_e32 v4, v1, v4
	v_lshlrev_b32_e32 v5, 1, v5
	v_cndmask_b32_e32 v4, v1, v4, vcc
	v_add_lshl_u32 v5, v5, v2, 2
	ds_bpermute_b32 v5, v5, v4
	v_add_u32_e32 v6, 2, v3
	v_cmp_gt_u32_e64 s[2:3], s7, v6
	v_add_u32_e32 v6, 4, v3
	s_waitcnt lgkmcnt(0)
	v_add_f32_e32 v5, v4, v5
	v_cndmask_b32_e64 v4, v4, v5, s[2:3]
	v_cmp_gt_u32_e64 s[2:3], 12, v3
	v_cndmask_b32_e64 v5, 0, 1, s[2:3]
	v_lshlrev_b32_e32 v5, 2, v5
	v_add_lshl_u32 v5, v5, v2, 2
	ds_bpermute_b32 v5, v5, v4
	v_cmp_gt_u32_e64 s[2:3], s7, v6
	s_waitcnt lgkmcnt(0)
	v_add_f32_e32 v5, v4, v5
	v_cndmask_b32_e64 v4, v4, v5, s[2:3]
	v_cmp_gt_u32_e64 s[2:3], 8, v3
	v_cndmask_b32_e64 v5, 0, 1, s[2:3]
	v_lshlrev_b32_e32 v5, 3, v5
	v_add_lshl_u32 v2, v5, v2, 2
	ds_bpermute_b32 v2, v2, v4
	v_add_u32_e32 v3, 8, v3
	v_cmp_gt_u32_e64 s[2:3], s7, v3
	s_waitcnt lgkmcnt(0)
	v_add_f32_e32 v2, v4, v2
	v_cndmask_b32_e64 v2, v4, v2, s[2:3]
	v_cndmask_b32_e32 v1, v1, v2, vcc
.LBB22_14:
	s_or_b64 exec, exec, s[22:23]
	v_cmp_eq_u32_e32 vcc, 0, v0
	s_and_saveexec_b64 s[2:3], vcc
	s_cbranch_execz .LBB22_16
; %bb.15:
	v_cvt_f32_i32_e32 v2, s20
	s_mov_b32 s7, 0x800000
	v_div_scale_f32 v3, s[22:23], v2, v2, v1
	v_rcp_f32_e32 v4, v3
	v_div_scale_f32 v5, vcc, v1, v2, v1
	v_fma_f32 v6, -v3, v4, 1.0
	v_fmac_f32_e32 v4, v6, v4
	v_mul_f32_e32 v6, v5, v4
	v_fma_f32 v7, -v3, v6, v5
	v_fmac_f32_e32 v6, v7, v4
	v_fma_f32 v3, -v3, v6, v5
	v_div_fmas_f32 v3, v3, v4, v6
	v_div_fixup_f32 v1, v3, v2, v1
	v_add_f32_e32 v1, s16, v1
	v_mul_f32_e32 v2, 0x4b800000, v1
	v_cmp_gt_f32_e32 vcc, s7, v1
	v_cndmask_b32_e32 v1, v1, v2, vcc
	v_rsq_f32_e32 v1, v1
	v_mul_f32_e32 v2, 0x45800000, v1
	v_cndmask_b32_e32 v1, v1, v2, vcc
	v_mov_b32_e32 v2, 0
	ds_write_b32 v2, v1 offset:4160
.LBB22_16:
	s_or_b64 exec, exec, s[2:3]
	s_ashr_i32 s2, s20, 31
	s_lshr_b32 s2, s2, 25
	s_add_i32 s2, s20, s2
	s_ashr_i32 s16, s2, 7
	s_abs_i32 s3, s16
	v_cvt_f32_u32_e32 v1, s3
	s_sub_i32 s7, 0, s3
	s_ashr_i32 s2, s2, 31
	v_mov_b32_e32 v5, 0
	v_rcp_iflag_f32_e32 v1, v1
	s_waitcnt lgkmcnt(0)
	s_barrier
	v_mul_f32_e32 v1, 0x4f7ffffe, v1
	v_cvt_u32_f32_e32 v1, v1
	ds_read_b32 v36, v5 offset:4160
	v_readfirstlane_b32 s13, v1
	s_mul_i32 s7, s7, s13
	s_mul_hi_u32 s7, s13, s7
	s_add_i32 s13, s13, s7
	s_mul_hi_u32 s7, s47, s13
	s_mul_i32 s13, s7, s3
	s_sub_i32 s13, s47, s13
	s_add_i32 s17, s7, 1
	s_sub_i32 s22, s13, s3
	s_cmp_ge_u32 s13, s3
	s_cselect_b32 s7, s17, s7
	s_cselect_b32 s13, s22, s13
	s_add_i32 s17, s7, 1
	s_cmp_ge_u32 s13, s3
	s_cselect_b32 s3, s17, s7
	s_xor_b32 s3, s3, s2
	s_sub_i32 s2, s3, s2
	s_abs_i32 s7, s2
	v_cvt_f32_u32_e32 v1, s7
	s_sub_i32 s13, 0, s7
	s_ashr_i32 s3, s2, 31
	v_rcp_iflag_f32_e32 v1, v1
	v_mul_f32_e32 v1, 0x4f7ffffe, v1
	v_cvt_u32_f32_e32 v1, v1
	v_mul_lo_u32 v2, s13, v1
	v_mul_hi_u32 v2, v1, v2
	v_add_u32_e32 v1, v1, v2
	v_mul_hi_u32 v1, v0, v1
	v_mul_lo_u32 v2, v1, s7
	v_sub_u32_e32 v2, v0, v2
	v_add_u32_e32 v3, 1, v1
	v_cmp_le_u32_e32 vcc, s7, v2
	v_cndmask_b32_e32 v1, v1, v3, vcc
	v_subrev_u32_e32 v3, s7, v2
	v_cndmask_b32_e32 v2, v2, v3, vcc
	v_add_u32_e32 v3, 1, v1
	v_cmp_le_u32_e32 vcc, s7, v2
	v_cndmask_b32_e32 v1, v1, v3, vcc
	v_xor_b32_e32 v1, s3, v1
	v_subrev_u32_e32 v2, s3, v1
	v_mul_lo_u32 v1, v2, s2
	v_ashrrev_i32_e32 v3, 31, v2
	v_sub_u32_e32 v4, v0, v1
	v_lshlrev_b64 v[8:9], 5, v[2:3]
	v_add_co_u32_e32 v6, vcc, v8, v4
	v_addc_co_u32_e32 v7, vcc, 0, v9, vcc
	v_add_co_u32_e32 v8, vcc, 32, v8
	v_addc_co_u32_e32 v9, vcc, 0, v9, vcc
	s_ashr_i32 s13, s12, 31
	v_mov_b32_e32 v1, s13
	v_cmp_gt_i64_e32 vcc, s[12:13], v[8:9]
	v_cndmask_b32_e32 v9, v1, v9, vcc
	v_mov_b32_e32 v1, s12
	v_cndmask_b32_e32 v8, v1, v8, vcc
	v_ashrrev_i32_e32 v11, 31, v8
	v_mov_b32_e32 v10, v8
	v_cmp_lt_i64_e32 vcc, v[6:7], v[10:11]
	s_and_saveexec_b64 s[22:23], vcc
	s_cbranch_execz .LBB22_26
; %bb.17:
	v_lshlrev_b64 v[12:13], 9, v[2:3]
	v_lshlrev_b64 v[14:15], 4, v[4:5]
	v_add_co_u32_e32 v12, vcc, v12, v14
	v_addc_co_u32_e32 v1, vcc, v13, v15, vcc
	s_lshl_b64 s[24:25], s[2:3], 6
	s_mul_hi_i32 s7, s2, 3
	s_mul_i32 s13, s2, 3
	s_lshl_b64 s[26:27], s[2:3], 1
	s_lshl_b64 s[30:31], s[2:3], 4
	s_mov_b64 s[28:29], 0
	v_mov_b32_e32 v5, 0
	v_mov_b32_e32 v13, s44
	v_mov_b32_e32 v24, s15
	v_mov_b32_e32 v25, s46
	v_mov_b32_e32 v26, s3
	v_pk_mov_b32 v[14:15], v[6:7], v[6:7] op_sel:[0,1]
                                        ; implicit-def: $sgpr34_sgpr35
	s_branch .LBB22_21
.LBB22_18:                              ;   in Loop: Header=BB22_21 Depth=1
	s_or_b64 exec, exec, s[40:41]
	s_orn2_b64 s[40:41], s[42:43], exec
.LBB22_19:                              ;   in Loop: Header=BB22_21 Depth=1
	s_or_b64 exec, exec, s[38:39]
	s_andn2_b64 s[34:35], s[34:35], exec
	s_and_b64 s[38:39], s[40:41], exec
	s_or_b64 s[34:35], s[34:35], s[38:39]
.LBB22_20:                              ;   in Loop: Header=BB22_21 Depth=1
	s_or_b64 exec, exec, s[36:37]
	s_and_b64 s[36:37], exec, s[34:35]
	s_or_b64 s[28:29], s[36:37], s[28:29]
	s_andn2_b64 exec, exec, s[28:29]
	s_cbranch_execz .LBB22_25
.LBB22_21:                              ; =>This Inner Loop Header: Depth=1
	v_add_co_u32_e32 v18, vcc, s33, v12
	v_addc_co_u32_e32 v19, vcc, v13, v1, vcc
	v_add_co_u32_e32 v22, vcc, s45, v12
	v_addc_co_u32_e32 v23, vcc, v25, v1, vcc
	global_load_dwordx4 v[28:31], v[18:19], off
	global_load_dwordx4 v[32:35], v[22:23], off
	v_add_co_u32_e32 v20, vcc, s14, v12
	v_addc_co_u32_e32 v21, vcc, v24, v1, vcc
	global_load_dwordx4 v[38:41], v[20:21], off
	v_add_co_u32_e32 v16, vcc, s2, v14
	v_addc_co_u32_e32 v17, vcc, v15, v26, vcc
	v_cmp_lt_i64_e32 vcc, v[16:17], v[10:11]
	s_or_b64 s[34:35], s[34:35], exec
	s_waitcnt vmcnt(1)
	v_add_f32_e32 v27, v28, v32
	v_add_f32_e32 v28, v29, v33
	;; [unrolled: 1-line block ×4, first 2 shown]
	s_waitcnt lgkmcnt(0)
	v_mul_f32_e32 v27, v36, v27
	v_mul_f32_e32 v28, v36, v28
	;; [unrolled: 1-line block ×4, first 2 shown]
	s_waitcnt vmcnt(0)
	v_mul_f32_e32 v27, v38, v27
	v_mul_f32_e32 v28, v39, v28
	;; [unrolled: 1-line block ×4, first 2 shown]
	v_max3_f32 v5, v5, |v27|, |v28|
	v_max3_f32 v5, v5, |v29|, |v30|
	s_and_saveexec_b64 s[36:37], vcc
	s_cbranch_execz .LBB22_20
; %bb.22:                               ;   in Loop: Header=BB22_21 Depth=1
	v_mov_b32_e32 v27, s31
	v_add_co_u32_e32 v18, vcc, s30, v18
	v_addc_co_u32_e32 v19, vcc, v19, v27, vcc
	v_add_co_u32_e32 v22, vcc, s30, v22
	v_addc_co_u32_e32 v23, vcc, v23, v27, vcc
	global_load_dwordx4 v[28:31], v[18:19], off
	global_load_dwordx4 v[32:35], v[22:23], off
	v_add_co_u32_e32 v20, vcc, s30, v20
	v_addc_co_u32_e32 v21, vcc, v21, v27, vcc
	global_load_dwordx4 v[38:41], v[20:21], off
	v_mov_b32_e32 v27, s27
	v_add_co_u32_e32 v42, vcc, s26, v14
	v_addc_co_u32_e32 v43, vcc, v27, v15, vcc
	v_cmp_lt_i64_e32 vcc, v[42:43], v[10:11]
	s_mov_b64 s[40:41], -1
	s_waitcnt vmcnt(1)
	v_add_f32_e32 v27, v28, v32
	v_add_f32_e32 v28, v29, v33
	;; [unrolled: 1-line block ×4, first 2 shown]
	v_mul_f32_e32 v27, v36, v27
	v_mul_f32_e32 v28, v36, v28
	;; [unrolled: 1-line block ×4, first 2 shown]
	s_waitcnt vmcnt(0)
	v_mul_f32_e32 v27, v38, v27
	v_mul_f32_e32 v28, v39, v28
	v_mul_f32_e32 v29, v40, v29
	v_mul_f32_e32 v30, v41, v30
	v_max3_f32 v5, v5, |v27|, |v28|
	v_max3_f32 v5, v5, |v29|, |v30|
	s_and_saveexec_b64 s[38:39], vcc
	s_cbranch_execz .LBB22_19
; %bb.23:                               ;   in Loop: Header=BB22_21 Depth=1
	v_mov_b32_e32 v27, s31
	v_add_co_u32_e32 v18, vcc, s30, v18
	v_addc_co_u32_e32 v19, vcc, v19, v27, vcc
	v_add_co_u32_e32 v22, vcc, s30, v22
	v_addc_co_u32_e32 v23, vcc, v23, v27, vcc
	global_load_dwordx4 v[28:31], v[18:19], off
	global_load_dwordx4 v[32:35], v[22:23], off
	v_add_co_u32_e32 v20, vcc, s30, v20
	v_addc_co_u32_e32 v21, vcc, v21, v27, vcc
	global_load_dwordx4 v[38:41], v[20:21], off
	v_mov_b32_e32 v27, s7
	v_add_co_u32_e32 v14, vcc, s13, v14
	v_addc_co_u32_e32 v15, vcc, v27, v15, vcc
	v_cmp_lt_i64_e32 vcc, v[14:15], v[10:11]
	s_mov_b64 s[42:43], -1
	s_waitcnt vmcnt(1)
	v_add_f32_e32 v14, v28, v32
	v_add_f32_e32 v15, v29, v33
	;; [unrolled: 1-line block ×4, first 2 shown]
	v_mul_f32_e32 v14, v36, v14
	v_mul_f32_e32 v15, v36, v15
	v_mul_f32_e32 v27, v36, v27
	v_mul_f32_e32 v28, v36, v28
	s_waitcnt vmcnt(0)
	v_mul_f32_e32 v14, v38, v14
	v_mul_f32_e32 v15, v39, v15
	;; [unrolled: 1-line block ×4, first 2 shown]
	v_max3_f32 v5, v5, |v14|, |v15|
	v_max3_f32 v5, v5, |v27|, |v28|
                                        ; implicit-def: $vgpr14_vgpr15
	s_and_saveexec_b64 s[40:41], vcc
	s_xor_b64 s[40:41], exec, s[40:41]
	s_cbranch_execz .LBB22_18
; %bb.24:                               ;   in Loop: Header=BB22_21 Depth=1
	v_mov_b32_e32 v27, s31
	v_add_co_u32_e32 v14, vcc, s30, v18
	v_addc_co_u32_e32 v15, vcc, v19, v27, vcc
	global_load_dwordx4 v[28:31], v[14:15], off
	v_add_co_u32_e32 v14, vcc, s30, v22
	v_addc_co_u32_e32 v15, vcc, v23, v27, vcc
	global_load_dwordx4 v[32:35], v[14:15], off
	v_add_co_u32_e32 v14, vcc, s30, v20
	v_addc_co_u32_e32 v15, vcc, v21, v27, vcc
	global_load_dwordx4 v[18:21], v[14:15], off
	s_add_u32 s17, s2, s2
	s_addc_u32 s42, s3, s3
	v_mov_b32_e32 v14, s25
	v_add_co_u32_e32 v12, vcc, s24, v12
	s_add_u32 s17, s17, s2
	v_addc_co_u32_e32 v1, vcc, v1, v14, vcc
	s_addc_u32 s42, s42, s3
	v_mov_b32_e32 v15, s42
	v_add_co_u32_e32 v14, vcc, s17, v16
	v_addc_co_u32_e32 v15, vcc, v15, v17, vcc
	v_cmp_ge_i64_e32 vcc, v[14:15], v[10:11]
	s_orn2_b64 s[42:43], vcc, exec
	s_waitcnt vmcnt(1)
	v_add_f32_e32 v16, v28, v32
	v_add_f32_e32 v17, v29, v33
	;; [unrolled: 1-line block ×4, first 2 shown]
	v_mul_f32_e32 v16, v36, v16
	v_mul_f32_e32 v17, v36, v17
	;; [unrolled: 1-line block ×4, first 2 shown]
	s_waitcnt vmcnt(0)
	v_mul_f32_e32 v16, v18, v16
	v_mul_f32_e32 v17, v19, v17
	v_mul_f32_e32 v18, v20, v22
	v_mul_f32_e32 v19, v21, v23
	v_max3_f32 v5, v5, |v16|, |v17|
	v_max3_f32 v5, v5, |v18|, |v19|
	s_branch .LBB22_18
.LBB22_25:
	s_or_b64 exec, exec, s[28:29]
.LBB22_26:
	s_or_b64 exec, exec, s[22:23]
	s_lshr_b32 s7, s47, 6
	v_cvt_f32_u32_e32 v10, s7
	v_lshlrev_b32_e32 v1, 2, v0
	ds_write_b32 v1, v5
	s_sub_i32 s23, 0, s7
	v_rcp_iflag_f32_e32 v5, v10
	s_add_i32 s13, s16, s7
	s_add_i32 s13, s13, -1
	s_ashr_i32 s22, s13, 31
	v_mul_f32_e32 v5, 0x4f7ffffe, v5
	v_cvt_u32_f32_e32 v5, v5
	s_abs_i32 s13, s13
	s_ashr_i32 s17, s16, 31
	s_waitcnt lgkmcnt(0)
	v_readfirstlane_b32 s24, v5
	s_mul_i32 s23, s23, s24
	s_mul_hi_u32 s23, s24, s23
	s_add_i32 s24, s24, s23
	s_mul_hi_u32 s23, s13, s24
	s_mul_i32 s24, s23, s7
	s_sub_i32 s13, s13, s24
	s_add_i32 s24, s23, 1
	s_sub_i32 s25, s13, s7
	s_cmp_ge_u32 s13, s7
	s_cselect_b32 s23, s24, s23
	s_cselect_b32 s13, s25, s13
	s_add_i32 s24, s23, 1
	s_cmp_ge_u32 s13, s7
	s_cselect_b32 s13, s24, s23
	s_xor_b32 s13, s13, s22
	s_sub_i32 s22, s13, s22
	s_ashr_i32 s23, s22, 31
	v_cmp_lt_i64_e64 s[24:25], s[22:23], 1
	s_and_b64 vcc, exec, s[24:25]
	s_barrier
	s_cbranch_vccnz .LBB22_48
; %bb.27:
	v_and_b32_e32 v12, 63, v0
	v_add_co_u32_e32 v14, vcc, 32, v12
	v_addc_co_u32_e64 v15, s[24:25], 0, 0, vcc
	v_add_co_u32_e32 v16, vcc, 16, v12
	v_addc_co_u32_e64 v17, s[24:25], 0, 0, vcc
	v_add_co_u32_e32 v18, vcc, 8, v12
	v_lshrrev_b32_e32 v10, 6, v0
	v_addc_co_u32_e64 v19, s[24:25], 0, 0, vcc
	v_add_co_u32_e32 v20, vcc, 4, v12
	v_addc_co_u32_e64 v21, s[24:25], 0, 0, vcc
	v_add_co_u32_e32 v22, vcc, 2, v12
	v_mul_lo_u32 v5, s2, v10
	v_addc_co_u32_e64 v23, s[24:25], 0, 0, vcc
	v_add_co_u32_e32 v24, vcc, 1, v12
	v_lshlrev_b32_e32 v5, 2, v5
	v_lshlrev_b32_e32 v26, 2, v12
	s_movk_i32 s13, 0x100
	v_mov_b32_e32 v11, 0
	v_addc_co_u32_e64 v25, s[24:25], 0, 0, vcc
	v_add3_u32 v5, v5, v26, s13
	s_mul_i32 s13, s2, s7
	v_mov_b32_e32 v13, v11
	s_lshl_b32 s13, s13, 2
	s_mov_b64 s[24:25], 0
	v_mov_b32_e32 v37, s7
	s_mov_b64 s[26:27], src_shared_base
	s_branch .LBB22_30
.LBB22_28:                              ;   in Loop: Header=BB22_30 Depth=1
	s_or_b64 exec, exec, s[30:31]
	v_mov_b32_e32 v27, s27
	flat_load_dword v26, v[26:27] glc
	s_waitcnt vmcnt(0)
.LBB22_29:                              ;   in Loop: Header=BB22_30 Depth=1
	s_or_b64 exec, exec, s[28:29]
	s_add_u32 s24, s24, 1
	s_addc_u32 s25, s25, 0
	s_cmp_eq_u64 s[24:25], s[22:23]
	v_add_u32_e32 v5, s13, v5
	s_cbranch_scc1 .LBB22_48
.LBB22_30:                              ; =>This Loop Header: Depth=1
                                        ;     Child Loop BB22_33 Depth 2
	v_mad_u64_u32 v[30:31], s[28:29], s24, v37, v[10:11]
	s_mul_i32 s26, s25, s7
	v_add_u32_e32 v31, s26, v31
	v_cmp_gt_i64_e32 vcc, s[16:17], v[30:31]
	s_and_saveexec_b64 s[28:29], vcc
	s_cbranch_execz .LBB22_29
; %bb.31:                               ;   in Loop: Header=BB22_30 Depth=1
	v_pk_mov_b32 v[32:33], s[2:3], s[2:3] op_sel:[0,1]
	v_mul_lo_u32 v29, v31, s2
	v_mul_lo_u32 v38, v30, s3
	v_mad_u64_u32 v[32:33], s[30:31], v30, s2, v[32:33]
	v_add3_u32 v33, v29, v33, v38
	v_mov_b32_e32 v28, s21
	v_cmp_gt_i64_e32 vcc, s[20:21], v[32:33]
	s_waitcnt lgkmcnt(0)
	v_mad_u64_u32 v[26:27], s[30:31], v30, s2, v[12:13]
	v_cndmask_b32_e32 v33, v28, v33, vcc
	v_mov_b32_e32 v28, s20
	v_add3_u32 v27, v29, v27, v38
	v_cndmask_b32_e32 v32, v28, v32, vcc
	v_add_co_u32_e32 v34, vcc, 64, v26
	v_addc_co_u32_e32 v35, vcc, 0, v27, vcc
	v_cmp_lt_i64_e32 vcc, v[34:35], v[32:33]
	v_lshlrev_b32_e32 v28, 2, v26
	s_and_saveexec_b64 s[30:31], vcc
	s_cbranch_execz .LBB22_34
; %bb.32:                               ;   in Loop: Header=BB22_30 Depth=1
	ds_read_b32 v31, v28
	s_mov_b64 s[34:35], 0
	v_mov_b32_e32 v27, v5
.LBB22_33:                              ;   Parent Loop BB22_30 Depth=1
                                        ; =>  This Inner Loop Header: Depth=2
	ds_read_b32 v39, v27
	v_add_co_u32_e32 v34, vcc, 64, v34
	v_addc_co_u32_e32 v35, vcc, 0, v35, vcc
	s_waitcnt lgkmcnt(1)
	v_max_f32_e32 v31, v31, v31
	v_cmp_ge_i64_e32 vcc, v[34:35], v[32:33]
	s_waitcnt lgkmcnt(0)
	v_max_f32_e32 v39, v39, v39
	v_add_u32_e32 v27, 0x100, v27
	s_or_b64 s[34:35], vcc, s[34:35]
	v_max_f32_e32 v31, v31, v39
	ds_write_b32 v28, v31
	s_andn2_b64 exec, exec, s[34:35]
	s_cbranch_execnz .LBB22_33
.LBB22_34:                              ;   in Loop: Header=BB22_30 Depth=1
	s_or_b64 exec, exec, s[30:31]
	v_mad_u64_u32 v[30:31], s[30:31], v30, s2, 0
	v_add3_u32 v27, v31, v38, v29
	v_sub_co_u32_e32 v30, vcc, v32, v30
	v_subb_co_u32_e32 v31, vcc, v33, v27, vcc
	v_cmp_gt_i64_e32 vcc, 64, v[30:31]
	v_cndmask_b32_e32 v31, 0, v31, vcc
	v_cndmask_b32_e32 v30, 64, v30, vcc
	v_cmp_lt_i64_e32 vcc, v[14:15], v[30:31]
	s_and_saveexec_b64 s[30:31], vcc
	s_cbranch_execnz .LBB22_46
; %bb.35:                               ;   in Loop: Header=BB22_30 Depth=1
	s_or_b64 exec, exec, s[30:31]
	v_cmp_lt_i64_e32 vcc, v[16:17], v[30:31]
	s_and_saveexec_b64 s[30:31], vcc
	s_cbranch_execnz .LBB22_47
.LBB22_36:                              ;   in Loop: Header=BB22_30 Depth=1
	s_or_b64 exec, exec, s[30:31]
	v_cmp_lt_i64_e32 vcc, v[18:19], v[30:31]
	s_and_saveexec_b64 s[30:31], vcc
	s_cbranch_execz .LBB22_38
.LBB22_37:                              ;   in Loop: Header=BB22_30 Depth=1
	v_mov_b32_e32 v29, s27
	v_add_u32_e32 v32, 32, v28
	v_mov_b32_e32 v33, s27
	flat_load_dword v27, v[28:29] glc
	s_waitcnt vmcnt(0)
	flat_load_dword v34, v[32:33] glc
	s_waitcnt vmcnt(0) lgkmcnt(0)
	v_max_f32_e32 v27, v27, v27
	v_max_f32_e32 v32, v34, v34
	;; [unrolled: 1-line block ×3, first 2 shown]
	flat_store_dword v[28:29], v27
	s_waitcnt vmcnt(0)
.LBB22_38:                              ;   in Loop: Header=BB22_30 Depth=1
	s_or_b64 exec, exec, s[30:31]
	v_cmp_ge_i64_e32 vcc, v[20:21], v[30:31]
	s_and_saveexec_b64 s[30:31], vcc
	s_xor_b64 s[30:31], exec, s[30:31]
; %bb.39:                               ;   in Loop: Header=BB22_30 Depth=1
                                        ; implicit-def: $vgpr28
; %bb.40:                               ;   in Loop: Header=BB22_30 Depth=1
	s_andn2_saveexec_b64 s[30:31], s[30:31]
	s_cbranch_execz .LBB22_42
; %bb.41:                               ;   in Loop: Header=BB22_30 Depth=1
	v_mov_b32_e32 v29, s27
	v_add_u32_e32 v32, 16, v28
	v_mov_b32_e32 v33, s27
	flat_load_dword v27, v[28:29] glc
	s_waitcnt vmcnt(0)
	flat_load_dword v34, v[32:33] glc
	s_waitcnt vmcnt(0) lgkmcnt(0)
	v_max_f32_e32 v27, v27, v27
	v_max_f32_e32 v32, v34, v34
	;; [unrolled: 1-line block ×3, first 2 shown]
	flat_store_dword v[28:29], v27
	s_waitcnt vmcnt(0)
.LBB22_42:                              ;   in Loop: Header=BB22_30 Depth=1
	s_or_b64 exec, exec, s[30:31]
	v_cmp_lt_i64_e32 vcc, v[22:23], v[30:31]
	v_lshlrev_b32_e32 v26, 2, v26
	s_and_saveexec_b64 s[30:31], vcc
	s_cbranch_execz .LBB22_44
; %bb.43:                               ;   in Loop: Header=BB22_30 Depth=1
	v_mov_b32_e32 v27, s27
	v_add_u32_e32 v28, 8, v26
	v_mov_b32_e32 v29, s27
	flat_load_dword v32, v[26:27] glc
	s_waitcnt vmcnt(0)
	flat_load_dword v33, v[28:29] glc
	s_waitcnt vmcnt(0) lgkmcnt(0)
	v_max_f32_e32 v28, v32, v32
	v_max_f32_e32 v29, v33, v33
	;; [unrolled: 1-line block ×3, first 2 shown]
	flat_store_dword v[26:27], v28
	s_waitcnt vmcnt(0)
.LBB22_44:                              ;   in Loop: Header=BB22_30 Depth=1
	s_or_b64 exec, exec, s[30:31]
	v_cmp_lt_i64_e32 vcc, v[24:25], v[30:31]
	s_and_saveexec_b64 s[30:31], vcc
	s_cbranch_execz .LBB22_28
; %bb.45:                               ;   in Loop: Header=BB22_30 Depth=1
	v_mov_b32_e32 v27, s27
	v_add_u32_e32 v28, 4, v26
	v_mov_b32_e32 v29, s27
	flat_load_dword v30, v[26:27] glc
	s_waitcnt vmcnt(0)
	flat_load_dword v31, v[28:29] glc
	s_waitcnt vmcnt(0) lgkmcnt(0)
	v_max_f32_e32 v28, v30, v30
	v_max_f32_e32 v29, v31, v31
	;; [unrolled: 1-line block ×3, first 2 shown]
	flat_store_dword v[26:27], v28
	s_waitcnt vmcnt(0)
	s_branch .LBB22_28
.LBB22_46:                              ;   in Loop: Header=BB22_30 Depth=1
	v_mov_b32_e32 v29, s27
	v_add_u32_e32 v32, 0x80, v28
	v_mov_b32_e32 v33, s27
	flat_load_dword v27, v[28:29] glc
	s_waitcnt vmcnt(0)
	flat_load_dword v34, v[32:33] glc
	s_waitcnt vmcnt(0) lgkmcnt(0)
	v_max_f32_e32 v27, v27, v27
	v_max_f32_e32 v32, v34, v34
	v_max_f32_e32 v27, v27, v32
	flat_store_dword v[28:29], v27
	s_waitcnt vmcnt(0)
	s_or_b64 exec, exec, s[30:31]
	v_cmp_lt_i64_e32 vcc, v[16:17], v[30:31]
	s_and_saveexec_b64 s[30:31], vcc
	s_cbranch_execz .LBB22_36
.LBB22_47:                              ;   in Loop: Header=BB22_30 Depth=1
	v_mov_b32_e32 v29, s27
	v_add_u32_e32 v32, 64, v28
	v_mov_b32_e32 v33, s27
	flat_load_dword v27, v[28:29] glc
	s_waitcnt vmcnt(0)
	flat_load_dword v34, v[32:33] glc
	s_waitcnt vmcnt(0) lgkmcnt(0)
	v_max_f32_e32 v27, v27, v27
	v_max_f32_e32 v32, v34, v34
	;; [unrolled: 1-line block ×3, first 2 shown]
	flat_store_dword v[28:29], v27
	s_waitcnt vmcnt(0)
	s_or_b64 exec, exec, s[30:31]
	v_cmp_lt_i64_e32 vcc, v[18:19], v[30:31]
	s_and_saveexec_b64 s[30:31], vcc
	s_cbranch_execnz .LBB22_37
	s_branch .LBB22_38
.LBB22_48:
	v_cmp_eq_u32_e32 vcc, 0, v4
	v_cmp_lt_i64_e64 s[2:3], v[6:7], v[8:9]
	s_and_b64 s[22:23], vcc, s[2:3]
	s_mul_i32 s17, s17, s6
	s_mul_hi_u32 s21, s16, s6
	s_mul_i32 s2, s16, s6
	s_waitcnt lgkmcnt(0)
	s_barrier
	s_and_saveexec_b64 s[6:7], s[22:23]
	s_cbranch_execz .LBB22_52
; %bb.49:
	s_load_dwordx2 s[4:5], s[4:5], 0x20
	ds_read_b32 v1, v1
	s_waitcnt lgkmcnt(0)
	s_cmp_eq_u64 s[4:5], 0
	s_cbranch_scc1 .LBB22_51
; %bb.50:
	s_load_dword s3, s[4:5], 0x0
	v_max_f32_e32 v1, v1, v1
	s_waitcnt lgkmcnt(0)
	v_max_f32_e64 v4, s3, s3
	v_min_f32_e32 v1, v1, v4
.LBB22_51:
	s_mov_b32 s3, 0x43600000
	v_div_scale_f32 v4, s[4:5], s3, s3, v1
	v_rcp_f32_e32 v5, v4
	v_div_scale_f32 v6, vcc, v1, s3, v1
	v_lshlrev_b64 v[2:3], 2, v[2:3]
	v_fma_f32 v7, -v4, v5, 1.0
	v_fmac_f32_e32 v5, v7, v5
	v_mul_f32_e32 v7, v6, v5
	v_fma_f32 v8, -v4, v7, v6
	v_fmac_f32_e32 v7, v8, v5
	v_fma_f32 v4, -v4, v7, v6
	v_div_fmas_f32 v4, v4, v5, v7
	v_div_fixup_f32 v1, v4, s3, v1
	s_add_i32 s3, s21, s17
	s_lshl_b64 s[4:5], s[2:3], 2
	s_add_u32 s3, s10, s4
	s_addc_u32 s4, s11, s5
	v_mov_b32_e32 v4, s4
	v_add_co_u32_e32 v2, vcc, s3, v2
	v_max_f32_e32 v1, 0x37124925, v1
	v_addc_co_u32_e32 v3, vcc, v4, v3, vcc
	global_store_dword v[2:3], v1, off
.LBB22_52:
	s_or_b64 exec, exec, s[6:7]
	s_barrier
	s_and_saveexec_b64 s[4:5], s[0:1]
	s_cbranch_execz .LBB22_189
; %bb.53:
	s_add_u32 s13, s8, s18
	s_addc_u32 s20, s9, s19
	s_add_i32 s3, s21, s17
	s_lshl_b64 s[0:1], s[2:3], 2
	s_add_u32 s0, s10, s0
	s_addc_u32 s1, s11, s1
	s_mul_i32 s21, s47, 3
	s_lshl_b32 s22, s47, 1
	s_mov_b64 s[2:3], 0
	v_mov_b32_e32 v1, 0
	v_mov_b32_e32 v14, s44
	;; [unrolled: 1-line block ×4, first 2 shown]
	s_mov_b32 s23, 0x43800000
	s_mov_b32 s24, 0x3bffffff
	;; [unrolled: 1-line block ×4, first 2 shown]
	s_movk_i32 s27, 0x80
	s_mov_b32 s28, 0x4020c0c
	s_branch .LBB22_59
.LBB22_54:                              ;   in Loop: Header=BB22_59 Depth=1
	s_or_b64 exec, exec, s[18:19]
.LBB22_55:                              ;   in Loop: Header=BB22_59 Depth=1
	s_or_b64 exec, exec, s[10:11]
	v_lshlrev_b64 v[6:7], 2, v[0:1]
	v_mov_b32_e32 v0, s20
	v_add_co_u32_e32 v6, vcc, s13, v6
	v_addc_co_u32_e32 v7, vcc, v0, v7, vcc
	v_lshlrev_b32_e32 v0, 16, v4
	v_perm_b32 v0, v3, v0, s28
	v_lshlrev_b32_e32 v3, 8, v11
	v_and_b32_e32 v3, 0xff00, v3
	v_and_b32_e32 v2, 0xff, v2
	s_add_i32 s10, s47, s47
	v_or3_b32 v0, v0, v3, v2
	s_add_i32 s10, s10, s47
	global_store_dword v[6:7], v0, off
	v_add_u32_e32 v0, s10, v10
	v_cmp_le_u32_e32 vcc, s12, v0
	s_orn2_b64 s[10:11], vcc, exec
.LBB22_56:                              ;   in Loop: Header=BB22_59 Depth=1
	s_or_b64 exec, exec, s[8:9]
	s_orn2_b64 s[8:9], s[10:11], exec
.LBB22_57:                              ;   in Loop: Header=BB22_59 Depth=1
	s_or_b64 exec, exec, s[6:7]
	s_orn2_b64 s[6:7], s[8:9], exec
.LBB22_58:                              ;   in Loop: Header=BB22_59 Depth=1
	s_or_b64 exec, exec, s[4:5]
	s_and_b64 s[4:5], exec, s[6:7]
	s_or_b64 s[2:3], s[4:5], s[2:3]
	s_andn2_b64 exec, exec, s[2:3]
	s_cbranch_execz .LBB22_189
.LBB22_59:                              ; =>This Inner Loop Header: Depth=1
	v_lshlrev_b64 v[2:3], 4, v[0:1]
	v_add_co_u32_e32 v4, vcc, s33, v2
	v_addc_co_u32_e32 v5, vcc, v14, v3, vcc
	v_add_co_u32_e32 v12, vcc, s45, v2
	v_addc_co_u32_e32 v13, vcc, v16, v3, vcc
	global_load_dwordx4 v[6:9], v[4:5], off
	global_load_dwordx4 v[18:21], v[12:13], off
	v_add_co_u32_e32 v2, vcc, s14, v2
	v_addc_co_u32_e32 v3, vcc, v15, v3, vcc
	v_lshrrev_b32_e32 v10, 3, v0
	global_load_dwordx4 v[2:5], v[2:3], off
	v_and_b32_e32 v10, 0x7fffffc, v10
	global_load_dword v11, v10, s[0:1]
	v_mov_b32_e32 v10, 0x80
	s_waitcnt vmcnt(2)
	v_pk_add_f32 v[6:7], v[6:7], v[18:19]
	v_mul_f32_e32 v17, v36, v6
	v_pk_add_f32 v[8:9], v[8:9], v[20:21]
	global_store_dwordx4 v[12:13], v[6:9], off
	s_waitcnt vmcnt(2)
	v_mul_f32_e32 v2, v2, v17
	s_waitcnt vmcnt(1)
	v_div_scale_f32 v17, s[4:5], v11, v11, v2
	v_rcp_f32_e32 v18, v17
	v_div_scale_f32 v6, vcc, v2, v11, v2
	v_fma_f32 v12, -v17, v18, 1.0
	v_fmac_f32_e32 v18, v12, v18
	v_mul_f32_e32 v12, v6, v18
	v_fma_f32 v13, -v17, v12, v6
	v_fmac_f32_e32 v12, v13, v18
	v_fma_f32 v6, -v17, v12, v6
	v_div_fmas_f32 v6, v6, v18, v12
	v_div_fixup_f32 v2, v6, v11, v2
	v_min_f32_e32 v2, 0x43600000, v2
	v_max_f32_e32 v6, 0xc3600000, v2
	v_and_b32_e32 v12, 0x7fffffff, v6
	v_cmp_gt_u32_e32 vcc, s23, v12
	v_mov_b32_e32 v2, 0x80
	s_and_saveexec_b64 s[4:5], vcc
	s_cbranch_execz .LBB22_65
; %bb.60:                               ;   in Loop: Header=BB22_59 Depth=1
	v_cmp_lt_u32_e32 vcc, s24, v12
	s_mov_b64 s[6:7], 0
                                        ; implicit-def: $vgpr12
	s_and_saveexec_b64 s[8:9], vcc
	s_xor_b64 s[8:9], exec, s[8:9]
	s_cbranch_execnz .LBB22_156
; %bb.61:                               ;   in Loop: Header=BB22_59 Depth=1
	s_or_saveexec_b64 s[8:9], s[8:9]
                                        ; implicit-def: $sgpr10
	s_xor_b64 exec, exec, s[8:9]
	s_cbranch_execnz .LBB22_157
.LBB22_62:                              ;   in Loop: Header=BB22_59 Depth=1
	s_or_b64 exec, exec, s[8:9]
	v_mov_b32_e32 v2, s10
	s_and_saveexec_b64 s[8:9], s[6:7]
.LBB22_63:                              ;   in Loop: Header=BB22_59 Depth=1
	v_lshrrev_b32_e32 v2, 24, v6
	v_and_or_b32 v2, v2, s27, v12
.LBB22_64:                              ;   in Loop: Header=BB22_59 Depth=1
	s_or_b64 exec, exec, s[8:9]
.LBB22_65:                              ;   in Loop: Header=BB22_59 Depth=1
	s_or_b64 exec, exec, s[4:5]
	v_mul_f32_e32 v6, v36, v7
	v_mul_f32_e32 v3, v3, v6
	v_div_scale_f32 v6, s[4:5], v11, v11, v3
	v_rcp_f32_e32 v7, v6
	v_div_scale_f32 v12, vcc, v3, v11, v3
	v_fma_f32 v13, -v6, v7, 1.0
	v_fmac_f32_e32 v7, v13, v7
	v_mul_f32_e32 v13, v12, v7
	v_fma_f32 v17, -v6, v13, v12
	v_fmac_f32_e32 v13, v17, v7
	v_fma_f32 v6, -v6, v13, v12
	v_div_fmas_f32 v6, v6, v7, v13
	v_div_fixup_f32 v3, v6, v11, v3
	v_min_f32_e32 v3, 0x43600000, v3
	v_max_f32_e32 v3, 0xc3600000, v3
	v_and_b32_e32 v6, 0x7fffffff, v3
	v_cmp_gt_u32_e32 vcc, s23, v6
	s_and_saveexec_b64 s[4:5], vcc
	s_cbranch_execz .LBB22_71
; %bb.66:                               ;   in Loop: Header=BB22_59 Depth=1
	v_cmp_lt_u32_e32 vcc, s24, v6
	s_mov_b64 s[6:7], 0
                                        ; implicit-def: $vgpr6
	s_and_saveexec_b64 s[8:9], vcc
	s_xor_b64 s[8:9], exec, s[8:9]
	s_cbranch_execnz .LBB22_158
; %bb.67:                               ;   in Loop: Header=BB22_59 Depth=1
	s_or_saveexec_b64 s[8:9], s[8:9]
                                        ; implicit-def: $sgpr10
	s_xor_b64 exec, exec, s[8:9]
	s_cbranch_execnz .LBB22_159
.LBB22_68:                              ;   in Loop: Header=BB22_59 Depth=1
	s_or_b64 exec, exec, s[8:9]
	v_mov_b32_e32 v10, s10
	s_and_saveexec_b64 s[8:9], s[6:7]
.LBB22_69:                              ;   in Loop: Header=BB22_59 Depth=1
	v_lshrrev_b32_e32 v3, 24, v3
	v_and_or_b32 v10, v3, s27, v6
.LBB22_70:                              ;   in Loop: Header=BB22_59 Depth=1
	s_or_b64 exec, exec, s[8:9]
.LBB22_71:                              ;   in Loop: Header=BB22_59 Depth=1
	s_or_b64 exec, exec, s[4:5]
	v_mul_f32_e32 v3, v36, v8
	v_mul_f32_e32 v3, v4, v3
	v_div_scale_f32 v4, s[4:5], v11, v11, v3
	v_rcp_f32_e32 v6, v4
	v_div_scale_f32 v7, vcc, v3, v11, v3
	v_fma_f32 v8, -v4, v6, 1.0
	v_fmac_f32_e32 v6, v8, v6
	v_mul_f32_e32 v8, v7, v6
	v_fma_f32 v12, -v4, v8, v7
	v_fmac_f32_e32 v8, v12, v6
	v_fma_f32 v4, -v4, v8, v7
	v_div_fmas_f32 v4, v4, v6, v8
	v_div_fixup_f32 v3, v4, v11, v3
	v_min_f32_e32 v3, 0x43600000, v3
	v_max_f32_e32 v6, 0xc3600000, v3
	v_and_b32_e32 v7, 0x7fffffff, v6
	v_cmp_gt_u32_e32 vcc, s23, v7
	v_mov_b32_e32 v3, 0x80
	v_mov_b32_e32 v4, 0x80
	s_and_saveexec_b64 s[4:5], vcc
	s_cbranch_execz .LBB22_77
; %bb.72:                               ;   in Loop: Header=BB22_59 Depth=1
	v_cmp_lt_u32_e32 vcc, s24, v7
	s_mov_b64 s[6:7], 0
                                        ; implicit-def: $vgpr7
	s_and_saveexec_b64 s[8:9], vcc
	s_xor_b64 s[8:9], exec, s[8:9]
	s_cbranch_execnz .LBB22_160
; %bb.73:                               ;   in Loop: Header=BB22_59 Depth=1
	s_or_saveexec_b64 s[8:9], s[8:9]
                                        ; implicit-def: $sgpr10
	s_xor_b64 exec, exec, s[8:9]
	s_cbranch_execnz .LBB22_161
.LBB22_74:                              ;   in Loop: Header=BB22_59 Depth=1
	s_or_b64 exec, exec, s[8:9]
	v_mov_b32_e32 v4, s10
	s_and_saveexec_b64 s[8:9], s[6:7]
.LBB22_75:                              ;   in Loop: Header=BB22_59 Depth=1
	v_lshrrev_b32_e32 v4, 24, v6
	v_and_or_b32 v4, v4, s27, v7
.LBB22_76:                              ;   in Loop: Header=BB22_59 Depth=1
	s_or_b64 exec, exec, s[8:9]
.LBB22_77:                              ;   in Loop: Header=BB22_59 Depth=1
	s_or_b64 exec, exec, s[4:5]
	v_mul_f32_e32 v6, v36, v9
	v_mul_f32_e32 v5, v5, v6
	v_div_scale_f32 v6, s[4:5], v11, v11, v5
	v_rcp_f32_e32 v7, v6
	v_div_scale_f32 v8, vcc, v5, v11, v5
	v_fma_f32 v9, -v6, v7, 1.0
	v_fmac_f32_e32 v7, v9, v7
	v_mul_f32_e32 v9, v8, v7
	v_fma_f32 v12, -v6, v9, v8
	v_fmac_f32_e32 v9, v12, v7
	v_fma_f32 v6, -v6, v9, v8
	v_div_fmas_f32 v6, v6, v7, v9
	v_div_fixup_f32 v5, v6, v11, v5
	v_min_f32_e32 v5, 0x43600000, v5
	v_max_f32_e32 v5, 0xc3600000, v5
	v_and_b32_e32 v6, 0x7fffffff, v5
	v_cmp_gt_u32_e32 vcc, s23, v6
	s_and_saveexec_b64 s[4:5], vcc
	s_cbranch_execz .LBB22_83
; %bb.78:                               ;   in Loop: Header=BB22_59 Depth=1
	v_cmp_lt_u32_e32 vcc, s24, v6
	s_mov_b64 s[6:7], 0
                                        ; implicit-def: $vgpr6
	s_and_saveexec_b64 s[8:9], vcc
	s_xor_b64 s[8:9], exec, s[8:9]
	s_cbranch_execnz .LBB22_162
; %bb.79:                               ;   in Loop: Header=BB22_59 Depth=1
	s_or_saveexec_b64 s[8:9], s[8:9]
                                        ; implicit-def: $sgpr10
	s_xor_b64 exec, exec, s[8:9]
	s_cbranch_execnz .LBB22_163
.LBB22_80:                              ;   in Loop: Header=BB22_59 Depth=1
	s_or_b64 exec, exec, s[8:9]
	v_mov_b32_e32 v3, s10
	s_and_saveexec_b64 s[8:9], s[6:7]
.LBB22_81:                              ;   in Loop: Header=BB22_59 Depth=1
	v_lshrrev_b32_e32 v3, 24, v5
	v_and_or_b32 v3, v3, s27, v6
.LBB22_82:                              ;   in Loop: Header=BB22_59 Depth=1
	s_or_b64 exec, exec, s[8:9]
.LBB22_83:                              ;   in Loop: Header=BB22_59 Depth=1
	s_or_b64 exec, exec, s[4:5]
	v_lshlrev_b64 v[6:7], 2, v[0:1]
	v_lshlrev_b32_e32 v4, 16, v4
	v_mov_b32_e32 v5, s20
	v_add_co_u32_e32 v6, vcc, s13, v6
	v_perm_b32 v3, v3, v4, s28
	v_lshlrev_b32_e32 v4, 8, v10
	v_addc_co_u32_e32 v7, vcc, v5, v7, vcc
	v_and_b32_e32 v4, 0xff00, v4
	v_and_b32_e32 v2, 0xff, v2
	v_add_u32_e32 v10, s47, v0
	v_or3_b32 v2, v3, v4, v2
	v_cmp_gt_u32_e32 vcc, s12, v10
	s_mov_b64 s[6:7], -1
	global_store_dword v[6:7], v2, off
	s_and_saveexec_b64 s[4:5], vcc
	s_cbranch_execz .LBB22_58
; %bb.84:                               ;   in Loop: Header=BB22_59 Depth=1
	v_mov_b32_e32 v11, v1
	v_lshlrev_b64 v[2:3], 4, v[10:11]
	v_mov_b32_e32 v5, s44
	v_add_co_u32_e32 v4, vcc, s33, v2
	v_addc_co_u32_e32 v5, vcc, v5, v3, vcc
	v_mov_b32_e32 v6, s46
	v_add_co_u32_e32 v22, vcc, s45, v2
	v_addc_co_u32_e32 v23, vcc, v6, v3, vcc
	v_mov_b32_e32 v12, s15
	global_load_dwordx4 v[6:9], v[4:5], off
	global_load_dwordx4 v[18:21], v[22:23], off
	v_add_co_u32_e32 v2, vcc, s14, v2
	v_addc_co_u32_e32 v3, vcc, v12, v3, vcc
	v_lshrrev_b32_e32 v12, 3, v10
	global_load_dwordx4 v[2:5], v[2:3], off
	v_and_b32_e32 v12, 0x7fffffc, v12
	global_load_dword v13, v12, s[0:1]
	v_mov_b32_e32 v12, 0x80
	s_waitcnt vmcnt(2)
	v_pk_add_f32 v[6:7], v[6:7], v[18:19]
	v_mul_f32_e32 v17, v36, v6
	v_pk_add_f32 v[8:9], v[8:9], v[20:21]
	global_store_dwordx4 v[22:23], v[6:9], off
	s_waitcnt vmcnt(2)
	v_mul_f32_e32 v2, v2, v17
	s_waitcnt vmcnt(1)
	v_div_scale_f32 v17, s[6:7], v13, v13, v2
	v_rcp_f32_e32 v18, v17
	v_div_scale_f32 v6, vcc, v2, v13, v2
	v_fma_f32 v19, -v17, v18, 1.0
	v_fmac_f32_e32 v18, v19, v18
	v_mul_f32_e32 v19, v6, v18
	v_fma_f32 v20, -v17, v19, v6
	v_fmac_f32_e32 v19, v20, v18
	v_fma_f32 v6, -v17, v19, v6
	v_div_fmas_f32 v6, v6, v18, v19
	v_div_fixup_f32 v2, v6, v13, v2
	v_min_f32_e32 v2, 0x43600000, v2
	v_max_f32_e32 v6, 0xc3600000, v2
	v_and_b32_e32 v17, 0x7fffffff, v6
	v_cmp_gt_u32_e32 vcc, s23, v17
	v_mov_b32_e32 v2, 0x80
	s_and_saveexec_b64 s[6:7], vcc
	s_cbranch_execz .LBB22_90
; %bb.85:                               ;   in Loop: Header=BB22_59 Depth=1
	v_cmp_lt_u32_e32 vcc, s24, v17
	s_mov_b64 s[8:9], 0
                                        ; implicit-def: $vgpr17
	s_and_saveexec_b64 s[10:11], vcc
	s_xor_b64 s[10:11], exec, s[10:11]
	s_cbranch_execnz .LBB22_164
; %bb.86:                               ;   in Loop: Header=BB22_59 Depth=1
	s_or_saveexec_b64 s[10:11], s[10:11]
                                        ; implicit-def: $sgpr16
	s_xor_b64 exec, exec, s[10:11]
	s_cbranch_execnz .LBB22_165
.LBB22_87:                              ;   in Loop: Header=BB22_59 Depth=1
	s_or_b64 exec, exec, s[10:11]
	v_mov_b32_e32 v2, s16
	s_and_saveexec_b64 s[10:11], s[8:9]
.LBB22_88:                              ;   in Loop: Header=BB22_59 Depth=1
	v_lshrrev_b32_e32 v2, 24, v6
	v_and_or_b32 v2, v2, s27, v17
.LBB22_89:                              ;   in Loop: Header=BB22_59 Depth=1
	s_or_b64 exec, exec, s[10:11]
.LBB22_90:                              ;   in Loop: Header=BB22_59 Depth=1
	s_or_b64 exec, exec, s[6:7]
	v_mul_f32_e32 v6, v36, v7
	v_mul_f32_e32 v3, v3, v6
	v_div_scale_f32 v6, s[6:7], v13, v13, v3
	v_rcp_f32_e32 v7, v6
	v_div_scale_f32 v17, vcc, v3, v13, v3
	v_fma_f32 v18, -v6, v7, 1.0
	v_fmac_f32_e32 v7, v18, v7
	v_mul_f32_e32 v18, v17, v7
	v_fma_f32 v19, -v6, v18, v17
	v_fmac_f32_e32 v18, v19, v7
	v_fma_f32 v6, -v6, v18, v17
	v_div_fmas_f32 v6, v6, v7, v18
	v_div_fixup_f32 v3, v6, v13, v3
	v_min_f32_e32 v3, 0x43600000, v3
	v_max_f32_e32 v3, 0xc3600000, v3
	v_and_b32_e32 v6, 0x7fffffff, v3
	v_cmp_gt_u32_e32 vcc, s23, v6
	s_and_saveexec_b64 s[6:7], vcc
	s_cbranch_execz .LBB22_96
; %bb.91:                               ;   in Loop: Header=BB22_59 Depth=1
	v_cmp_lt_u32_e32 vcc, s24, v6
	s_mov_b64 s[8:9], 0
                                        ; implicit-def: $vgpr6
	s_and_saveexec_b64 s[10:11], vcc
	s_xor_b64 s[10:11], exec, s[10:11]
	s_cbranch_execnz .LBB22_166
; %bb.92:                               ;   in Loop: Header=BB22_59 Depth=1
	s_or_saveexec_b64 s[10:11], s[10:11]
                                        ; implicit-def: $sgpr16
	s_xor_b64 exec, exec, s[10:11]
	s_cbranch_execnz .LBB22_167
.LBB22_93:                              ;   in Loop: Header=BB22_59 Depth=1
	s_or_b64 exec, exec, s[10:11]
	v_mov_b32_e32 v12, s16
	s_and_saveexec_b64 s[10:11], s[8:9]
.LBB22_94:                              ;   in Loop: Header=BB22_59 Depth=1
	v_lshrrev_b32_e32 v3, 24, v3
	v_and_or_b32 v12, v3, s27, v6
.LBB22_95:                              ;   in Loop: Header=BB22_59 Depth=1
	s_or_b64 exec, exec, s[10:11]
.LBB22_96:                              ;   in Loop: Header=BB22_59 Depth=1
	s_or_b64 exec, exec, s[6:7]
	v_mul_f32_e32 v3, v36, v8
	v_mul_f32_e32 v3, v4, v3
	v_div_scale_f32 v4, s[6:7], v13, v13, v3
	v_rcp_f32_e32 v6, v4
	v_div_scale_f32 v7, vcc, v3, v13, v3
	v_fma_f32 v8, -v4, v6, 1.0
	v_fmac_f32_e32 v6, v8, v6
	v_mul_f32_e32 v8, v7, v6
	v_fma_f32 v17, -v4, v8, v7
	v_fmac_f32_e32 v8, v17, v6
	v_fma_f32 v4, -v4, v8, v7
	v_div_fmas_f32 v4, v4, v6, v8
	v_div_fixup_f32 v3, v4, v13, v3
	v_min_f32_e32 v3, 0x43600000, v3
	v_max_f32_e32 v6, 0xc3600000, v3
	v_and_b32_e32 v7, 0x7fffffff, v6
	v_cmp_gt_u32_e32 vcc, s23, v7
	v_mov_b32_e32 v3, 0x80
	v_mov_b32_e32 v4, 0x80
	s_and_saveexec_b64 s[6:7], vcc
	s_cbranch_execz .LBB22_102
; %bb.97:                               ;   in Loop: Header=BB22_59 Depth=1
	v_cmp_lt_u32_e32 vcc, s24, v7
	s_mov_b64 s[8:9], 0
                                        ; implicit-def: $vgpr7
	s_and_saveexec_b64 s[10:11], vcc
	s_xor_b64 s[10:11], exec, s[10:11]
	s_cbranch_execnz .LBB22_168
; %bb.98:                               ;   in Loop: Header=BB22_59 Depth=1
	s_or_saveexec_b64 s[10:11], s[10:11]
                                        ; implicit-def: $sgpr16
	s_xor_b64 exec, exec, s[10:11]
	s_cbranch_execnz .LBB22_169
.LBB22_99:                              ;   in Loop: Header=BB22_59 Depth=1
	s_or_b64 exec, exec, s[10:11]
	v_mov_b32_e32 v4, s16
	s_and_saveexec_b64 s[10:11], s[8:9]
.LBB22_100:                             ;   in Loop: Header=BB22_59 Depth=1
	v_lshrrev_b32_e32 v4, 24, v6
	v_and_or_b32 v4, v4, s27, v7
.LBB22_101:                             ;   in Loop: Header=BB22_59 Depth=1
	s_or_b64 exec, exec, s[10:11]
.LBB22_102:                             ;   in Loop: Header=BB22_59 Depth=1
	s_or_b64 exec, exec, s[6:7]
	v_mul_f32_e32 v6, v36, v9
	v_mul_f32_e32 v5, v5, v6
	v_div_scale_f32 v6, s[6:7], v13, v13, v5
	v_rcp_f32_e32 v7, v6
	v_div_scale_f32 v8, vcc, v5, v13, v5
	v_fma_f32 v9, -v6, v7, 1.0
	v_fmac_f32_e32 v7, v9, v7
	v_mul_f32_e32 v9, v8, v7
	v_fma_f32 v17, -v6, v9, v8
	v_fmac_f32_e32 v9, v17, v7
	v_fma_f32 v6, -v6, v9, v8
	v_div_fmas_f32 v6, v6, v7, v9
	v_div_fixup_f32 v5, v6, v13, v5
	v_min_f32_e32 v5, 0x43600000, v5
	v_max_f32_e32 v5, 0xc3600000, v5
	v_and_b32_e32 v6, 0x7fffffff, v5
	v_cmp_gt_u32_e32 vcc, s23, v6
	s_and_saveexec_b64 s[6:7], vcc
	s_cbranch_execz .LBB22_108
; %bb.103:                              ;   in Loop: Header=BB22_59 Depth=1
	v_cmp_lt_u32_e32 vcc, s24, v6
	s_mov_b64 s[8:9], 0
                                        ; implicit-def: $vgpr6
	s_and_saveexec_b64 s[10:11], vcc
	s_xor_b64 s[10:11], exec, s[10:11]
	s_cbranch_execnz .LBB22_170
; %bb.104:                              ;   in Loop: Header=BB22_59 Depth=1
	s_or_saveexec_b64 s[10:11], s[10:11]
                                        ; implicit-def: $sgpr16
	s_xor_b64 exec, exec, s[10:11]
	s_cbranch_execnz .LBB22_171
.LBB22_105:                             ;   in Loop: Header=BB22_59 Depth=1
	s_or_b64 exec, exec, s[10:11]
	v_mov_b32_e32 v3, s16
	s_and_saveexec_b64 s[10:11], s[8:9]
.LBB22_106:                             ;   in Loop: Header=BB22_59 Depth=1
	v_lshrrev_b32_e32 v3, 24, v5
	v_and_or_b32 v3, v3, s27, v6
.LBB22_107:                             ;   in Loop: Header=BB22_59 Depth=1
	s_or_b64 exec, exec, s[10:11]
.LBB22_108:                             ;   in Loop: Header=BB22_59 Depth=1
	s_or_b64 exec, exec, s[6:7]
	v_lshlrev_b64 v[6:7], 2, v[10:11]
	v_lshlrev_b32_e32 v4, 16, v4
	v_mov_b32_e32 v5, s20
	v_add_co_u32_e32 v6, vcc, s13, v6
	v_perm_b32 v3, v3, v4, s28
	v_lshlrev_b32_e32 v4, 8, v12
	v_addc_co_u32_e32 v7, vcc, v5, v7, vcc
	v_and_b32_e32 v4, 0xff00, v4
	v_and_b32_e32 v2, 0xff, v2
	v_add_u32_e32 v12, s22, v0
	v_or3_b32 v2, v3, v4, v2
	v_cmp_gt_u32_e32 vcc, s12, v12
	s_mov_b64 s[8:9], -1
	global_store_dword v[6:7], v2, off
	s_and_saveexec_b64 s[6:7], vcc
	s_cbranch_execz .LBB22_57
; %bb.109:                              ;   in Loop: Header=BB22_59 Depth=1
	v_mov_b32_e32 v13, v1
	v_lshlrev_b64 v[2:3], 4, v[12:13]
	v_mov_b32_e32 v5, s44
	v_add_co_u32_e32 v4, vcc, s33, v2
	v_addc_co_u32_e32 v5, vcc, v5, v3, vcc
	v_mov_b32_e32 v6, s46
	v_add_co_u32_e32 v22, vcc, s45, v2
	v_addc_co_u32_e32 v23, vcc, v6, v3, vcc
	v_mov_b32_e32 v11, s15
	global_load_dwordx4 v[6:9], v[4:5], off
	global_load_dwordx4 v[18:21], v[22:23], off
	v_add_co_u32_e32 v2, vcc, s14, v2
	v_addc_co_u32_e32 v3, vcc, v11, v3, vcc
	v_lshrrev_b32_e32 v11, 3, v12
	global_load_dwordx4 v[2:5], v[2:3], off
	v_and_b32_e32 v11, 0x7fffffc, v11
	global_load_dword v17, v11, s[0:1]
	v_mov_b32_e32 v11, 0x80
	s_waitcnt vmcnt(2)
	v_pk_add_f32 v[6:7], v[6:7], v[18:19]
	v_mul_f32_e32 v18, v36, v6
	v_pk_add_f32 v[8:9], v[8:9], v[20:21]
	global_store_dwordx4 v[22:23], v[6:9], off
	s_waitcnt vmcnt(2)
	v_mul_f32_e32 v2, v2, v18
	s_waitcnt vmcnt(1)
	v_div_scale_f32 v18, s[8:9], v17, v17, v2
	v_rcp_f32_e32 v19, v18
	v_div_scale_f32 v6, vcc, v2, v17, v2
	v_fma_f32 v20, -v18, v19, 1.0
	v_fmac_f32_e32 v19, v20, v19
	v_mul_f32_e32 v20, v6, v19
	v_fma_f32 v21, -v18, v20, v6
	v_fmac_f32_e32 v20, v21, v19
	v_fma_f32 v6, -v18, v20, v6
	v_div_fmas_f32 v6, v6, v19, v20
	v_div_fixup_f32 v2, v6, v17, v2
	v_min_f32_e32 v2, 0x43600000, v2
	v_max_f32_e32 v6, 0xc3600000, v2
	v_and_b32_e32 v18, 0x7fffffff, v6
	v_cmp_gt_u32_e32 vcc, s23, v18
	v_mov_b32_e32 v2, 0x80
	s_and_saveexec_b64 s[8:9], vcc
	s_cbranch_execz .LBB22_115
; %bb.110:                              ;   in Loop: Header=BB22_59 Depth=1
	v_cmp_lt_u32_e32 vcc, s24, v18
	s_mov_b64 s[10:11], 0
                                        ; implicit-def: $vgpr18
	s_and_saveexec_b64 s[16:17], vcc
	s_xor_b64 s[16:17], exec, s[16:17]
	s_cbranch_execnz .LBB22_172
; %bb.111:                              ;   in Loop: Header=BB22_59 Depth=1
	s_or_saveexec_b64 s[16:17], s[16:17]
                                        ; implicit-def: $sgpr18
	s_xor_b64 exec, exec, s[16:17]
	s_cbranch_execnz .LBB22_173
.LBB22_112:                             ;   in Loop: Header=BB22_59 Depth=1
	s_or_b64 exec, exec, s[16:17]
	v_mov_b32_e32 v2, s18
	s_and_saveexec_b64 s[16:17], s[10:11]
.LBB22_113:                             ;   in Loop: Header=BB22_59 Depth=1
	v_lshrrev_b32_e32 v2, 24, v6
	v_and_or_b32 v2, v2, s27, v18
.LBB22_114:                             ;   in Loop: Header=BB22_59 Depth=1
	s_or_b64 exec, exec, s[16:17]
.LBB22_115:                             ;   in Loop: Header=BB22_59 Depth=1
	s_or_b64 exec, exec, s[8:9]
	v_mul_f32_e32 v6, v36, v7
	v_mul_f32_e32 v3, v3, v6
	v_div_scale_f32 v6, s[8:9], v17, v17, v3
	v_rcp_f32_e32 v7, v6
	v_div_scale_f32 v18, vcc, v3, v17, v3
	v_fma_f32 v19, -v6, v7, 1.0
	v_fmac_f32_e32 v7, v19, v7
	v_mul_f32_e32 v19, v18, v7
	v_fma_f32 v20, -v6, v19, v18
	v_fmac_f32_e32 v19, v20, v7
	v_fma_f32 v6, -v6, v19, v18
	v_div_fmas_f32 v6, v6, v7, v19
	v_div_fixup_f32 v3, v6, v17, v3
	v_min_f32_e32 v3, 0x43600000, v3
	v_max_f32_e32 v3, 0xc3600000, v3
	v_and_b32_e32 v6, 0x7fffffff, v3
	v_cmp_gt_u32_e32 vcc, s23, v6
	s_and_saveexec_b64 s[8:9], vcc
	s_cbranch_execz .LBB22_121
; %bb.116:                              ;   in Loop: Header=BB22_59 Depth=1
	v_cmp_lt_u32_e32 vcc, s24, v6
	s_mov_b64 s[10:11], 0
                                        ; implicit-def: $vgpr6
	s_and_saveexec_b64 s[16:17], vcc
	s_xor_b64 s[16:17], exec, s[16:17]
	s_cbranch_execnz .LBB22_174
; %bb.117:                              ;   in Loop: Header=BB22_59 Depth=1
	s_or_saveexec_b64 s[16:17], s[16:17]
                                        ; implicit-def: $sgpr18
	s_xor_b64 exec, exec, s[16:17]
	s_cbranch_execnz .LBB22_175
.LBB22_118:                             ;   in Loop: Header=BB22_59 Depth=1
	s_or_b64 exec, exec, s[16:17]
	v_mov_b32_e32 v11, s18
	s_and_saveexec_b64 s[16:17], s[10:11]
.LBB22_119:                             ;   in Loop: Header=BB22_59 Depth=1
	v_lshrrev_b32_e32 v3, 24, v3
	v_and_or_b32 v11, v3, s27, v6
.LBB22_120:                             ;   in Loop: Header=BB22_59 Depth=1
	s_or_b64 exec, exec, s[16:17]
.LBB22_121:                             ;   in Loop: Header=BB22_59 Depth=1
	s_or_b64 exec, exec, s[8:9]
	v_mul_f32_e32 v3, v36, v8
	v_mul_f32_e32 v3, v4, v3
	v_div_scale_f32 v4, s[8:9], v17, v17, v3
	v_rcp_f32_e32 v6, v4
	v_div_scale_f32 v7, vcc, v3, v17, v3
	v_fma_f32 v8, -v4, v6, 1.0
	v_fmac_f32_e32 v6, v8, v6
	v_mul_f32_e32 v8, v7, v6
	v_fma_f32 v18, -v4, v8, v7
	v_fmac_f32_e32 v8, v18, v6
	v_fma_f32 v4, -v4, v8, v7
	v_div_fmas_f32 v4, v4, v6, v8
	v_div_fixup_f32 v3, v4, v17, v3
	v_min_f32_e32 v3, 0x43600000, v3
	v_max_f32_e32 v6, 0xc3600000, v3
	v_and_b32_e32 v7, 0x7fffffff, v6
	v_cmp_gt_u32_e32 vcc, s23, v7
	v_mov_b32_e32 v3, 0x80
	v_mov_b32_e32 v4, 0x80
	s_and_saveexec_b64 s[8:9], vcc
	s_cbranch_execz .LBB22_127
; %bb.122:                              ;   in Loop: Header=BB22_59 Depth=1
	v_cmp_lt_u32_e32 vcc, s24, v7
	s_mov_b64 s[10:11], 0
                                        ; implicit-def: $vgpr7
	s_and_saveexec_b64 s[16:17], vcc
	s_xor_b64 s[16:17], exec, s[16:17]
	s_cbranch_execnz .LBB22_176
; %bb.123:                              ;   in Loop: Header=BB22_59 Depth=1
	s_or_saveexec_b64 s[16:17], s[16:17]
                                        ; implicit-def: $sgpr18
	s_xor_b64 exec, exec, s[16:17]
	s_cbranch_execnz .LBB22_177
.LBB22_124:                             ;   in Loop: Header=BB22_59 Depth=1
	s_or_b64 exec, exec, s[16:17]
	v_mov_b32_e32 v4, s18
	s_and_saveexec_b64 s[16:17], s[10:11]
.LBB22_125:                             ;   in Loop: Header=BB22_59 Depth=1
	v_lshrrev_b32_e32 v4, 24, v6
	v_and_or_b32 v4, v4, s27, v7
.LBB22_126:                             ;   in Loop: Header=BB22_59 Depth=1
	s_or_b64 exec, exec, s[16:17]
.LBB22_127:                             ;   in Loop: Header=BB22_59 Depth=1
	s_or_b64 exec, exec, s[8:9]
	v_mul_f32_e32 v6, v36, v9
	v_mul_f32_e32 v5, v5, v6
	v_div_scale_f32 v6, s[8:9], v17, v17, v5
	v_rcp_f32_e32 v7, v6
	v_div_scale_f32 v8, vcc, v5, v17, v5
	v_fma_f32 v9, -v6, v7, 1.0
	v_fmac_f32_e32 v7, v9, v7
	v_mul_f32_e32 v9, v8, v7
	v_fma_f32 v18, -v6, v9, v8
	v_fmac_f32_e32 v9, v18, v7
	v_fma_f32 v6, -v6, v9, v8
	v_div_fmas_f32 v6, v6, v7, v9
	v_div_fixup_f32 v5, v6, v17, v5
	v_min_f32_e32 v5, 0x43600000, v5
	v_max_f32_e32 v5, 0xc3600000, v5
	v_and_b32_e32 v6, 0x7fffffff, v5
	v_cmp_gt_u32_e32 vcc, s23, v6
	s_and_saveexec_b64 s[8:9], vcc
	s_cbranch_execz .LBB22_133
; %bb.128:                              ;   in Loop: Header=BB22_59 Depth=1
	v_cmp_lt_u32_e32 vcc, s24, v6
	s_mov_b64 s[10:11], 0
                                        ; implicit-def: $vgpr6
	s_and_saveexec_b64 s[16:17], vcc
	s_xor_b64 s[16:17], exec, s[16:17]
	s_cbranch_execnz .LBB22_178
; %bb.129:                              ;   in Loop: Header=BB22_59 Depth=1
	s_or_saveexec_b64 s[16:17], s[16:17]
                                        ; implicit-def: $sgpr18
	s_xor_b64 exec, exec, s[16:17]
	s_cbranch_execnz .LBB22_179
.LBB22_130:                             ;   in Loop: Header=BB22_59 Depth=1
	s_or_b64 exec, exec, s[16:17]
	v_mov_b32_e32 v3, s18
	s_and_saveexec_b64 s[16:17], s[10:11]
.LBB22_131:                             ;   in Loop: Header=BB22_59 Depth=1
	v_lshrrev_b32_e32 v3, 24, v5
	v_and_or_b32 v3, v3, s27, v6
.LBB22_132:                             ;   in Loop: Header=BB22_59 Depth=1
	s_or_b64 exec, exec, s[16:17]
.LBB22_133:                             ;   in Loop: Header=BB22_59 Depth=1
	s_or_b64 exec, exec, s[8:9]
	v_lshlrev_b64 v[6:7], 2, v[12:13]
	v_lshlrev_b32_e32 v4, 16, v4
	v_mov_b32_e32 v5, s20
	v_add_co_u32_e32 v6, vcc, s13, v6
	v_perm_b32 v3, v3, v4, s28
	v_lshlrev_b32_e32 v4, 8, v11
	v_addc_co_u32_e32 v7, vcc, v5, v7, vcc
	v_and_b32_e32 v4, 0xff00, v4
	v_and_b32_e32 v2, 0xff, v2
	v_add_u32_e32 v0, s21, v0
	v_or3_b32 v2, v3, v4, v2
	v_cmp_gt_u32_e32 vcc, s12, v0
	s_mov_b64 s[10:11], -1
	global_store_dword v[6:7], v2, off
	s_and_saveexec_b64 s[8:9], vcc
	s_cbranch_execz .LBB22_56
; %bb.134:                              ;   in Loop: Header=BB22_59 Depth=1
	v_lshlrev_b64 v[2:3], 4, v[0:1]
	v_mov_b32_e32 v5, s44
	v_add_co_u32_e32 v4, vcc, s33, v2
	v_addc_co_u32_e32 v5, vcc, v5, v3, vcc
	v_mov_b32_e32 v6, s46
	v_add_co_u32_e32 v22, vcc, s45, v2
	v_addc_co_u32_e32 v23, vcc, v6, v3, vcc
	v_mov_b32_e32 v11, s15
	global_load_dwordx4 v[6:9], v[4:5], off
	global_load_dwordx4 v[18:21], v[22:23], off
	v_add_co_u32_e32 v2, vcc, s14, v2
	v_addc_co_u32_e32 v3, vcc, v11, v3, vcc
	v_lshrrev_b32_e32 v11, 3, v0
	global_load_dwordx4 v[2:5], v[2:3], off
	v_and_b32_e32 v11, 0x7fffffc, v11
	global_load_dword v12, v11, s[0:1]
	v_mov_b32_e32 v11, 0x80
	s_waitcnt vmcnt(2)
	v_pk_add_f32 v[6:7], v[6:7], v[18:19]
	v_mul_f32_e32 v13, v36, v6
	v_pk_add_f32 v[8:9], v[8:9], v[20:21]
	global_store_dwordx4 v[22:23], v[6:9], off
	s_waitcnt vmcnt(2)
	v_mul_f32_e32 v2, v2, v13
	s_waitcnt vmcnt(1)
	v_div_scale_f32 v13, s[10:11], v12, v12, v2
	v_rcp_f32_e32 v17, v13
	v_div_scale_f32 v6, vcc, v2, v12, v2
	v_fma_f32 v18, -v13, v17, 1.0
	v_fmac_f32_e32 v17, v18, v17
	v_mul_f32_e32 v18, v6, v17
	v_fma_f32 v19, -v13, v18, v6
	v_fmac_f32_e32 v18, v19, v17
	v_fma_f32 v6, -v13, v18, v6
	v_div_fmas_f32 v6, v6, v17, v18
	v_div_fixup_f32 v2, v6, v12, v2
	v_min_f32_e32 v2, 0x43600000, v2
	v_max_f32_e32 v6, 0xc3600000, v2
	v_and_b32_e32 v13, 0x7fffffff, v6
	v_cmp_gt_u32_e32 vcc, s23, v13
	v_mov_b32_e32 v2, 0x80
	s_and_saveexec_b64 s[10:11], vcc
	s_cbranch_execz .LBB22_140
; %bb.135:                              ;   in Loop: Header=BB22_59 Depth=1
	v_cmp_lt_u32_e32 vcc, s24, v13
	s_mov_b64 s[16:17], 0
                                        ; implicit-def: $vgpr13
	s_and_saveexec_b64 s[18:19], vcc
	s_xor_b64 s[18:19], exec, s[18:19]
	s_cbranch_execnz .LBB22_180
; %bb.136:                              ;   in Loop: Header=BB22_59 Depth=1
	s_or_saveexec_b64 s[18:19], s[18:19]
                                        ; implicit-def: $sgpr29
	s_xor_b64 exec, exec, s[18:19]
	s_cbranch_execnz .LBB22_181
.LBB22_137:                             ;   in Loop: Header=BB22_59 Depth=1
	s_or_b64 exec, exec, s[18:19]
	v_mov_b32_e32 v2, s29
	s_and_saveexec_b64 s[18:19], s[16:17]
.LBB22_138:                             ;   in Loop: Header=BB22_59 Depth=1
	v_lshrrev_b32_e32 v2, 24, v6
	v_and_or_b32 v2, v2, s27, v13
.LBB22_139:                             ;   in Loop: Header=BB22_59 Depth=1
	s_or_b64 exec, exec, s[18:19]
.LBB22_140:                             ;   in Loop: Header=BB22_59 Depth=1
	s_or_b64 exec, exec, s[10:11]
	v_mul_f32_e32 v6, v36, v7
	v_mul_f32_e32 v3, v3, v6
	v_div_scale_f32 v6, s[10:11], v12, v12, v3
	v_rcp_f32_e32 v7, v6
	v_div_scale_f32 v13, vcc, v3, v12, v3
	v_fma_f32 v17, -v6, v7, 1.0
	v_fmac_f32_e32 v7, v17, v7
	v_mul_f32_e32 v17, v13, v7
	v_fma_f32 v18, -v6, v17, v13
	v_fmac_f32_e32 v17, v18, v7
	v_fma_f32 v6, -v6, v17, v13
	v_div_fmas_f32 v6, v6, v7, v17
	v_div_fixup_f32 v3, v6, v12, v3
	v_min_f32_e32 v3, 0x43600000, v3
	v_max_f32_e32 v3, 0xc3600000, v3
	v_and_b32_e32 v6, 0x7fffffff, v3
	v_cmp_gt_u32_e32 vcc, s23, v6
	s_and_saveexec_b64 s[10:11], vcc
	s_cbranch_execz .LBB22_146
; %bb.141:                              ;   in Loop: Header=BB22_59 Depth=1
	v_cmp_lt_u32_e32 vcc, s24, v6
	s_mov_b64 s[16:17], 0
                                        ; implicit-def: $vgpr6
	s_and_saveexec_b64 s[18:19], vcc
	s_xor_b64 s[18:19], exec, s[18:19]
	s_cbranch_execnz .LBB22_182
; %bb.142:                              ;   in Loop: Header=BB22_59 Depth=1
	s_or_saveexec_b64 s[18:19], s[18:19]
                                        ; implicit-def: $sgpr29
	s_xor_b64 exec, exec, s[18:19]
	s_cbranch_execnz .LBB22_183
.LBB22_143:                             ;   in Loop: Header=BB22_59 Depth=1
	s_or_b64 exec, exec, s[18:19]
	v_mov_b32_e32 v11, s29
	s_and_saveexec_b64 s[18:19], s[16:17]
.LBB22_144:                             ;   in Loop: Header=BB22_59 Depth=1
	v_lshrrev_b32_e32 v3, 24, v3
	v_and_or_b32 v11, v3, s27, v6
.LBB22_145:                             ;   in Loop: Header=BB22_59 Depth=1
	s_or_b64 exec, exec, s[18:19]
.LBB22_146:                             ;   in Loop: Header=BB22_59 Depth=1
	s_or_b64 exec, exec, s[10:11]
	v_mul_f32_e32 v3, v36, v8
	v_mul_f32_e32 v3, v4, v3
	v_div_scale_f32 v4, s[10:11], v12, v12, v3
	v_rcp_f32_e32 v6, v4
	v_div_scale_f32 v7, vcc, v3, v12, v3
	v_fma_f32 v8, -v4, v6, 1.0
	v_fmac_f32_e32 v6, v8, v6
	v_mul_f32_e32 v8, v7, v6
	v_fma_f32 v13, -v4, v8, v7
	v_fmac_f32_e32 v8, v13, v6
	v_fma_f32 v4, -v4, v8, v7
	v_div_fmas_f32 v4, v4, v6, v8
	v_div_fixup_f32 v3, v4, v12, v3
	v_min_f32_e32 v3, 0x43600000, v3
	v_max_f32_e32 v6, 0xc3600000, v3
	v_and_b32_e32 v7, 0x7fffffff, v6
	v_cmp_gt_u32_e32 vcc, s23, v7
	v_mov_b32_e32 v3, 0x80
	v_mov_b32_e32 v4, 0x80
	s_and_saveexec_b64 s[10:11], vcc
	s_cbranch_execz .LBB22_152
; %bb.147:                              ;   in Loop: Header=BB22_59 Depth=1
	v_cmp_lt_u32_e32 vcc, s24, v7
	s_mov_b64 s[16:17], 0
                                        ; implicit-def: $vgpr7
	s_and_saveexec_b64 s[18:19], vcc
	s_xor_b64 s[18:19], exec, s[18:19]
	s_cbranch_execnz .LBB22_184
; %bb.148:                              ;   in Loop: Header=BB22_59 Depth=1
	s_or_saveexec_b64 s[18:19], s[18:19]
                                        ; implicit-def: $sgpr29
	s_xor_b64 exec, exec, s[18:19]
	s_cbranch_execnz .LBB22_185
.LBB22_149:                             ;   in Loop: Header=BB22_59 Depth=1
	s_or_b64 exec, exec, s[18:19]
	v_mov_b32_e32 v4, s29
	s_and_saveexec_b64 s[18:19], s[16:17]
.LBB22_150:                             ;   in Loop: Header=BB22_59 Depth=1
	v_lshrrev_b32_e32 v4, 24, v6
	v_and_or_b32 v4, v4, s27, v7
.LBB22_151:                             ;   in Loop: Header=BB22_59 Depth=1
	s_or_b64 exec, exec, s[18:19]
.LBB22_152:                             ;   in Loop: Header=BB22_59 Depth=1
	s_or_b64 exec, exec, s[10:11]
	v_mul_f32_e32 v6, v36, v9
	v_mul_f32_e32 v5, v5, v6
	v_div_scale_f32 v6, s[10:11], v12, v12, v5
	v_rcp_f32_e32 v7, v6
	v_div_scale_f32 v8, vcc, v5, v12, v5
	v_fma_f32 v9, -v6, v7, 1.0
	v_fmac_f32_e32 v7, v9, v7
	v_mul_f32_e32 v9, v8, v7
	v_fma_f32 v13, -v6, v9, v8
	v_fmac_f32_e32 v9, v13, v7
	v_fma_f32 v6, -v6, v9, v8
	v_div_fmas_f32 v6, v6, v7, v9
	v_div_fixup_f32 v5, v6, v12, v5
	v_min_f32_e32 v5, 0x43600000, v5
	v_max_f32_e32 v5, 0xc3600000, v5
	v_and_b32_e32 v6, 0x7fffffff, v5
	v_cmp_gt_u32_e32 vcc, s23, v6
	s_and_saveexec_b64 s[10:11], vcc
	s_cbranch_execz .LBB22_55
; %bb.153:                              ;   in Loop: Header=BB22_59 Depth=1
	v_cmp_lt_u32_e32 vcc, s24, v6
	s_mov_b64 s[16:17], 0
                                        ; implicit-def: $vgpr6
	s_and_saveexec_b64 s[18:19], vcc
	s_xor_b64 s[18:19], exec, s[18:19]
	s_cbranch_execnz .LBB22_186
; %bb.154:                              ;   in Loop: Header=BB22_59 Depth=1
	s_or_saveexec_b64 s[18:19], s[18:19]
                                        ; implicit-def: $sgpr29
	s_xor_b64 exec, exec, s[18:19]
	s_cbranch_execnz .LBB22_187
.LBB22_155:                             ;   in Loop: Header=BB22_59 Depth=1
	s_or_b64 exec, exec, s[18:19]
	v_mov_b32_e32 v3, s29
	s_and_saveexec_b64 s[18:19], s[16:17]
	s_cbranch_execz .LBB22_54
	s_branch .LBB22_188
.LBB22_156:                             ;   in Loop: Header=BB22_59 Depth=1
	v_bfe_u32 v2, v6, 20, 1
	v_add3_u32 v2, v6, v2, s25
	s_mov_b64 s[6:7], exec
	v_lshrrev_b32_e32 v12, 20, v2
	s_or_saveexec_b64 s[8:9], s[8:9]
                                        ; implicit-def: $sgpr10
	s_xor_b64 exec, exec, s[8:9]
	s_cbranch_execz .LBB22_62
.LBB22_157:                             ;   in Loop: Header=BB22_59 Depth=1
	v_add_f32_e64 v2, |v6|, s26
	v_and_b32_e32 v12, 0xff, v2
	v_cmp_ne_u32_e32 vcc, 0, v12
	s_andn2_b64 s[6:7], s[6:7], exec
	s_and_b64 s[16:17], vcc, exec
	s_mov_b32 s10, 0
	s_or_b64 s[6:7], s[6:7], s[16:17]
	s_or_b64 exec, exec, s[8:9]
	v_mov_b32_e32 v2, s10
	s_and_saveexec_b64 s[8:9], s[6:7]
	s_cbranch_execnz .LBB22_63
	s_branch .LBB22_64
.LBB22_158:                             ;   in Loop: Header=BB22_59 Depth=1
	v_bfe_u32 v6, v3, 20, 1
	v_add3_u32 v6, v3, v6, s25
	s_mov_b64 s[6:7], exec
	v_lshrrev_b32_e32 v6, 20, v6
	s_or_saveexec_b64 s[8:9], s[8:9]
                                        ; implicit-def: $sgpr10
	s_xor_b64 exec, exec, s[8:9]
	s_cbranch_execz .LBB22_68
.LBB22_159:                             ;   in Loop: Header=BB22_59 Depth=1
	v_add_f32_e64 v6, |v3|, s26
	v_and_b32_e32 v6, 0xff, v6
	v_cmp_ne_u32_e32 vcc, 0, v6
	s_andn2_b64 s[6:7], s[6:7], exec
	s_and_b64 s[16:17], vcc, exec
	s_mov_b32 s10, 0
	s_or_b64 s[6:7], s[6:7], s[16:17]
	s_or_b64 exec, exec, s[8:9]
	v_mov_b32_e32 v10, s10
	s_and_saveexec_b64 s[8:9], s[6:7]
	s_cbranch_execnz .LBB22_69
	s_branch .LBB22_70
.LBB22_160:                             ;   in Loop: Header=BB22_59 Depth=1
	v_bfe_u32 v4, v6, 20, 1
	v_add3_u32 v4, v6, v4, s25
	s_mov_b64 s[6:7], exec
	v_lshrrev_b32_e32 v7, 20, v4
	s_or_saveexec_b64 s[8:9], s[8:9]
                                        ; implicit-def: $sgpr10
	s_xor_b64 exec, exec, s[8:9]
	s_cbranch_execz .LBB22_74
.LBB22_161:                             ;   in Loop: Header=BB22_59 Depth=1
	v_add_f32_e64 v4, |v6|, s26
	v_and_b32_e32 v7, 0xff, v4
	v_cmp_ne_u32_e32 vcc, 0, v7
	s_andn2_b64 s[6:7], s[6:7], exec
	s_and_b64 s[16:17], vcc, exec
	s_mov_b32 s10, 0
	s_or_b64 s[6:7], s[6:7], s[16:17]
	s_or_b64 exec, exec, s[8:9]
	v_mov_b32_e32 v4, s10
	s_and_saveexec_b64 s[8:9], s[6:7]
	s_cbranch_execnz .LBB22_75
	s_branch .LBB22_76
.LBB22_162:                             ;   in Loop: Header=BB22_59 Depth=1
	v_bfe_u32 v3, v5, 20, 1
	v_add3_u32 v3, v5, v3, s25
	s_mov_b64 s[6:7], exec
	v_lshrrev_b32_e32 v6, 20, v3
	s_or_saveexec_b64 s[8:9], s[8:9]
                                        ; implicit-def: $sgpr10
	s_xor_b64 exec, exec, s[8:9]
	s_cbranch_execz .LBB22_80
.LBB22_163:                             ;   in Loop: Header=BB22_59 Depth=1
	v_add_f32_e64 v3, |v5|, s26
	v_and_b32_e32 v6, 0xff, v3
	v_cmp_ne_u32_e32 vcc, 0, v6
	s_andn2_b64 s[6:7], s[6:7], exec
	s_and_b64 s[16:17], vcc, exec
	s_mov_b32 s10, 0
	s_or_b64 s[6:7], s[6:7], s[16:17]
	s_or_b64 exec, exec, s[8:9]
	v_mov_b32_e32 v3, s10
	s_and_saveexec_b64 s[8:9], s[6:7]
	s_cbranch_execnz .LBB22_81
	s_branch .LBB22_82
.LBB22_164:                             ;   in Loop: Header=BB22_59 Depth=1
	v_bfe_u32 v2, v6, 20, 1
	v_add3_u32 v2, v6, v2, s25
	s_mov_b64 s[8:9], exec
	v_lshrrev_b32_e32 v17, 20, v2
	s_or_saveexec_b64 s[10:11], s[10:11]
                                        ; implicit-def: $sgpr16
	s_xor_b64 exec, exec, s[10:11]
	s_cbranch_execz .LBB22_87
.LBB22_165:                             ;   in Loop: Header=BB22_59 Depth=1
	v_add_f32_e64 v2, |v6|, s26
	v_and_b32_e32 v17, 0xff, v2
	v_cmp_ne_u32_e32 vcc, 0, v17
	s_andn2_b64 s[8:9], s[8:9], exec
	s_and_b64 s[18:19], vcc, exec
	s_mov_b32 s16, 0
	s_or_b64 s[8:9], s[8:9], s[18:19]
	s_or_b64 exec, exec, s[10:11]
	v_mov_b32_e32 v2, s16
	s_and_saveexec_b64 s[10:11], s[8:9]
	s_cbranch_execnz .LBB22_88
	s_branch .LBB22_89
.LBB22_166:                             ;   in Loop: Header=BB22_59 Depth=1
	v_bfe_u32 v6, v3, 20, 1
	v_add3_u32 v6, v3, v6, s25
	s_mov_b64 s[8:9], exec
	v_lshrrev_b32_e32 v6, 20, v6
	s_or_saveexec_b64 s[10:11], s[10:11]
                                        ; implicit-def: $sgpr16
	s_xor_b64 exec, exec, s[10:11]
	s_cbranch_execz .LBB22_93
.LBB22_167:                             ;   in Loop: Header=BB22_59 Depth=1
	v_add_f32_e64 v6, |v3|, s26
	v_and_b32_e32 v6, 0xff, v6
	v_cmp_ne_u32_e32 vcc, 0, v6
	s_andn2_b64 s[8:9], s[8:9], exec
	s_and_b64 s[18:19], vcc, exec
	s_mov_b32 s16, 0
	s_or_b64 s[8:9], s[8:9], s[18:19]
	s_or_b64 exec, exec, s[10:11]
	v_mov_b32_e32 v12, s16
	s_and_saveexec_b64 s[10:11], s[8:9]
	s_cbranch_execnz .LBB22_94
	s_branch .LBB22_95
.LBB22_168:                             ;   in Loop: Header=BB22_59 Depth=1
	v_bfe_u32 v4, v6, 20, 1
	v_add3_u32 v4, v6, v4, s25
	s_mov_b64 s[8:9], exec
	v_lshrrev_b32_e32 v7, 20, v4
	s_or_saveexec_b64 s[10:11], s[10:11]
                                        ; implicit-def: $sgpr16
	s_xor_b64 exec, exec, s[10:11]
	s_cbranch_execz .LBB22_99
.LBB22_169:                             ;   in Loop: Header=BB22_59 Depth=1
	v_add_f32_e64 v4, |v6|, s26
	v_and_b32_e32 v7, 0xff, v4
	v_cmp_ne_u32_e32 vcc, 0, v7
	s_andn2_b64 s[8:9], s[8:9], exec
	s_and_b64 s[18:19], vcc, exec
	s_mov_b32 s16, 0
	s_or_b64 s[8:9], s[8:9], s[18:19]
	s_or_b64 exec, exec, s[10:11]
	v_mov_b32_e32 v4, s16
	s_and_saveexec_b64 s[10:11], s[8:9]
	s_cbranch_execnz .LBB22_100
	s_branch .LBB22_101
.LBB22_170:                             ;   in Loop: Header=BB22_59 Depth=1
	v_bfe_u32 v3, v5, 20, 1
	v_add3_u32 v3, v5, v3, s25
	s_mov_b64 s[8:9], exec
	v_lshrrev_b32_e32 v6, 20, v3
	s_or_saveexec_b64 s[10:11], s[10:11]
                                        ; implicit-def: $sgpr16
	s_xor_b64 exec, exec, s[10:11]
	s_cbranch_execz .LBB22_105
.LBB22_171:                             ;   in Loop: Header=BB22_59 Depth=1
	v_add_f32_e64 v3, |v5|, s26
	v_and_b32_e32 v6, 0xff, v3
	v_cmp_ne_u32_e32 vcc, 0, v6
	s_andn2_b64 s[8:9], s[8:9], exec
	s_and_b64 s[18:19], vcc, exec
	s_mov_b32 s16, 0
	s_or_b64 s[8:9], s[8:9], s[18:19]
	s_or_b64 exec, exec, s[10:11]
	v_mov_b32_e32 v3, s16
	s_and_saveexec_b64 s[10:11], s[8:9]
	s_cbranch_execnz .LBB22_106
	s_branch .LBB22_107
.LBB22_172:                             ;   in Loop: Header=BB22_59 Depth=1
	v_bfe_u32 v2, v6, 20, 1
	v_add3_u32 v2, v6, v2, s25
	s_mov_b64 s[10:11], exec
	v_lshrrev_b32_e32 v18, 20, v2
	s_or_saveexec_b64 s[16:17], s[16:17]
                                        ; implicit-def: $sgpr18
	s_xor_b64 exec, exec, s[16:17]
	s_cbranch_execz .LBB22_112
.LBB22_173:                             ;   in Loop: Header=BB22_59 Depth=1
	v_add_f32_e64 v2, |v6|, s26
	v_and_b32_e32 v18, 0xff, v2
	v_cmp_ne_u32_e32 vcc, 0, v18
	s_andn2_b64 s[10:11], s[10:11], exec
	s_and_b64 s[30:31], vcc, exec
	s_mov_b32 s18, 0
	s_or_b64 s[10:11], s[10:11], s[30:31]
	s_or_b64 exec, exec, s[16:17]
	v_mov_b32_e32 v2, s18
	s_and_saveexec_b64 s[16:17], s[10:11]
	s_cbranch_execnz .LBB22_113
	s_branch .LBB22_114
.LBB22_174:                             ;   in Loop: Header=BB22_59 Depth=1
	v_bfe_u32 v6, v3, 20, 1
	v_add3_u32 v6, v3, v6, s25
	s_mov_b64 s[10:11], exec
	v_lshrrev_b32_e32 v6, 20, v6
	s_or_saveexec_b64 s[16:17], s[16:17]
                                        ; implicit-def: $sgpr18
	s_xor_b64 exec, exec, s[16:17]
	s_cbranch_execz .LBB22_118
.LBB22_175:                             ;   in Loop: Header=BB22_59 Depth=1
	v_add_f32_e64 v6, |v3|, s26
	v_and_b32_e32 v6, 0xff, v6
	v_cmp_ne_u32_e32 vcc, 0, v6
	s_andn2_b64 s[10:11], s[10:11], exec
	s_and_b64 s[30:31], vcc, exec
	s_mov_b32 s18, 0
	s_or_b64 s[10:11], s[10:11], s[30:31]
	s_or_b64 exec, exec, s[16:17]
	v_mov_b32_e32 v11, s18
	s_and_saveexec_b64 s[16:17], s[10:11]
	s_cbranch_execnz .LBB22_119
	s_branch .LBB22_120
.LBB22_176:                             ;   in Loop: Header=BB22_59 Depth=1
	v_bfe_u32 v4, v6, 20, 1
	v_add3_u32 v4, v6, v4, s25
	s_mov_b64 s[10:11], exec
	v_lshrrev_b32_e32 v7, 20, v4
	s_or_saveexec_b64 s[16:17], s[16:17]
                                        ; implicit-def: $sgpr18
	s_xor_b64 exec, exec, s[16:17]
	s_cbranch_execz .LBB22_124
.LBB22_177:                             ;   in Loop: Header=BB22_59 Depth=1
	v_add_f32_e64 v4, |v6|, s26
	v_and_b32_e32 v7, 0xff, v4
	v_cmp_ne_u32_e32 vcc, 0, v7
	s_andn2_b64 s[10:11], s[10:11], exec
	s_and_b64 s[30:31], vcc, exec
	s_mov_b32 s18, 0
	s_or_b64 s[10:11], s[10:11], s[30:31]
	s_or_b64 exec, exec, s[16:17]
	v_mov_b32_e32 v4, s18
	s_and_saveexec_b64 s[16:17], s[10:11]
	s_cbranch_execnz .LBB22_125
	s_branch .LBB22_126
.LBB22_178:                             ;   in Loop: Header=BB22_59 Depth=1
	v_bfe_u32 v3, v5, 20, 1
	v_add3_u32 v3, v5, v3, s25
	s_mov_b64 s[10:11], exec
	v_lshrrev_b32_e32 v6, 20, v3
	s_or_saveexec_b64 s[16:17], s[16:17]
                                        ; implicit-def: $sgpr18
	s_xor_b64 exec, exec, s[16:17]
	s_cbranch_execz .LBB22_130
.LBB22_179:                             ;   in Loop: Header=BB22_59 Depth=1
	v_add_f32_e64 v3, |v5|, s26
	v_and_b32_e32 v6, 0xff, v3
	v_cmp_ne_u32_e32 vcc, 0, v6
	s_andn2_b64 s[10:11], s[10:11], exec
	s_and_b64 s[30:31], vcc, exec
	s_mov_b32 s18, 0
	s_or_b64 s[10:11], s[10:11], s[30:31]
	s_or_b64 exec, exec, s[16:17]
	v_mov_b32_e32 v3, s18
	s_and_saveexec_b64 s[16:17], s[10:11]
	s_cbranch_execnz .LBB22_131
	s_branch .LBB22_132
.LBB22_180:                             ;   in Loop: Header=BB22_59 Depth=1
	v_bfe_u32 v2, v6, 20, 1
	v_add3_u32 v2, v6, v2, s25
	s_mov_b64 s[16:17], exec
	v_lshrrev_b32_e32 v13, 20, v2
	s_or_saveexec_b64 s[18:19], s[18:19]
                                        ; implicit-def: $sgpr29
	s_xor_b64 exec, exec, s[18:19]
	s_cbranch_execz .LBB22_137
.LBB22_181:                             ;   in Loop: Header=BB22_59 Depth=1
	v_add_f32_e64 v2, |v6|, s26
	v_and_b32_e32 v13, 0xff, v2
	v_cmp_ne_u32_e32 vcc, 0, v13
	s_andn2_b64 s[16:17], s[16:17], exec
	s_and_b64 s[30:31], vcc, exec
	s_mov_b32 s29, 0
	s_or_b64 s[16:17], s[16:17], s[30:31]
	s_or_b64 exec, exec, s[18:19]
	v_mov_b32_e32 v2, s29
	s_and_saveexec_b64 s[18:19], s[16:17]
	s_cbranch_execnz .LBB22_138
	s_branch .LBB22_139
.LBB22_182:                             ;   in Loop: Header=BB22_59 Depth=1
	v_bfe_u32 v6, v3, 20, 1
	v_add3_u32 v6, v3, v6, s25
	s_mov_b64 s[16:17], exec
	v_lshrrev_b32_e32 v6, 20, v6
	s_or_saveexec_b64 s[18:19], s[18:19]
                                        ; implicit-def: $sgpr29
	s_xor_b64 exec, exec, s[18:19]
	s_cbranch_execz .LBB22_143
.LBB22_183:                             ;   in Loop: Header=BB22_59 Depth=1
	v_add_f32_e64 v6, |v3|, s26
	v_and_b32_e32 v6, 0xff, v6
	v_cmp_ne_u32_e32 vcc, 0, v6
	s_andn2_b64 s[16:17], s[16:17], exec
	s_and_b64 s[30:31], vcc, exec
	s_mov_b32 s29, 0
	s_or_b64 s[16:17], s[16:17], s[30:31]
	s_or_b64 exec, exec, s[18:19]
	v_mov_b32_e32 v11, s29
	s_and_saveexec_b64 s[18:19], s[16:17]
	s_cbranch_execnz .LBB22_144
	s_branch .LBB22_145
.LBB22_184:                             ;   in Loop: Header=BB22_59 Depth=1
	v_bfe_u32 v4, v6, 20, 1
	v_add3_u32 v4, v6, v4, s25
	s_mov_b64 s[16:17], exec
	v_lshrrev_b32_e32 v7, 20, v4
	s_or_saveexec_b64 s[18:19], s[18:19]
                                        ; implicit-def: $sgpr29
	s_xor_b64 exec, exec, s[18:19]
	s_cbranch_execz .LBB22_149
.LBB22_185:                             ;   in Loop: Header=BB22_59 Depth=1
	v_add_f32_e64 v4, |v6|, s26
	v_and_b32_e32 v7, 0xff, v4
	v_cmp_ne_u32_e32 vcc, 0, v7
	s_andn2_b64 s[16:17], s[16:17], exec
	s_and_b64 s[30:31], vcc, exec
	s_mov_b32 s29, 0
	s_or_b64 s[16:17], s[16:17], s[30:31]
	s_or_b64 exec, exec, s[18:19]
	v_mov_b32_e32 v4, s29
	s_and_saveexec_b64 s[18:19], s[16:17]
	s_cbranch_execnz .LBB22_150
	s_branch .LBB22_151
.LBB22_186:                             ;   in Loop: Header=BB22_59 Depth=1
	v_bfe_u32 v3, v5, 20, 1
	v_add3_u32 v3, v5, v3, s25
	s_mov_b64 s[16:17], exec
	v_lshrrev_b32_e32 v6, 20, v3
	s_or_saveexec_b64 s[18:19], s[18:19]
                                        ; implicit-def: $sgpr29
	s_xor_b64 exec, exec, s[18:19]
	s_cbranch_execz .LBB22_155
.LBB22_187:                             ;   in Loop: Header=BB22_59 Depth=1
	v_add_f32_e64 v3, |v5|, s26
	v_and_b32_e32 v6, 0xff, v3
	v_cmp_ne_u32_e32 vcc, 0, v6
	s_andn2_b64 s[16:17], s[16:17], exec
	s_and_b64 s[30:31], vcc, exec
	s_mov_b32 s29, 0
	s_or_b64 s[16:17], s[16:17], s[30:31]
	s_or_b64 exec, exec, s[18:19]
	v_mov_b32_e32 v3, s29
	s_and_saveexec_b64 s[18:19], s[16:17]
	s_cbranch_execz .LBB22_54
.LBB22_188:                             ;   in Loop: Header=BB22_59 Depth=1
	v_lshrrev_b32_e32 v3, 24, v5
	v_and_or_b32 v3, v3, s27, v6
	s_branch .LBB22_54
.LBB22_189:
	s_endpgm
	.section	.rodata,"a",@progbits
	.p2align	6, 0x0
	.amdhsa_kernel _ZN4vllm31rms_norm_per_block_quant_kernelIfN3c1015Float8_e4m3fnuzELb1ELb0ELi128EEEvPT0_PfPKT_S8_PKffiiPS6_l
		.amdhsa_group_segment_fixed_size 4164
		.amdhsa_private_segment_fixed_size 0
		.amdhsa_kernarg_size 328
		.amdhsa_user_sgpr_count 6
		.amdhsa_user_sgpr_private_segment_buffer 1
		.amdhsa_user_sgpr_dispatch_ptr 0
		.amdhsa_user_sgpr_queue_ptr 0
		.amdhsa_user_sgpr_kernarg_segment_ptr 1
		.amdhsa_user_sgpr_dispatch_id 0
		.amdhsa_user_sgpr_flat_scratch_init 0
		.amdhsa_user_sgpr_kernarg_preload_length 0
		.amdhsa_user_sgpr_kernarg_preload_offset 0
		.amdhsa_user_sgpr_private_segment_size 0
		.amdhsa_uses_dynamic_stack 0
		.amdhsa_system_sgpr_private_segment_wavefront_offset 0
		.amdhsa_system_sgpr_workgroup_id_x 1
		.amdhsa_system_sgpr_workgroup_id_y 0
		.amdhsa_system_sgpr_workgroup_id_z 0
		.amdhsa_system_sgpr_workgroup_info 0
		.amdhsa_system_vgpr_workitem_id 0
		.amdhsa_next_free_vgpr 44
		.amdhsa_next_free_sgpr 48
		.amdhsa_accum_offset 44
		.amdhsa_reserve_vcc 1
		.amdhsa_reserve_flat_scratch 0
		.amdhsa_float_round_mode_32 0
		.amdhsa_float_round_mode_16_64 0
		.amdhsa_float_denorm_mode_32 3
		.amdhsa_float_denorm_mode_16_64 3
		.amdhsa_dx10_clamp 1
		.amdhsa_ieee_mode 1
		.amdhsa_fp16_overflow 0
		.amdhsa_tg_split 0
		.amdhsa_exception_fp_ieee_invalid_op 0
		.amdhsa_exception_fp_denorm_src 0
		.amdhsa_exception_fp_ieee_div_zero 0
		.amdhsa_exception_fp_ieee_overflow 0
		.amdhsa_exception_fp_ieee_underflow 0
		.amdhsa_exception_fp_ieee_inexact 0
		.amdhsa_exception_int_div_zero 0
	.end_amdhsa_kernel
	.section	.text._ZN4vllm31rms_norm_per_block_quant_kernelIfN3c1015Float8_e4m3fnuzELb1ELb0ELi128EEEvPT0_PfPKT_S8_PKffiiPS6_l,"axG",@progbits,_ZN4vllm31rms_norm_per_block_quant_kernelIfN3c1015Float8_e4m3fnuzELb1ELb0ELi128EEEvPT0_PfPKT_S8_PKffiiPS6_l,comdat
.Lfunc_end22:
	.size	_ZN4vllm31rms_norm_per_block_quant_kernelIfN3c1015Float8_e4m3fnuzELb1ELb0ELi128EEEvPT0_PfPKT_S8_PKffiiPS6_l, .Lfunc_end22-_ZN4vllm31rms_norm_per_block_quant_kernelIfN3c1015Float8_e4m3fnuzELb1ELb0ELi128EEEvPT0_PfPKT_S8_PKffiiPS6_l
                                        ; -- End function
	.section	.AMDGPU.csdata,"",@progbits
; Kernel info:
; codeLenInByte = 9476
; NumSgprs: 52
; NumVgprs: 44
; NumAgprs: 0
; TotalNumVgprs: 44
; ScratchSize: 0
; MemoryBound: 0
; FloatMode: 240
; IeeeMode: 1
; LDSByteSize: 4164 bytes/workgroup (compile time only)
; SGPRBlocks: 6
; VGPRBlocks: 5
; NumSGPRsForWavesPerEU: 52
; NumVGPRsForWavesPerEU: 44
; AccumOffset: 44
; Occupancy: 8
; WaveLimiterHint : 0
; COMPUTE_PGM_RSRC2:SCRATCH_EN: 0
; COMPUTE_PGM_RSRC2:USER_SGPR: 6
; COMPUTE_PGM_RSRC2:TRAP_HANDLER: 0
; COMPUTE_PGM_RSRC2:TGID_X_EN: 1
; COMPUTE_PGM_RSRC2:TGID_Y_EN: 0
; COMPUTE_PGM_RSRC2:TGID_Z_EN: 0
; COMPUTE_PGM_RSRC2:TIDIG_COMP_CNT: 0
; COMPUTE_PGM_RSRC3_GFX90A:ACCUM_OFFSET: 10
; COMPUTE_PGM_RSRC3_GFX90A:TG_SPLIT: 0
	.section	.text._ZN4vllm31rms_norm_per_block_quant_kernelIfaLb1ELb0ELi128EEEvPT0_PfPKT_S6_PKffiiPS4_l,"axG",@progbits,_ZN4vllm31rms_norm_per_block_quant_kernelIfaLb1ELb0ELi128EEEvPT0_PfPKT_S6_PKffiiPS4_l,comdat
	.protected	_ZN4vllm31rms_norm_per_block_quant_kernelIfaLb1ELb0ELi128EEEvPT0_PfPKT_S6_PKffiiPS4_l ; -- Begin function _ZN4vllm31rms_norm_per_block_quant_kernelIfaLb1ELb0ELi128EEEvPT0_PfPKT_S6_PKffiiPS4_l
	.globl	_ZN4vllm31rms_norm_per_block_quant_kernelIfaLb1ELb0ELi128EEEvPT0_PfPKT_S6_PKffiiPS4_l
	.p2align	8
	.type	_ZN4vllm31rms_norm_per_block_quant_kernelIfaLb1ELb0ELi128EEEvPT0_PfPKT_S6_PKffiiPS4_l,@function
_ZN4vllm31rms_norm_per_block_quant_kernelIfaLb1ELb0ELi128EEEvPT0_PfPKT_S6_PKffiiPS4_l: ; @_ZN4vllm31rms_norm_per_block_quant_kernelIfaLb1ELb0ELi128EEEvPT0_PfPKT_S6_PKffiiPS4_l
; %bb.0:
	s_load_dwordx4 s[16:19], s[4:5], 0x28
	s_load_dwordx8 s[8:15], s[4:5], 0x0
	s_load_dwordx2 s[0:1], s[4:5], 0x38
	v_mov_b32_e32 v1, 0
	s_waitcnt lgkmcnt(0)
	s_ashr_i32 s2, s18, 31
	s_mul_hi_u32 s3, s18, s6
	s_mul_i32 s2, s2, s6
	s_ashr_i32 s21, s17, 31
	s_add_i32 s3, s3, s2
	s_mul_i32 s2, s18, s6
	s_mul_hi_u32 s7, s17, s6
	s_mul_i32 s18, s21, s6
	s_add_i32 s19, s7, s18
	s_lshl_b64 s[2:3], s[2:3], 2
	s_mul_i32 s18, s17, s6
	s_add_u32 s33, s12, s2
	s_addc_u32 s44, s13, s3
	s_lshl_b64 s[2:3], s[18:19], 2
	s_add_u32 s45, s0, s2
	s_addc_u32 s46, s1, s3
	s_ashr_i32 s12, s17, 2
	s_add_u32 s2, s4, 0x48
	s_mov_b32 s20, s17
	v_cmp_gt_u32_e64 s[0:1], s12, v0
	s_addc_u32 s3, s5, 0
	s_and_saveexec_b64 s[22:23], s[0:1]
	s_cbranch_execz .LBB23_10
; %bb.1:
	s_load_dword s7, s[2:3], 0x0
	v_mov_b32_e32 v3, 0
	v_mov_b32_e32 v9, s44
	;; [unrolled: 1-line block ×4, first 2 shown]
	s_waitcnt lgkmcnt(0)
	s_cmp_lt_u32 s6, s7
	s_cselect_b32 s7, 12, 18
	s_add_u32 s24, s2, s7
	s_addc_u32 s25, s3, 0
	global_load_ushort v8, v3, s[24:25]
	s_mov_b64 s[24:25], 0
	v_mov_b32_e32 v1, v3
                                        ; implicit-def: $sgpr26_sgpr27
	s_waitcnt vmcnt(0)
	v_mul_lo_u32 v11, v8, 3
	v_lshlrev_b32_e32 v12, 1, v8
	s_branch .LBB23_5
.LBB23_2:                               ;   in Loop: Header=BB23_5 Depth=1
	s_or_b64 exec, exec, s[34:35]
	s_orn2_b64 s[34:35], s[36:37], exec
.LBB23_3:                               ;   in Loop: Header=BB23_5 Depth=1
	s_or_b64 exec, exec, s[30:31]
	s_andn2_b64 s[26:27], s[26:27], exec
	s_and_b64 s[30:31], s[34:35], exec
	s_or_b64 s[26:27], s[26:27], s[30:31]
.LBB23_4:                               ;   in Loop: Header=BB23_5 Depth=1
	s_or_b64 exec, exec, s[28:29]
	s_and_b64 s[28:29], exec, s[26:27]
	s_or_b64 s[24:25], s[28:29], s[24:25]
	s_andn2_b64 exec, exec, s[24:25]
	s_cbranch_execz .LBB23_9
.LBB23_5:                               ; =>This Inner Loop Header: Depth=1
	v_lshlrev_b64 v[4:5], 4, v[2:3]
	v_add_co_u32_e32 v6, vcc, s33, v4
	v_addc_co_u32_e32 v7, vcc, v9, v5, vcc
	v_add_co_u32_e32 v4, vcc, s45, v4
	v_addc_co_u32_e32 v5, vcc, v10, v5, vcc
	global_load_dwordx4 v[14:17], v[6:7], off
	global_load_dwordx4 v[18:21], v[4:5], off
	v_add_u32_e32 v4, v2, v8
	v_cmp_gt_u32_e32 vcc, s12, v4
	s_or_b64 s[26:27], s[26:27], exec
	s_waitcnt vmcnt(0)
	v_pk_add_f32 v[6:7], v[14:15], v[18:19]
	v_pk_mul_f32 v[6:7], v[6:7], v[6:7]
	v_pk_add_f32 v[14:15], v[16:17], v[20:21]
	v_add_f32_e32 v1, v1, v6
	v_pk_mul_f32 v[14:15], v[14:15], v[14:15]
	v_add_f32_e32 v1, v1, v7
	v_add_f32_e32 v1, v1, v14
	;; [unrolled: 1-line block ×3, first 2 shown]
	s_and_saveexec_b64 s[28:29], vcc
	s_cbranch_execz .LBB23_4
; %bb.6:                                ;   in Loop: Header=BB23_5 Depth=1
	v_mov_b32_e32 v5, v3
	v_lshlrev_b64 v[6:7], 4, v[4:5]
	v_add_co_u32_e32 v22, vcc, s33, v6
	v_addc_co_u32_e32 v23, vcc, v9, v7, vcc
	v_add_co_u32_e32 v6, vcc, s45, v6
	v_addc_co_u32_e32 v7, vcc, v10, v7, vcc
	global_load_dwordx4 v[14:17], v[22:23], off
	global_load_dwordx4 v[18:21], v[6:7], off
	v_add_u32_e32 v6, v12, v2
	v_cmp_gt_u32_e32 vcc, s12, v6
	s_mov_b64 s[34:35], -1
	s_waitcnt vmcnt(0)
	v_pk_add_f32 v[14:15], v[14:15], v[18:19]
	v_pk_mul_f32 v[14:15], v[14:15], v[14:15]
	v_pk_add_f32 v[16:17], v[16:17], v[20:21]
	v_add_f32_e32 v1, v1, v14
	v_pk_mul_f32 v[16:17], v[16:17], v[16:17]
	v_add_f32_e32 v1, v1, v15
	v_add_f32_e32 v1, v1, v16
	;; [unrolled: 1-line block ×3, first 2 shown]
	s_and_saveexec_b64 s[30:31], vcc
	s_cbranch_execz .LBB23_3
; %bb.7:                                ;   in Loop: Header=BB23_5 Depth=1
	v_mov_b32_e32 v7, v3
	v_lshlrev_b64 v[6:7], 4, v[6:7]
	v_add_co_u32_e32 v22, vcc, s33, v6
	v_addc_co_u32_e32 v23, vcc, v9, v7, vcc
	v_add_co_u32_e32 v6, vcc, s45, v6
	v_addc_co_u32_e32 v7, vcc, v10, v7, vcc
	global_load_dwordx4 v[14:17], v[22:23], off
	global_load_dwordx4 v[18:21], v[6:7], off
	v_add_u32_e32 v2, v11, v2
	v_cmp_gt_u32_e32 vcc, s12, v2
	s_mov_b64 s[36:37], -1
	s_waitcnt vmcnt(0)
	v_pk_add_f32 v[6:7], v[14:15], v[18:19]
	v_pk_mul_f32 v[6:7], v[6:7], v[6:7]
	v_pk_add_f32 v[14:15], v[16:17], v[20:21]
	v_add_f32_e32 v1, v1, v6
	v_pk_mul_f32 v[14:15], v[14:15], v[14:15]
	v_add_f32_e32 v1, v1, v7
	v_add_f32_e32 v1, v1, v14
	;; [unrolled: 1-line block ×3, first 2 shown]
	s_and_saveexec_b64 s[34:35], vcc
	s_xor_b64 s[34:35], exec, s[34:35]
	s_cbranch_execz .LBB23_2
; %bb.8:                                ;   in Loop: Header=BB23_5 Depth=1
	v_lshlrev_b64 v[6:7], 4, v[2:3]
	v_mov_b32_e32 v2, s44
	v_add_co_u32_e32 v22, vcc, s33, v6
	v_addc_co_u32_e32 v23, vcc, v2, v7, vcc
	v_mov_b32_e32 v2, s46
	v_add_co_u32_e32 v6, vcc, s45, v6
	v_addc_co_u32_e32 v7, vcc, v2, v7, vcc
	global_load_dwordx4 v[14:17], v[22:23], off
	global_load_dwordx4 v[18:21], v[6:7], off
	v_add_u32_e32 v2, v8, v8
	v_add_u32_e32 v2, v2, v8
	;; [unrolled: 1-line block ×3, first 2 shown]
	v_cmp_le_u32_e32 vcc, s12, v2
	s_orn2_b64 s[36:37], vcc, exec
	s_waitcnt vmcnt(0)
	v_pk_add_f32 v[4:5], v[14:15], v[18:19]
	v_pk_mul_f32 v[4:5], v[4:5], v[4:5]
	v_pk_add_f32 v[6:7], v[16:17], v[20:21]
	v_add_f32_e32 v1, v1, v4
	v_pk_mul_f32 v[6:7], v[6:7], v[6:7]
	v_add_f32_e32 v1, v1, v5
	v_add_f32_e32 v1, v1, v6
	;; [unrolled: 1-line block ×3, first 2 shown]
	s_branch .LBB23_2
.LBB23_9:
	s_or_b64 exec, exec, s[24:25]
.LBB23_10:
	s_or_b64 exec, exec, s[22:23]
	v_mbcnt_lo_u32_b32 v2, -1, 0
	v_mbcnt_hi_u32_b32 v2, -1, v2
	v_and_b32_e32 v3, 63, v2
	v_cmp_ne_u32_e32 vcc, 63, v3
	s_load_dword s2, s[2:3], 0xc
	v_addc_co_u32_e32 v4, vcc, 0, v2, vcc
	v_lshlrev_b32_e32 v4, 2, v4
	ds_bpermute_b32 v4, v4, v1
	s_waitcnt lgkmcnt(0)
	s_and_b32 s47, s2, 0xffff
	v_and_b32_e32 v5, 0x3c0, v0
	v_sub_u32_e64 v5, s47, v5 clamp
	v_add_u32_e32 v6, 1, v2
	v_add_f32_e32 v4, v1, v4
	v_cmp_lt_u32_e32 vcc, v6, v5
	v_cndmask_b32_e32 v1, v1, v4, vcc
	v_cmp_gt_u32_e32 vcc, 62, v3
	v_cndmask_b32_e64 v4, 0, 1, vcc
	v_lshlrev_b32_e32 v4, 1, v4
	v_add_lshl_u32 v4, v4, v2, 2
	ds_bpermute_b32 v4, v4, v1
	v_add_u32_e32 v6, 2, v2
	v_cmp_lt_u32_e32 vcc, v6, v5
	v_add_u32_e32 v6, 4, v2
	s_waitcnt lgkmcnt(0)
	v_add_f32_e32 v4, v1, v4
	v_cndmask_b32_e32 v1, v1, v4, vcc
	v_cmp_gt_u32_e32 vcc, 60, v3
	v_cndmask_b32_e64 v4, 0, 1, vcc
	v_lshlrev_b32_e32 v4, 2, v4
	v_add_lshl_u32 v4, v4, v2, 2
	ds_bpermute_b32 v4, v4, v1
	v_cmp_lt_u32_e32 vcc, v6, v5
	v_add_u32_e32 v6, 8, v2
	s_waitcnt lgkmcnt(0)
	v_add_f32_e32 v4, v1, v4
	v_cndmask_b32_e32 v1, v1, v4, vcc
	v_cmp_gt_u32_e32 vcc, 56, v3
	v_cndmask_b32_e64 v4, 0, 1, vcc
	v_lshlrev_b32_e32 v4, 3, v4
	v_add_lshl_u32 v4, v4, v2, 2
	ds_bpermute_b32 v4, v4, v1
	;; [unrolled: 10-line block ×3, first 2 shown]
	v_cmp_lt_u32_e32 vcc, v6, v5
	s_waitcnt lgkmcnt(0)
	v_add_f32_e32 v4, v1, v4
	v_cndmask_b32_e32 v1, v1, v4, vcc
	v_cmp_gt_u32_e32 vcc, 32, v3
	v_cndmask_b32_e64 v3, 0, 1, vcc
	v_lshlrev_b32_e32 v3, 5, v3
	v_add_lshl_u32 v3, v3, v2, 2
	ds_bpermute_b32 v3, v3, v1
	v_add_u32_e32 v4, 32, v2
	v_cmp_lt_u32_e32 vcc, v4, v5
	s_waitcnt lgkmcnt(0)
	v_add_f32_e32 v3, v1, v3
	v_cndmask_b32_e32 v1, v1, v3, vcc
	v_cmp_eq_u32_e32 vcc, 0, v2
	s_and_saveexec_b64 s[2:3], vcc
	s_cbranch_execz .LBB23_12
; %bb.11:
	v_lshrrev_b32_e32 v3, 4, v0
	v_and_b32_e32 v3, 60, v3
	ds_write_b32 v3, v1 offset:4096
.LBB23_12:
	s_or_b64 exec, exec, s[2:3]
	v_cmp_gt_u32_e32 vcc, 16, v0
	s_waitcnt lgkmcnt(0)
	s_barrier
	s_and_saveexec_b64 s[22:23], vcc
	s_cbranch_execz .LBB23_14
; %bb.13:
	v_lshlrev_b32_e32 v1, 2, v2
	ds_read_b32 v1, v1 offset:4096
	v_and_b32_e32 v3, 15, v2
	v_cmp_ne_u32_e32 vcc, 15, v3
	v_addc_co_u32_e32 v4, vcc, 0, v2, vcc
	v_lshlrev_b32_e32 v4, 2, v4
	s_waitcnt lgkmcnt(0)
	ds_bpermute_b32 v4, v4, v1
	s_add_i32 s2, s47, 63
	s_lshr_b32 s7, s2, 6
	v_add_u32_e32 v5, 1, v3
	v_cmp_gt_u32_e64 s[2:3], 14, v3
	v_cmp_gt_u32_e32 vcc, s7, v5
	v_cndmask_b32_e64 v5, 0, 1, s[2:3]
	s_waitcnt lgkmcnt(0)
	v_add_f32_e32 v4, v1, v4
	v_lshlrev_b32_e32 v5, 1, v5
	v_cndmask_b32_e32 v4, v1, v4, vcc
	v_add_lshl_u32 v5, v5, v2, 2
	ds_bpermute_b32 v5, v5, v4
	v_add_u32_e32 v6, 2, v3
	v_cmp_gt_u32_e64 s[2:3], s7, v6
	v_add_u32_e32 v6, 4, v3
	s_waitcnt lgkmcnt(0)
	v_add_f32_e32 v5, v4, v5
	v_cndmask_b32_e64 v4, v4, v5, s[2:3]
	v_cmp_gt_u32_e64 s[2:3], 12, v3
	v_cndmask_b32_e64 v5, 0, 1, s[2:3]
	v_lshlrev_b32_e32 v5, 2, v5
	v_add_lshl_u32 v5, v5, v2, 2
	ds_bpermute_b32 v5, v5, v4
	v_cmp_gt_u32_e64 s[2:3], s7, v6
	s_waitcnt lgkmcnt(0)
	v_add_f32_e32 v5, v4, v5
	v_cndmask_b32_e64 v4, v4, v5, s[2:3]
	v_cmp_gt_u32_e64 s[2:3], 8, v3
	v_cndmask_b32_e64 v5, 0, 1, s[2:3]
	v_lshlrev_b32_e32 v5, 3, v5
	v_add_lshl_u32 v2, v5, v2, 2
	ds_bpermute_b32 v2, v2, v4
	v_add_u32_e32 v3, 8, v3
	v_cmp_gt_u32_e64 s[2:3], s7, v3
	s_waitcnt lgkmcnt(0)
	v_add_f32_e32 v2, v4, v2
	v_cndmask_b32_e64 v2, v4, v2, s[2:3]
	v_cndmask_b32_e32 v1, v1, v2, vcc
.LBB23_14:
	s_or_b64 exec, exec, s[22:23]
	v_cmp_eq_u32_e32 vcc, 0, v0
	s_and_saveexec_b64 s[2:3], vcc
	s_cbranch_execz .LBB23_16
; %bb.15:
	v_cvt_f32_i32_e32 v2, s20
	s_mov_b32 s7, 0x800000
	v_div_scale_f32 v3, s[22:23], v2, v2, v1
	v_rcp_f32_e32 v4, v3
	v_div_scale_f32 v5, vcc, v1, v2, v1
	v_fma_f32 v6, -v3, v4, 1.0
	v_fmac_f32_e32 v4, v6, v4
	v_mul_f32_e32 v6, v5, v4
	v_fma_f32 v7, -v3, v6, v5
	v_fmac_f32_e32 v6, v7, v4
	v_fma_f32 v3, -v3, v6, v5
	v_div_fmas_f32 v3, v3, v4, v6
	v_div_fixup_f32 v1, v3, v2, v1
	v_add_f32_e32 v1, s16, v1
	v_mul_f32_e32 v2, 0x4b800000, v1
	v_cmp_gt_f32_e32 vcc, s7, v1
	v_cndmask_b32_e32 v1, v1, v2, vcc
	v_rsq_f32_e32 v1, v1
	v_mul_f32_e32 v2, 0x45800000, v1
	v_cndmask_b32_e32 v1, v1, v2, vcc
	v_mov_b32_e32 v2, 0
	ds_write_b32 v2, v1 offset:4160
.LBB23_16:
	s_or_b64 exec, exec, s[2:3]
	s_ashr_i32 s2, s20, 31
	s_lshr_b32 s2, s2, 25
	s_add_i32 s2, s20, s2
	s_ashr_i32 s16, s2, 7
	s_abs_i32 s3, s16
	v_cvt_f32_u32_e32 v1, s3
	s_sub_i32 s7, 0, s3
	s_ashr_i32 s2, s2, 31
	v_mov_b32_e32 v5, 0
	v_rcp_iflag_f32_e32 v1, v1
	s_waitcnt lgkmcnt(0)
	s_barrier
	v_mul_f32_e32 v1, 0x4f7ffffe, v1
	v_cvt_u32_f32_e32 v1, v1
	ds_read_b32 v36, v5 offset:4160
	v_readfirstlane_b32 s13, v1
	s_mul_i32 s7, s7, s13
	s_mul_hi_u32 s7, s13, s7
	s_add_i32 s13, s13, s7
	s_mul_hi_u32 s7, s47, s13
	s_mul_i32 s13, s7, s3
	s_sub_i32 s13, s47, s13
	s_add_i32 s17, s7, 1
	s_sub_i32 s22, s13, s3
	s_cmp_ge_u32 s13, s3
	s_cselect_b32 s7, s17, s7
	s_cselect_b32 s13, s22, s13
	s_add_i32 s17, s7, 1
	s_cmp_ge_u32 s13, s3
	s_cselect_b32 s3, s17, s7
	s_xor_b32 s3, s3, s2
	s_sub_i32 s2, s3, s2
	s_abs_i32 s7, s2
	v_cvt_f32_u32_e32 v1, s7
	s_sub_i32 s13, 0, s7
	s_ashr_i32 s3, s2, 31
	v_rcp_iflag_f32_e32 v1, v1
	v_mul_f32_e32 v1, 0x4f7ffffe, v1
	v_cvt_u32_f32_e32 v1, v1
	v_mul_lo_u32 v2, s13, v1
	v_mul_hi_u32 v2, v1, v2
	v_add_u32_e32 v1, v1, v2
	v_mul_hi_u32 v1, v0, v1
	v_mul_lo_u32 v2, v1, s7
	v_sub_u32_e32 v2, v0, v2
	v_add_u32_e32 v3, 1, v1
	v_cmp_le_u32_e32 vcc, s7, v2
	v_cndmask_b32_e32 v1, v1, v3, vcc
	v_subrev_u32_e32 v3, s7, v2
	v_cndmask_b32_e32 v2, v2, v3, vcc
	v_add_u32_e32 v3, 1, v1
	v_cmp_le_u32_e32 vcc, s7, v2
	v_cndmask_b32_e32 v1, v1, v3, vcc
	v_xor_b32_e32 v1, s3, v1
	v_subrev_u32_e32 v2, s3, v1
	v_mul_lo_u32 v1, v2, s2
	v_ashrrev_i32_e32 v3, 31, v2
	v_sub_u32_e32 v4, v0, v1
	v_lshlrev_b64 v[8:9], 5, v[2:3]
	v_add_co_u32_e32 v6, vcc, v8, v4
	v_addc_co_u32_e32 v7, vcc, 0, v9, vcc
	v_add_co_u32_e32 v8, vcc, 32, v8
	v_addc_co_u32_e32 v9, vcc, 0, v9, vcc
	s_ashr_i32 s13, s12, 31
	v_mov_b32_e32 v1, s13
	v_cmp_gt_i64_e32 vcc, s[12:13], v[8:9]
	v_cndmask_b32_e32 v9, v1, v9, vcc
	v_mov_b32_e32 v1, s12
	v_cndmask_b32_e32 v8, v1, v8, vcc
	v_ashrrev_i32_e32 v11, 31, v8
	v_mov_b32_e32 v10, v8
	v_cmp_lt_i64_e32 vcc, v[6:7], v[10:11]
	s_and_saveexec_b64 s[22:23], vcc
	s_cbranch_execz .LBB23_26
; %bb.17:
	v_lshlrev_b64 v[12:13], 9, v[2:3]
	v_lshlrev_b64 v[14:15], 4, v[4:5]
	v_add_co_u32_e32 v12, vcc, v12, v14
	v_addc_co_u32_e32 v1, vcc, v13, v15, vcc
	s_lshl_b64 s[24:25], s[2:3], 6
	s_mul_hi_i32 s7, s2, 3
	s_mul_i32 s13, s2, 3
	s_lshl_b64 s[26:27], s[2:3], 1
	s_lshl_b64 s[30:31], s[2:3], 4
	s_mov_b64 s[28:29], 0
	v_mov_b32_e32 v5, 0
	v_mov_b32_e32 v13, s44
	;; [unrolled: 1-line block ×5, first 2 shown]
	v_pk_mov_b32 v[14:15], v[6:7], v[6:7] op_sel:[0,1]
                                        ; implicit-def: $sgpr34_sgpr35
	s_branch .LBB23_21
.LBB23_18:                              ;   in Loop: Header=BB23_21 Depth=1
	s_or_b64 exec, exec, s[40:41]
	s_orn2_b64 s[40:41], s[42:43], exec
.LBB23_19:                              ;   in Loop: Header=BB23_21 Depth=1
	s_or_b64 exec, exec, s[38:39]
	s_andn2_b64 s[34:35], s[34:35], exec
	s_and_b64 s[38:39], s[40:41], exec
	s_or_b64 s[34:35], s[34:35], s[38:39]
.LBB23_20:                              ;   in Loop: Header=BB23_21 Depth=1
	s_or_b64 exec, exec, s[36:37]
	s_and_b64 s[36:37], exec, s[34:35]
	s_or_b64 s[28:29], s[36:37], s[28:29]
	s_andn2_b64 exec, exec, s[28:29]
	s_cbranch_execz .LBB23_25
.LBB23_21:                              ; =>This Inner Loop Header: Depth=1
	v_add_co_u32_e32 v18, vcc, s33, v12
	v_addc_co_u32_e32 v19, vcc, v13, v1, vcc
	v_add_co_u32_e32 v22, vcc, s45, v12
	v_addc_co_u32_e32 v23, vcc, v25, v1, vcc
	global_load_dwordx4 v[28:31], v[18:19], off
	global_load_dwordx4 v[32:35], v[22:23], off
	v_add_co_u32_e32 v20, vcc, s14, v12
	v_addc_co_u32_e32 v21, vcc, v24, v1, vcc
	global_load_dwordx4 v[38:41], v[20:21], off
	v_add_co_u32_e32 v16, vcc, s2, v14
	v_addc_co_u32_e32 v17, vcc, v15, v26, vcc
	v_cmp_lt_i64_e32 vcc, v[16:17], v[10:11]
	s_or_b64 s[34:35], s[34:35], exec
	s_waitcnt vmcnt(1)
	v_add_f32_e32 v27, v28, v32
	v_add_f32_e32 v28, v29, v33
	;; [unrolled: 1-line block ×4, first 2 shown]
	s_waitcnt lgkmcnt(0)
	v_mul_f32_e32 v27, v36, v27
	v_mul_f32_e32 v28, v36, v28
	;; [unrolled: 1-line block ×4, first 2 shown]
	s_waitcnt vmcnt(0)
	v_mul_f32_e32 v27, v38, v27
	v_mul_f32_e32 v28, v39, v28
	;; [unrolled: 1-line block ×4, first 2 shown]
	v_max3_f32 v5, v5, |v27|, |v28|
	v_max3_f32 v5, v5, |v29|, |v30|
	s_and_saveexec_b64 s[36:37], vcc
	s_cbranch_execz .LBB23_20
; %bb.22:                               ;   in Loop: Header=BB23_21 Depth=1
	v_mov_b32_e32 v27, s31
	v_add_co_u32_e32 v18, vcc, s30, v18
	v_addc_co_u32_e32 v19, vcc, v19, v27, vcc
	v_add_co_u32_e32 v22, vcc, s30, v22
	v_addc_co_u32_e32 v23, vcc, v23, v27, vcc
	global_load_dwordx4 v[28:31], v[18:19], off
	global_load_dwordx4 v[32:35], v[22:23], off
	v_add_co_u32_e32 v20, vcc, s30, v20
	v_addc_co_u32_e32 v21, vcc, v21, v27, vcc
	global_load_dwordx4 v[38:41], v[20:21], off
	v_mov_b32_e32 v27, s27
	v_add_co_u32_e32 v42, vcc, s26, v14
	v_addc_co_u32_e32 v43, vcc, v27, v15, vcc
	v_cmp_lt_i64_e32 vcc, v[42:43], v[10:11]
	s_mov_b64 s[40:41], -1
	s_waitcnt vmcnt(1)
	v_add_f32_e32 v27, v28, v32
	v_add_f32_e32 v28, v29, v33
	;; [unrolled: 1-line block ×4, first 2 shown]
	v_mul_f32_e32 v27, v36, v27
	v_mul_f32_e32 v28, v36, v28
	;; [unrolled: 1-line block ×4, first 2 shown]
	s_waitcnt vmcnt(0)
	v_mul_f32_e32 v27, v38, v27
	v_mul_f32_e32 v28, v39, v28
	;; [unrolled: 1-line block ×4, first 2 shown]
	v_max3_f32 v5, v5, |v27|, |v28|
	v_max3_f32 v5, v5, |v29|, |v30|
	s_and_saveexec_b64 s[38:39], vcc
	s_cbranch_execz .LBB23_19
; %bb.23:                               ;   in Loop: Header=BB23_21 Depth=1
	v_mov_b32_e32 v27, s31
	v_add_co_u32_e32 v18, vcc, s30, v18
	v_addc_co_u32_e32 v19, vcc, v19, v27, vcc
	v_add_co_u32_e32 v22, vcc, s30, v22
	v_addc_co_u32_e32 v23, vcc, v23, v27, vcc
	global_load_dwordx4 v[28:31], v[18:19], off
	global_load_dwordx4 v[32:35], v[22:23], off
	v_add_co_u32_e32 v20, vcc, s30, v20
	v_addc_co_u32_e32 v21, vcc, v21, v27, vcc
	global_load_dwordx4 v[38:41], v[20:21], off
	v_mov_b32_e32 v27, s7
	v_add_co_u32_e32 v14, vcc, s13, v14
	v_addc_co_u32_e32 v15, vcc, v27, v15, vcc
	v_cmp_lt_i64_e32 vcc, v[14:15], v[10:11]
	s_mov_b64 s[42:43], -1
	s_waitcnt vmcnt(1)
	v_add_f32_e32 v14, v28, v32
	v_add_f32_e32 v15, v29, v33
	;; [unrolled: 1-line block ×4, first 2 shown]
	v_mul_f32_e32 v14, v36, v14
	v_mul_f32_e32 v15, v36, v15
	;; [unrolled: 1-line block ×4, first 2 shown]
	s_waitcnt vmcnt(0)
	v_mul_f32_e32 v14, v38, v14
	v_mul_f32_e32 v15, v39, v15
	;; [unrolled: 1-line block ×4, first 2 shown]
	v_max3_f32 v5, v5, |v14|, |v15|
	v_max3_f32 v5, v5, |v27|, |v28|
                                        ; implicit-def: $vgpr14_vgpr15
	s_and_saveexec_b64 s[40:41], vcc
	s_xor_b64 s[40:41], exec, s[40:41]
	s_cbranch_execz .LBB23_18
; %bb.24:                               ;   in Loop: Header=BB23_21 Depth=1
	v_mov_b32_e32 v27, s31
	v_add_co_u32_e32 v14, vcc, s30, v18
	v_addc_co_u32_e32 v15, vcc, v19, v27, vcc
	global_load_dwordx4 v[28:31], v[14:15], off
	v_add_co_u32_e32 v14, vcc, s30, v22
	v_addc_co_u32_e32 v15, vcc, v23, v27, vcc
	global_load_dwordx4 v[32:35], v[14:15], off
	v_add_co_u32_e32 v14, vcc, s30, v20
	v_addc_co_u32_e32 v15, vcc, v21, v27, vcc
	global_load_dwordx4 v[18:21], v[14:15], off
	s_add_u32 s17, s2, s2
	s_addc_u32 s42, s3, s3
	v_mov_b32_e32 v14, s25
	v_add_co_u32_e32 v12, vcc, s24, v12
	s_add_u32 s17, s17, s2
	v_addc_co_u32_e32 v1, vcc, v1, v14, vcc
	s_addc_u32 s42, s42, s3
	v_mov_b32_e32 v15, s42
	v_add_co_u32_e32 v14, vcc, s17, v16
	v_addc_co_u32_e32 v15, vcc, v15, v17, vcc
	v_cmp_ge_i64_e32 vcc, v[14:15], v[10:11]
	s_orn2_b64 s[42:43], vcc, exec
	s_waitcnt vmcnt(1)
	v_add_f32_e32 v16, v28, v32
	v_add_f32_e32 v17, v29, v33
	;; [unrolled: 1-line block ×4, first 2 shown]
	v_mul_f32_e32 v16, v36, v16
	v_mul_f32_e32 v17, v36, v17
	;; [unrolled: 1-line block ×4, first 2 shown]
	s_waitcnt vmcnt(0)
	v_mul_f32_e32 v16, v18, v16
	v_mul_f32_e32 v17, v19, v17
	;; [unrolled: 1-line block ×4, first 2 shown]
	v_max3_f32 v5, v5, |v16|, |v17|
	v_max3_f32 v5, v5, |v18|, |v19|
	s_branch .LBB23_18
.LBB23_25:
	s_or_b64 exec, exec, s[28:29]
.LBB23_26:
	s_or_b64 exec, exec, s[22:23]
	s_lshr_b32 s7, s47, 6
	v_cvt_f32_u32_e32 v10, s7
	v_lshlrev_b32_e32 v1, 2, v0
	ds_write_b32 v1, v5
	s_sub_i32 s23, 0, s7
	v_rcp_iflag_f32_e32 v5, v10
	s_add_i32 s13, s16, s7
	s_add_i32 s13, s13, -1
	s_ashr_i32 s22, s13, 31
	v_mul_f32_e32 v5, 0x4f7ffffe, v5
	v_cvt_u32_f32_e32 v5, v5
	s_abs_i32 s13, s13
	s_ashr_i32 s17, s16, 31
	s_waitcnt lgkmcnt(0)
	v_readfirstlane_b32 s24, v5
	s_mul_i32 s23, s23, s24
	s_mul_hi_u32 s23, s24, s23
	s_add_i32 s24, s24, s23
	s_mul_hi_u32 s23, s13, s24
	s_mul_i32 s24, s23, s7
	s_sub_i32 s13, s13, s24
	s_add_i32 s24, s23, 1
	s_sub_i32 s25, s13, s7
	s_cmp_ge_u32 s13, s7
	s_cselect_b32 s23, s24, s23
	s_cselect_b32 s13, s25, s13
	s_add_i32 s24, s23, 1
	s_cmp_ge_u32 s13, s7
	s_cselect_b32 s13, s24, s23
	s_xor_b32 s13, s13, s22
	s_sub_i32 s22, s13, s22
	s_ashr_i32 s23, s22, 31
	v_cmp_lt_i64_e64 s[24:25], s[22:23], 1
	s_and_b64 vcc, exec, s[24:25]
	s_barrier
	s_cbranch_vccnz .LBB23_48
; %bb.27:
	v_and_b32_e32 v12, 63, v0
	v_add_co_u32_e32 v14, vcc, 32, v12
	v_addc_co_u32_e64 v15, s[24:25], 0, 0, vcc
	v_add_co_u32_e32 v16, vcc, 16, v12
	v_addc_co_u32_e64 v17, s[24:25], 0, 0, vcc
	v_add_co_u32_e32 v18, vcc, 8, v12
	v_lshrrev_b32_e32 v10, 6, v0
	v_addc_co_u32_e64 v19, s[24:25], 0, 0, vcc
	v_add_co_u32_e32 v20, vcc, 4, v12
	v_addc_co_u32_e64 v21, s[24:25], 0, 0, vcc
	v_add_co_u32_e32 v22, vcc, 2, v12
	v_mul_lo_u32 v5, s2, v10
	v_addc_co_u32_e64 v23, s[24:25], 0, 0, vcc
	v_add_co_u32_e32 v24, vcc, 1, v12
	v_lshlrev_b32_e32 v5, 2, v5
	v_lshlrev_b32_e32 v26, 2, v12
	s_movk_i32 s13, 0x100
	v_mov_b32_e32 v11, 0
	v_addc_co_u32_e64 v25, s[24:25], 0, 0, vcc
	v_add3_u32 v5, v5, v26, s13
	s_mul_i32 s13, s2, s7
	v_mov_b32_e32 v13, v11
	s_lshl_b32 s13, s13, 2
	s_mov_b64 s[24:25], 0
	v_mov_b32_e32 v37, s7
	s_mov_b64 s[26:27], src_shared_base
	s_branch .LBB23_30
.LBB23_28:                              ;   in Loop: Header=BB23_30 Depth=1
	s_or_b64 exec, exec, s[30:31]
	v_mov_b32_e32 v27, s27
	flat_load_dword v26, v[26:27] glc
	s_waitcnt vmcnt(0)
.LBB23_29:                              ;   in Loop: Header=BB23_30 Depth=1
	s_or_b64 exec, exec, s[28:29]
	s_add_u32 s24, s24, 1
	s_addc_u32 s25, s25, 0
	s_cmp_eq_u64 s[24:25], s[22:23]
	v_add_u32_e32 v5, s13, v5
	s_cbranch_scc1 .LBB23_48
.LBB23_30:                              ; =>This Loop Header: Depth=1
                                        ;     Child Loop BB23_33 Depth 2
	v_mad_u64_u32 v[30:31], s[28:29], s24, v37, v[10:11]
	s_mul_i32 s26, s25, s7
	v_add_u32_e32 v31, s26, v31
	v_cmp_gt_i64_e32 vcc, s[16:17], v[30:31]
	s_and_saveexec_b64 s[28:29], vcc
	s_cbranch_execz .LBB23_29
; %bb.31:                               ;   in Loop: Header=BB23_30 Depth=1
	v_pk_mov_b32 v[32:33], s[2:3], s[2:3] op_sel:[0,1]
	v_mul_lo_u32 v29, v31, s2
	v_mul_lo_u32 v38, v30, s3
	v_mad_u64_u32 v[32:33], s[30:31], v30, s2, v[32:33]
	v_add3_u32 v33, v29, v33, v38
	v_mov_b32_e32 v28, s21
	v_cmp_gt_i64_e32 vcc, s[20:21], v[32:33]
	s_waitcnt lgkmcnt(0)
	v_mad_u64_u32 v[26:27], s[30:31], v30, s2, v[12:13]
	v_cndmask_b32_e32 v33, v28, v33, vcc
	v_mov_b32_e32 v28, s20
	v_add3_u32 v27, v29, v27, v38
	v_cndmask_b32_e32 v32, v28, v32, vcc
	v_add_co_u32_e32 v34, vcc, 64, v26
	v_addc_co_u32_e32 v35, vcc, 0, v27, vcc
	v_cmp_lt_i64_e32 vcc, v[34:35], v[32:33]
	v_lshlrev_b32_e32 v28, 2, v26
	s_and_saveexec_b64 s[30:31], vcc
	s_cbranch_execz .LBB23_34
; %bb.32:                               ;   in Loop: Header=BB23_30 Depth=1
	ds_read_b32 v31, v28
	s_mov_b64 s[34:35], 0
	v_mov_b32_e32 v27, v5
.LBB23_33:                              ;   Parent Loop BB23_30 Depth=1
                                        ; =>  This Inner Loop Header: Depth=2
	ds_read_b32 v39, v27
	v_add_co_u32_e32 v34, vcc, 64, v34
	v_addc_co_u32_e32 v35, vcc, 0, v35, vcc
	s_waitcnt lgkmcnt(1)
	v_max_f32_e32 v31, v31, v31
	v_cmp_ge_i64_e32 vcc, v[34:35], v[32:33]
	s_waitcnt lgkmcnt(0)
	v_max_f32_e32 v39, v39, v39
	v_add_u32_e32 v27, 0x100, v27
	s_or_b64 s[34:35], vcc, s[34:35]
	v_max_f32_e32 v31, v31, v39
	ds_write_b32 v28, v31
	s_andn2_b64 exec, exec, s[34:35]
	s_cbranch_execnz .LBB23_33
.LBB23_34:                              ;   in Loop: Header=BB23_30 Depth=1
	s_or_b64 exec, exec, s[30:31]
	v_mad_u64_u32 v[30:31], s[30:31], v30, s2, 0
	v_add3_u32 v27, v31, v38, v29
	v_sub_co_u32_e32 v30, vcc, v32, v30
	v_subb_co_u32_e32 v31, vcc, v33, v27, vcc
	v_cmp_gt_i64_e32 vcc, 64, v[30:31]
	v_cndmask_b32_e32 v31, 0, v31, vcc
	v_cndmask_b32_e32 v30, 64, v30, vcc
	v_cmp_lt_i64_e32 vcc, v[14:15], v[30:31]
	s_and_saveexec_b64 s[30:31], vcc
	s_cbranch_execnz .LBB23_46
; %bb.35:                               ;   in Loop: Header=BB23_30 Depth=1
	s_or_b64 exec, exec, s[30:31]
	v_cmp_lt_i64_e32 vcc, v[16:17], v[30:31]
	s_and_saveexec_b64 s[30:31], vcc
	s_cbranch_execnz .LBB23_47
.LBB23_36:                              ;   in Loop: Header=BB23_30 Depth=1
	s_or_b64 exec, exec, s[30:31]
	v_cmp_lt_i64_e32 vcc, v[18:19], v[30:31]
	s_and_saveexec_b64 s[30:31], vcc
	s_cbranch_execz .LBB23_38
.LBB23_37:                              ;   in Loop: Header=BB23_30 Depth=1
	v_mov_b32_e32 v29, s27
	v_add_u32_e32 v32, 32, v28
	v_mov_b32_e32 v33, s27
	flat_load_dword v27, v[28:29] glc
	s_waitcnt vmcnt(0)
	flat_load_dword v34, v[32:33] glc
	s_waitcnt vmcnt(0) lgkmcnt(0)
	v_max_f32_e32 v27, v27, v27
	v_max_f32_e32 v32, v34, v34
	;; [unrolled: 1-line block ×3, first 2 shown]
	flat_store_dword v[28:29], v27
	s_waitcnt vmcnt(0)
.LBB23_38:                              ;   in Loop: Header=BB23_30 Depth=1
	s_or_b64 exec, exec, s[30:31]
	v_cmp_ge_i64_e32 vcc, v[20:21], v[30:31]
	s_and_saveexec_b64 s[30:31], vcc
	s_xor_b64 s[30:31], exec, s[30:31]
; %bb.39:                               ;   in Loop: Header=BB23_30 Depth=1
                                        ; implicit-def: $vgpr28
; %bb.40:                               ;   in Loop: Header=BB23_30 Depth=1
	s_andn2_saveexec_b64 s[30:31], s[30:31]
	s_cbranch_execz .LBB23_42
; %bb.41:                               ;   in Loop: Header=BB23_30 Depth=1
	v_mov_b32_e32 v29, s27
	v_add_u32_e32 v32, 16, v28
	v_mov_b32_e32 v33, s27
	flat_load_dword v27, v[28:29] glc
	s_waitcnt vmcnt(0)
	flat_load_dword v34, v[32:33] glc
	s_waitcnt vmcnt(0) lgkmcnt(0)
	v_max_f32_e32 v27, v27, v27
	v_max_f32_e32 v32, v34, v34
	;; [unrolled: 1-line block ×3, first 2 shown]
	flat_store_dword v[28:29], v27
	s_waitcnt vmcnt(0)
.LBB23_42:                              ;   in Loop: Header=BB23_30 Depth=1
	s_or_b64 exec, exec, s[30:31]
	v_cmp_lt_i64_e32 vcc, v[22:23], v[30:31]
	v_lshlrev_b32_e32 v26, 2, v26
	s_and_saveexec_b64 s[30:31], vcc
	s_cbranch_execz .LBB23_44
; %bb.43:                               ;   in Loop: Header=BB23_30 Depth=1
	v_mov_b32_e32 v27, s27
	v_add_u32_e32 v28, 8, v26
	v_mov_b32_e32 v29, s27
	flat_load_dword v32, v[26:27] glc
	s_waitcnt vmcnt(0)
	flat_load_dword v33, v[28:29] glc
	s_waitcnt vmcnt(0) lgkmcnt(0)
	v_max_f32_e32 v28, v32, v32
	v_max_f32_e32 v29, v33, v33
	;; [unrolled: 1-line block ×3, first 2 shown]
	flat_store_dword v[26:27], v28
	s_waitcnt vmcnt(0)
.LBB23_44:                              ;   in Loop: Header=BB23_30 Depth=1
	s_or_b64 exec, exec, s[30:31]
	v_cmp_lt_i64_e32 vcc, v[24:25], v[30:31]
	s_and_saveexec_b64 s[30:31], vcc
	s_cbranch_execz .LBB23_28
; %bb.45:                               ;   in Loop: Header=BB23_30 Depth=1
	v_mov_b32_e32 v27, s27
	v_add_u32_e32 v28, 4, v26
	v_mov_b32_e32 v29, s27
	flat_load_dword v30, v[26:27] glc
	s_waitcnt vmcnt(0)
	flat_load_dword v31, v[28:29] glc
	s_waitcnt vmcnt(0) lgkmcnt(0)
	v_max_f32_e32 v28, v30, v30
	v_max_f32_e32 v29, v31, v31
	;; [unrolled: 1-line block ×3, first 2 shown]
	flat_store_dword v[26:27], v28
	s_waitcnt vmcnt(0)
	s_branch .LBB23_28
.LBB23_46:                              ;   in Loop: Header=BB23_30 Depth=1
	v_mov_b32_e32 v29, s27
	v_add_u32_e32 v32, 0x80, v28
	v_mov_b32_e32 v33, s27
	flat_load_dword v27, v[28:29] glc
	s_waitcnt vmcnt(0)
	flat_load_dword v34, v[32:33] glc
	s_waitcnt vmcnt(0) lgkmcnt(0)
	v_max_f32_e32 v27, v27, v27
	v_max_f32_e32 v32, v34, v34
	;; [unrolled: 1-line block ×3, first 2 shown]
	flat_store_dword v[28:29], v27
	s_waitcnt vmcnt(0)
	s_or_b64 exec, exec, s[30:31]
	v_cmp_lt_i64_e32 vcc, v[16:17], v[30:31]
	s_and_saveexec_b64 s[30:31], vcc
	s_cbranch_execz .LBB23_36
.LBB23_47:                              ;   in Loop: Header=BB23_30 Depth=1
	v_mov_b32_e32 v29, s27
	v_add_u32_e32 v32, 64, v28
	v_mov_b32_e32 v33, s27
	flat_load_dword v27, v[28:29] glc
	s_waitcnt vmcnt(0)
	flat_load_dword v34, v[32:33] glc
	s_waitcnt vmcnt(0) lgkmcnt(0)
	v_max_f32_e32 v27, v27, v27
	v_max_f32_e32 v32, v34, v34
	;; [unrolled: 1-line block ×3, first 2 shown]
	flat_store_dword v[28:29], v27
	s_waitcnt vmcnt(0)
	s_or_b64 exec, exec, s[30:31]
	v_cmp_lt_i64_e32 vcc, v[18:19], v[30:31]
	s_and_saveexec_b64 s[30:31], vcc
	s_cbranch_execnz .LBB23_37
	s_branch .LBB23_38
.LBB23_48:
	v_cmp_eq_u32_e32 vcc, 0, v4
	v_cmp_lt_i64_e64 s[2:3], v[6:7], v[8:9]
	s_and_b64 s[22:23], vcc, s[2:3]
	s_mul_i32 s17, s17, s6
	s_mul_hi_u32 s21, s16, s6
	s_mul_i32 s2, s16, s6
	s_waitcnt lgkmcnt(0)
	s_barrier
	s_and_saveexec_b64 s[6:7], s[22:23]
	s_cbranch_execz .LBB23_52
; %bb.49:
	s_load_dwordx2 s[4:5], s[4:5], 0x20
	ds_read_b32 v1, v1
	s_waitcnt lgkmcnt(0)
	s_cmp_eq_u64 s[4:5], 0
	s_cbranch_scc1 .LBB23_51
; %bb.50:
	s_load_dword s3, s[4:5], 0x0
	v_max_f32_e32 v1, v1, v1
	s_waitcnt lgkmcnt(0)
	v_max_f32_e64 v4, s3, s3
	v_min_f32_e32 v1, v1, v4
.LBB23_51:
	s_mov_b32 s3, 0x42fe0000
	v_div_scale_f32 v4, s[4:5], s3, s3, v1
	v_rcp_f32_e32 v5, v4
	v_div_scale_f32 v6, vcc, v1, s3, v1
	v_lshlrev_b64 v[2:3], 2, v[2:3]
	v_fma_f32 v7, -v4, v5, 1.0
	v_fmac_f32_e32 v5, v7, v5
	v_mul_f32_e32 v7, v6, v5
	v_fma_f32 v8, -v4, v7, v6
	v_fmac_f32_e32 v7, v8, v5
	v_fma_f32 v4, -v4, v7, v6
	v_div_fmas_f32 v4, v4, v5, v7
	v_div_fixup_f32 v1, v4, s3, v1
	s_add_i32 s3, s21, s17
	s_lshl_b64 s[4:5], s[2:3], 2
	s_add_u32 s3, s10, s4
	s_addc_u32 s4, s11, s5
	v_mov_b32_e32 v4, s4
	v_add_co_u32_e32 v2, vcc, s3, v2
	v_max_f32_e32 v1, 0x34000000, v1
	v_addc_co_u32_e32 v3, vcc, v4, v3, vcc
	global_store_dword v[2:3], v1, off
.LBB23_52:
	s_or_b64 exec, exec, s[6:7]
	s_barrier
	s_and_saveexec_b64 s[4:5], s[0:1]
	s_cbranch_execz .LBB23_61
; %bb.53:
	s_add_u32 s13, s8, s18
	s_addc_u32 s20, s9, s19
	s_add_i32 s3, s21, s17
	s_lshl_b64 s[0:1], s[2:3], 2
	s_add_u32 s2, s10, s0
	s_addc_u32 s3, s11, s1
	s_add_i32 s25, s47, s47
	s_mul_i32 s21, s47, 3
	s_lshl_b32 s22, s47, 1
	s_mov_b64 s[4:5], 0
	v_mov_b32_e32 v1, 0
	v_mov_b32_e32 v6, s44
	;; [unrolled: 1-line block ×4, first 2 shown]
	s_mov_b32 s23, 0x42fe0000
	v_mov_b32_e32 v9, 0x42fe0000
	s_mov_b32 s24, 0xc3000000
	v_mov_b32_e32 v10, 0xc3000000
	v_mov_b32_e32 v11, s20
	s_add_i32 s25, s25, s47
	v_mov_b32_e32 v12, 8
                                        ; implicit-def: $sgpr6_sgpr7
	s_branch .LBB23_57
.LBB23_54:                              ;   in Loop: Header=BB23_57 Depth=1
	s_or_b64 exec, exec, s[16:17]
	s_orn2_b64 s[16:17], s[18:19], exec
.LBB23_55:                              ;   in Loop: Header=BB23_57 Depth=1
	s_or_b64 exec, exec, s[10:11]
	s_andn2_b64 s[0:1], s[6:7], exec
	s_and_b64 s[6:7], s[16:17], exec
	s_or_b64 s[6:7], s[0:1], s[6:7]
.LBB23_56:                              ;   in Loop: Header=BB23_57 Depth=1
	s_or_b64 exec, exec, s[8:9]
	s_and_b64 s[0:1], exec, s[6:7]
	s_or_b64 s[4:5], s[0:1], s[4:5]
	s_andn2_b64 exec, exec, s[4:5]
	s_cbranch_execz .LBB23_61
.LBB23_57:                              ; =>This Inner Loop Header: Depth=1
	v_lshlrev_b64 v[2:3], 4, v[0:1]
	v_add_co_u32_e32 v4, vcc, s33, v2
	v_addc_co_u32_e32 v5, vcc, v6, v3, vcc
	v_add_co_u32_e32 v26, vcc, s45, v2
	v_addc_co_u32_e32 v27, vcc, v8, v3, vcc
	global_load_dwordx4 v[14:17], v[4:5], off
	global_load_dwordx4 v[18:21], v[26:27], off
	v_lshrrev_b32_e32 v4, 3, v0
	v_and_b32_e32 v4, 0x7fffffc, v4
	global_load_dword v13, v4, s[2:3]
	v_add_co_u32_e32 v2, vcc, s14, v2
	v_addc_co_u32_e32 v3, vcc, v7, v3, vcc
	global_load_dwordx4 v[22:25], v[2:3], off
	v_lshlrev_b64 v[4:5], 2, v[0:1]
	v_add_co_u32_e32 v4, vcc, s13, v4
	v_addc_co_u32_e32 v5, vcc, v11, v5, vcc
	v_add_u32_e32 v2, s47, v0
	v_cmp_gt_u32_e64 s[0:1], s12, v2
	s_or_b64 s[6:7], s[6:7], exec
	s_waitcnt vmcnt(2)
	v_pk_add_f32 v[14:15], v[14:15], v[18:19]
	v_pk_add_f32 v[16:17], v[16:17], v[20:21]
	global_store_dwordx4 v[26:27], v[14:17], off
	s_waitcnt vmcnt(2)
	v_div_scale_f32 v3, s[8:9], v13, v13, 1.0
	v_rcp_f32_e32 v19, v3
	v_div_scale_f32 v18, vcc, 1.0, v13, 1.0
	v_mul_f32_e32 v14, v36, v14
	v_fma_f32 v20, -v3, v19, 1.0
	v_fmac_f32_e32 v19, v20, v19
	v_mul_f32_e32 v20, v18, v19
	v_fma_f32 v21, -v3, v20, v18
	v_fmac_f32_e32 v20, v21, v19
	v_fma_f32 v3, -v3, v20, v18
	v_div_fmas_f32 v3, v3, v19, v20
	v_mul_f32_e32 v15, v36, v15
	s_waitcnt vmcnt(1)
	v_mul_f32_e32 v14, v22, v14
	v_div_fixup_f32 v3, v3, v13, 1.0
	v_mul_f32_e32 v16, v36, v16
	v_mul_f32_e32 v15, v23, v15
	;; [unrolled: 1-line block ×6, first 2 shown]
	v_rndne_f32_e32 v13, v13
	v_mul_f32_e32 v17, v25, v17
	v_mul_f32_e32 v15, v16, v3
	v_rndne_f32_e32 v14, v14
	v_cmp_nlt_f32_e32 vcc, s23, v13
	v_mul_f32_e32 v3, v17, v3
	v_rndne_f32_e32 v15, v15
	v_cndmask_b32_e32 v16, v9, v13, vcc
	v_cmp_nlt_f32_e32 vcc, s23, v14
	v_rndne_f32_e32 v3, v3
	v_cndmask_b32_e32 v17, v9, v14, vcc
	v_cmp_nlt_f32_e32 vcc, s23, v15
	v_cndmask_b32_e32 v18, v9, v15, vcc
	v_cmp_nlt_f32_e32 vcc, s23, v3
	v_cndmask_b32_e32 v19, v9, v3, vcc
	v_cmp_ngt_f32_e32 vcc, s24, v13
	v_cndmask_b32_e32 v13, v10, v16, vcc
	v_cmp_ngt_f32_e32 vcc, s24, v14
	;; [unrolled: 2-line block ×4, first 2 shown]
	v_cvt_i32_f32_e32 v15, v15
	v_cndmask_b32_e32 v3, v10, v19, vcc
	v_cvt_i32_f32_e32 v14, v14
	v_cvt_i32_f32_e32 v13, v13
	;; [unrolled: 1-line block ×3, first 2 shown]
	v_and_b32_e32 v15, 0xff, v15
	v_lshlrev_b32_e32 v15, 16, v15
	v_lshlrev_b32_sdwa v14, v12, v14 dst_sel:DWORD dst_unused:UNUSED_PAD src0_sel:DWORD src1_sel:BYTE_0
	v_and_b32_e32 v13, 0xff, v13
	v_lshl_or_b32 v3, v3, 24, v15
	v_or3_b32 v3, v3, v14, v13
	global_store_dword v[4:5], v3, off
	s_and_saveexec_b64 s[8:9], s[0:1]
	s_cbranch_execz .LBB23_56
; %bb.58:                               ;   in Loop: Header=BB23_57 Depth=1
	v_mov_b32_e32 v3, v1
	v_lshlrev_b64 v[4:5], 4, v[2:3]
	v_add_co_u32_e32 v22, vcc, s33, v4
	v_lshrrev_b32_e32 v13, 3, v2
	v_addc_co_u32_e32 v23, vcc, v6, v5, vcc
	v_and_b32_e32 v13, 0x7fffffc, v13
	global_load_dword v13, v13, s[2:3]
	v_add_co_u32_e32 v26, vcc, s45, v4
	v_addc_co_u32_e32 v27, vcc, v8, v5, vcc
	global_load_dwordx4 v[14:17], v[22:23], off
	global_load_dwordx4 v[18:21], v[26:27], off
	v_add_co_u32_e32 v4, vcc, s14, v4
	v_addc_co_u32_e32 v5, vcc, v7, v5, vcc
	global_load_dwordx4 v[22:25], v[4:5], off
	v_lshlrev_b64 v[28:29], 2, v[2:3]
	v_add_co_u32_e32 v28, vcc, s13, v28
	v_addc_co_u32_e32 v29, vcc, v11, v29, vcc
	v_add_u32_e32 v4, s22, v0
	v_cmp_gt_u32_e64 s[0:1], s12, v4
	s_mov_b64 s[16:17], -1
	s_waitcnt vmcnt(3)
	v_div_scale_f32 v3, s[10:11], v13, v13, 1.0
	v_div_scale_f32 v5, vcc, 1.0, v13, 1.0
	s_waitcnt vmcnt(1)
	v_pk_add_f32 v[14:15], v[14:15], v[18:19]
	v_rcp_f32_e32 v18, v3
	v_pk_add_f32 v[16:17], v[16:17], v[20:21]
	global_store_dwordx4 v[26:27], v[14:17], off
	v_fma_f32 v19, -v3, v18, 1.0
	v_fmac_f32_e32 v18, v19, v18
	v_mul_f32_e32 v19, v5, v18
	v_fma_f32 v20, -v3, v19, v5
	v_fmac_f32_e32 v19, v20, v18
	v_fma_f32 v3, -v3, v19, v5
	v_mul_f32_e32 v14, v36, v14
	v_div_fmas_f32 v3, v3, v18, v19
	v_mul_f32_e32 v15, v36, v15
	s_waitcnt vmcnt(1)
	v_mul_f32_e32 v14, v22, v14
	v_div_fixup_f32 v3, v3, v13, 1.0
	v_mul_f32_e32 v16, v36, v16
	v_mul_f32_e32 v15, v23, v15
	;; [unrolled: 1-line block ×6, first 2 shown]
	v_rndne_f32_e32 v5, v5
	v_mul_f32_e32 v17, v25, v17
	v_mul_f32_e32 v14, v16, v3
	v_rndne_f32_e32 v13, v13
	v_cmp_nlt_f32_e32 vcc, s23, v5
	v_mul_f32_e32 v3, v17, v3
	v_rndne_f32_e32 v14, v14
	v_cndmask_b32_e32 v15, v9, v5, vcc
	v_cmp_nlt_f32_e32 vcc, s23, v13
	v_rndne_f32_e32 v3, v3
	v_cndmask_b32_e32 v16, v9, v13, vcc
	v_cmp_nlt_f32_e32 vcc, s23, v14
	v_cndmask_b32_e32 v17, v9, v14, vcc
	v_cmp_nlt_f32_e32 vcc, s23, v3
	v_cndmask_b32_e32 v18, v9, v3, vcc
	v_cmp_ngt_f32_e32 vcc, s24, v5
	v_cndmask_b32_e32 v5, v10, v15, vcc
	v_cmp_ngt_f32_e32 vcc, s24, v13
	v_cndmask_b32_e32 v13, v10, v16, vcc
	v_cmp_ngt_f32_e32 vcc, s24, v14
	v_cndmask_b32_e32 v14, v10, v17, vcc
	v_cmp_ngt_f32_e32 vcc, s24, v3
	v_cvt_i32_f32_e32 v14, v14
	v_cndmask_b32_e32 v3, v10, v18, vcc
	v_cvt_i32_f32_e32 v13, v13
	v_cvt_i32_f32_e32 v5, v5
	;; [unrolled: 1-line block ×3, first 2 shown]
	v_and_b32_e32 v14, 0xff, v14
	v_lshlrev_b32_e32 v14, 16, v14
	v_lshlrev_b32_sdwa v13, v12, v13 dst_sel:DWORD dst_unused:UNUSED_PAD src0_sel:DWORD src1_sel:BYTE_0
	v_and_b32_e32 v5, 0xff, v5
	v_lshl_or_b32 v3, v3, 24, v14
	v_or3_b32 v3, v3, v13, v5
	global_store_dword v[28:29], v3, off
	s_and_saveexec_b64 s[10:11], s[0:1]
	s_cbranch_execz .LBB23_55
; %bb.59:                               ;   in Loop: Header=BB23_57 Depth=1
	v_mov_b32_e32 v5, v1
	v_lshlrev_b64 v[22:23], 4, v[4:5]
	v_mov_b32_e32 v3, s44
	v_add_co_u32_e32 v24, vcc, s33, v22
	v_lshrrev_b32_e32 v13, 3, v4
	v_addc_co_u32_e32 v25, vcc, v3, v23, vcc
	v_and_b32_e32 v13, 0x7fffffc, v13
	v_mov_b32_e32 v3, s46
	global_load_dword v13, v13, s[2:3]
	v_add_co_u32_e32 v26, vcc, s45, v22
	v_addc_co_u32_e32 v27, vcc, v3, v23, vcc
	global_load_dwordx4 v[14:17], v[24:25], off
	global_load_dwordx4 v[18:21], v[26:27], off
	v_mov_b32_e32 v3, s15
	v_add_co_u32_e32 v22, vcc, s14, v22
	v_addc_co_u32_e32 v23, vcc, v3, v23, vcc
	global_load_dwordx4 v[22:25], v[22:23], off
	v_lshlrev_b64 v[4:5], 2, v[4:5]
	v_mov_b32_e32 v3, s20
	v_add_co_u32_e32 v4, vcc, s13, v4
	v_addc_co_u32_e32 v5, vcc, v3, v5, vcc
	v_add_u32_e32 v0, s21, v0
	v_cmp_gt_u32_e64 s[0:1], s12, v0
	s_mov_b64 s[18:19], -1
	s_waitcnt vmcnt(3)
	v_div_scale_f32 v3, s[16:17], v13, v13, 1.0
	v_div_scale_f32 v28, vcc, 1.0, v13, 1.0
	s_waitcnt vmcnt(1)
	v_pk_add_f32 v[14:15], v[14:15], v[18:19]
	v_rcp_f32_e32 v18, v3
	v_pk_add_f32 v[16:17], v[16:17], v[20:21]
	global_store_dwordx4 v[26:27], v[14:17], off
	v_fma_f32 v19, -v3, v18, 1.0
	v_fmac_f32_e32 v18, v19, v18
	v_mul_f32_e32 v19, v28, v18
	v_fma_f32 v20, -v3, v19, v28
	v_fmac_f32_e32 v19, v20, v18
	v_fma_f32 v3, -v3, v19, v28
	v_mul_f32_e32 v14, v36, v14
	v_div_fmas_f32 v3, v3, v18, v19
	v_mul_f32_e32 v15, v36, v15
	s_waitcnt vmcnt(1)
	v_mul_f32_e32 v14, v22, v14
	v_div_fixup_f32 v3, v3, v13, 1.0
	v_mul_f32_e32 v16, v36, v16
	v_mul_f32_e32 v15, v23, v15
	v_mul_f32_e32 v13, v14, v3
	v_mul_f32_e32 v17, v36, v17
	v_mul_f32_e32 v16, v24, v16
	v_mul_f32_e32 v14, v15, v3
	v_rndne_f32_e32 v13, v13
	v_mul_f32_e32 v17, v25, v17
	v_mul_f32_e32 v15, v16, v3
	v_rndne_f32_e32 v14, v14
	v_cmp_nlt_f32_e32 vcc, s23, v13
	v_mul_f32_e32 v3, v17, v3
	v_rndne_f32_e32 v15, v15
	v_cndmask_b32_e32 v16, v9, v13, vcc
	v_cmp_nlt_f32_e32 vcc, s23, v14
	v_rndne_f32_e32 v3, v3
	v_cndmask_b32_e32 v17, v9, v14, vcc
	v_cmp_nlt_f32_e32 vcc, s23, v15
	v_cndmask_b32_e32 v18, v9, v15, vcc
	v_cmp_nlt_f32_e32 vcc, s23, v3
	v_cndmask_b32_e32 v19, v9, v3, vcc
	v_cmp_ngt_f32_e32 vcc, s24, v13
	v_cndmask_b32_e32 v13, v10, v16, vcc
	v_cmp_ngt_f32_e32 vcc, s24, v14
	;; [unrolled: 2-line block ×4, first 2 shown]
	v_cvt_i32_f32_e32 v15, v15
	v_cndmask_b32_e32 v3, v10, v19, vcc
	v_cvt_i32_f32_e32 v14, v14
	v_cvt_i32_f32_e32 v13, v13
	;; [unrolled: 1-line block ×3, first 2 shown]
	v_and_b32_e32 v15, 0xff, v15
	v_lshlrev_b32_e32 v15, 16, v15
	v_lshlrev_b32_sdwa v14, v12, v14 dst_sel:DWORD dst_unused:UNUSED_PAD src0_sel:DWORD src1_sel:BYTE_0
	v_and_b32_e32 v13, 0xff, v13
	v_lshl_or_b32 v3, v3, 24, v15
	v_or3_b32 v3, v3, v14, v13
	global_store_dword v[4:5], v3, off
	s_and_saveexec_b64 s[16:17], s[0:1]
	s_cbranch_execz .LBB23_54
; %bb.60:                               ;   in Loop: Header=BB23_57 Depth=1
	v_lshlrev_b64 v[4:5], 4, v[0:1]
	v_mov_b32_e32 v3, s44
	v_add_co_u32_e32 v22, vcc, s33, v4
	v_addc_co_u32_e32 v23, vcc, v3, v5, vcc
	v_mov_b32_e32 v3, s46
	v_add_co_u32_e32 v26, vcc, s45, v4
	v_addc_co_u32_e32 v27, vcc, v3, v5, vcc
	v_lshrrev_b32_e32 v3, 3, v0
	v_and_b32_e32 v3, 0x7fffffc, v3
	global_load_dwordx4 v[14:17], v[22:23], off
	global_load_dwordx4 v[18:21], v[26:27], off
	global_load_dword v13, v3, s[2:3]
	v_mov_b32_e32 v3, s15
	v_add_co_u32_e32 v4, vcc, s14, v4
	v_addc_co_u32_e32 v5, vcc, v3, v5, vcc
	global_load_dwordx4 v[22:25], v[4:5], off
	v_lshlrev_b64 v[4:5], 2, v[0:1]
	v_mov_b32_e32 v3, s20
	v_add_co_u32_e32 v28, vcc, s13, v4
	v_add_u32_e32 v0, s25, v2
	v_addc_co_u32_e32 v29, vcc, v3, v5, vcc
	v_cmp_le_u32_e64 s[0:1], s12, v0
	s_waitcnt vmcnt(2)
	v_pk_add_f32 v[2:3], v[14:15], v[18:19]
	s_waitcnt vmcnt(1)
	v_div_scale_f32 v14, s[18:19], v13, v13, 1.0
	v_pk_add_f32 v[4:5], v[16:17], v[20:21]
	v_rcp_f32_e32 v16, v14
	v_div_scale_f32 v15, vcc, 1.0, v13, 1.0
	global_store_dwordx4 v[26:27], v[2:5], off
	v_fma_f32 v17, -v14, v16, 1.0
	v_fmac_f32_e32 v16, v17, v16
	v_mul_f32_e32 v17, v15, v16
	v_fma_f32 v18, -v14, v17, v15
	v_fmac_f32_e32 v17, v18, v16
	v_fma_f32 v14, -v14, v17, v15
	v_mul_f32_e32 v2, v36, v2
	v_div_fmas_f32 v14, v14, v16, v17
	v_mul_f32_e32 v3, v36, v3
	s_waitcnt vmcnt(1)
	v_mul_f32_e32 v2, v22, v2
	v_div_fixup_f32 v13, v14, v13, 1.0
	v_mul_f32_e32 v4, v36, v4
	v_mul_f32_e32 v3, v23, v3
	;; [unrolled: 1-line block ×6, first 2 shown]
	v_rndne_f32_e32 v2, v2
	v_mul_f32_e32 v5, v25, v5
	v_mul_f32_e32 v4, v4, v13
	v_rndne_f32_e32 v3, v3
	v_cmp_nlt_f32_e32 vcc, s23, v2
	v_mul_f32_e32 v5, v5, v13
	v_rndne_f32_e32 v4, v4
	v_cndmask_b32_e32 v13, v9, v2, vcc
	v_cmp_nlt_f32_e32 vcc, s23, v3
	v_rndne_f32_e32 v5, v5
	v_cndmask_b32_e32 v14, v9, v3, vcc
	v_cmp_nlt_f32_e32 vcc, s23, v4
	v_cndmask_b32_e32 v15, v9, v4, vcc
	v_cmp_nlt_f32_e32 vcc, s23, v5
	v_cndmask_b32_e32 v16, v9, v5, vcc
	v_cmp_ngt_f32_e32 vcc, s24, v2
	v_cndmask_b32_e32 v2, v10, v13, vcc
	v_cmp_ngt_f32_e32 vcc, s24, v3
	;; [unrolled: 2-line block ×4, first 2 shown]
	v_cvt_i32_f32_e32 v4, v4
	v_cndmask_b32_e32 v5, v10, v16, vcc
	v_cvt_i32_f32_e32 v3, v3
	v_cvt_i32_f32_e32 v2, v2
	;; [unrolled: 1-line block ×3, first 2 shown]
	v_and_b32_e32 v4, 0xff, v4
	v_lshlrev_b32_e32 v4, 16, v4
	v_lshlrev_b32_sdwa v3, v12, v3 dst_sel:DWORD dst_unused:UNUSED_PAD src0_sel:DWORD src1_sel:BYTE_0
	v_and_b32_e32 v2, 0xff, v2
	v_lshl_or_b32 v4, v5, 24, v4
	v_or3_b32 v2, v4, v3, v2
	s_orn2_b64 s[18:19], s[0:1], exec
	global_store_dword v[28:29], v2, off
	s_branch .LBB23_54
.LBB23_61:
	s_endpgm
	.section	.rodata,"a",@progbits
	.p2align	6, 0x0
	.amdhsa_kernel _ZN4vllm31rms_norm_per_block_quant_kernelIfaLb1ELb0ELi128EEEvPT0_PfPKT_S6_PKffiiPS4_l
		.amdhsa_group_segment_fixed_size 4164
		.amdhsa_private_segment_fixed_size 0
		.amdhsa_kernarg_size 328
		.amdhsa_user_sgpr_count 6
		.amdhsa_user_sgpr_private_segment_buffer 1
		.amdhsa_user_sgpr_dispatch_ptr 0
		.amdhsa_user_sgpr_queue_ptr 0
		.amdhsa_user_sgpr_kernarg_segment_ptr 1
		.amdhsa_user_sgpr_dispatch_id 0
		.amdhsa_user_sgpr_flat_scratch_init 0
		.amdhsa_user_sgpr_kernarg_preload_length 0
		.amdhsa_user_sgpr_kernarg_preload_offset 0
		.amdhsa_user_sgpr_private_segment_size 0
		.amdhsa_uses_dynamic_stack 0
		.amdhsa_system_sgpr_private_segment_wavefront_offset 0
		.amdhsa_system_sgpr_workgroup_id_x 1
		.amdhsa_system_sgpr_workgroup_id_y 0
		.amdhsa_system_sgpr_workgroup_id_z 0
		.amdhsa_system_sgpr_workgroup_info 0
		.amdhsa_system_vgpr_workitem_id 0
		.amdhsa_next_free_vgpr 44
		.amdhsa_next_free_sgpr 48
		.amdhsa_accum_offset 44
		.amdhsa_reserve_vcc 1
		.amdhsa_reserve_flat_scratch 0
		.amdhsa_float_round_mode_32 0
		.amdhsa_float_round_mode_16_64 0
		.amdhsa_float_denorm_mode_32 3
		.amdhsa_float_denorm_mode_16_64 3
		.amdhsa_dx10_clamp 1
		.amdhsa_ieee_mode 1
		.amdhsa_fp16_overflow 0
		.amdhsa_tg_split 0
		.amdhsa_exception_fp_ieee_invalid_op 0
		.amdhsa_exception_fp_denorm_src 0
		.amdhsa_exception_fp_ieee_div_zero 0
		.amdhsa_exception_fp_ieee_overflow 0
		.amdhsa_exception_fp_ieee_underflow 0
		.amdhsa_exception_fp_ieee_inexact 0
		.amdhsa_exception_int_div_zero 0
	.end_amdhsa_kernel
	.section	.text._ZN4vllm31rms_norm_per_block_quant_kernelIfaLb1ELb0ELi128EEEvPT0_PfPKT_S6_PKffiiPS4_l,"axG",@progbits,_ZN4vllm31rms_norm_per_block_quant_kernelIfaLb1ELb0ELi128EEEvPT0_PfPKT_S6_PKffiiPS4_l,comdat
.Lfunc_end23:
	.size	_ZN4vllm31rms_norm_per_block_quant_kernelIfaLb1ELb0ELi128EEEvPT0_PfPKT_S6_PKffiiPS4_l, .Lfunc_end23-_ZN4vllm31rms_norm_per_block_quant_kernelIfaLb1ELb0ELi128EEEvPT0_PfPKT_S6_PKffiiPS4_l
                                        ; -- End function
	.section	.AMDGPU.csdata,"",@progbits
; Kernel info:
; codeLenInByte = 5872
; NumSgprs: 52
; NumVgprs: 44
; NumAgprs: 0
; TotalNumVgprs: 44
; ScratchSize: 0
; MemoryBound: 0
; FloatMode: 240
; IeeeMode: 1
; LDSByteSize: 4164 bytes/workgroup (compile time only)
; SGPRBlocks: 6
; VGPRBlocks: 5
; NumSGPRsForWavesPerEU: 52
; NumVGPRsForWavesPerEU: 44
; AccumOffset: 44
; Occupancy: 8
; WaveLimiterHint : 0
; COMPUTE_PGM_RSRC2:SCRATCH_EN: 0
; COMPUTE_PGM_RSRC2:USER_SGPR: 6
; COMPUTE_PGM_RSRC2:TRAP_HANDLER: 0
; COMPUTE_PGM_RSRC2:TGID_X_EN: 1
; COMPUTE_PGM_RSRC2:TGID_Y_EN: 0
; COMPUTE_PGM_RSRC2:TGID_Z_EN: 0
; COMPUTE_PGM_RSRC2:TIDIG_COMP_CNT: 0
; COMPUTE_PGM_RSRC3_GFX90A:ACCUM_OFFSET: 10
; COMPUTE_PGM_RSRC3_GFX90A:TG_SPLIT: 0
	.section	.text._ZN4vllm31rms_norm_per_block_quant_kernelIfN3c1013Float8_e4m3fnELb0ELb1ELi128EEEvPT0_PfPKT_S8_PKffiiPS6_l,"axG",@progbits,_ZN4vllm31rms_norm_per_block_quant_kernelIfN3c1013Float8_e4m3fnELb0ELb1ELi128EEEvPT0_PfPKT_S8_PKffiiPS6_l,comdat
	.protected	_ZN4vllm31rms_norm_per_block_quant_kernelIfN3c1013Float8_e4m3fnELb0ELb1ELi128EEEvPT0_PfPKT_S8_PKffiiPS6_l ; -- Begin function _ZN4vllm31rms_norm_per_block_quant_kernelIfN3c1013Float8_e4m3fnELb0ELb1ELi128EEEvPT0_PfPKT_S8_PKffiiPS6_l
	.globl	_ZN4vllm31rms_norm_per_block_quant_kernelIfN3c1013Float8_e4m3fnELb0ELb1ELi128EEEvPT0_PfPKT_S8_PKffiiPS6_l
	.p2align	8
	.type	_ZN4vllm31rms_norm_per_block_quant_kernelIfN3c1013Float8_e4m3fnELb0ELb1ELi128EEEvPT0_PfPKT_S8_PKffiiPS6_l,@function
_ZN4vllm31rms_norm_per_block_quant_kernelIfN3c1013Float8_e4m3fnELb0ELb1ELi128EEEvPT0_PfPKT_S8_PKffiiPS6_l: ; @_ZN4vllm31rms_norm_per_block_quant_kernelIfN3c1013Float8_e4m3fnELb0ELb1ELi128EEEvPT0_PfPKT_S8_PKffiiPS6_l
; %bb.0:
	s_load_dwordx4 s[16:19], s[4:5], 0x28
	s_load_dwordx8 s[8:15], s[4:5], 0x0
	s_load_dword s45, s[4:5], 0x48
	s_mov_b32 s7, 0
	v_mov_b32_e32 v1, 0
	s_waitcnt lgkmcnt(0)
	s_ashr_i32 s0, s18, 31
	s_mul_hi_u32 s1, s18, s6
	s_mul_i32 s0, s0, s6
	s_add_i32 s1, s1, s0
	s_mul_i32 s0, s18, s6
	s_lshl_b64 s[0:1], s[0:1], 2
	s_add_u32 s33, s12, s0
	s_addc_u32 s44, s13, s1
	s_ashr_i32 s12, s17, 2
	s_add_u32 s18, s4, 0x48
	s_mov_b32 s20, s17
	v_cmp_gt_u32_e64 s[0:1], s12, v0
	s_addc_u32 s19, s5, 0
	s_and_saveexec_b64 s[2:3], s[0:1]
	s_cbranch_execz .LBB24_10
; %bb.1:
	s_cmp_lt_u32 s6, s45
	s_cselect_b32 s13, 12, 18
	s_add_u32 s22, s18, s13
	s_addc_u32 s23, s19, 0
	v_mov_b32_e32 v3, 0
	global_load_ushort v8, v3, s[22:23]
	s_mov_b64 s[22:23], 0
	v_mov_b32_e32 v9, s44
	v_mov_b32_e32 v2, v0
                                        ; implicit-def: $sgpr24_sgpr25
	s_waitcnt vmcnt(0)
	v_add_u32_e32 v1, v8, v8
	v_mul_lo_u32 v10, v8, 3
	v_lshlrev_b32_e32 v11, 1, v8
	v_add_u32_e32 v12, v1, v8
	v_mov_b32_e32 v1, v3
	s_branch .LBB24_5
.LBB24_2:                               ;   in Loop: Header=BB24_5 Depth=1
	s_or_b64 exec, exec, s[30:31]
	s_orn2_b64 s[30:31], s[34:35], exec
.LBB24_3:                               ;   in Loop: Header=BB24_5 Depth=1
	s_or_b64 exec, exec, s[28:29]
	s_andn2_b64 s[24:25], s[24:25], exec
	s_and_b64 s[28:29], s[30:31], exec
	s_or_b64 s[24:25], s[24:25], s[28:29]
.LBB24_4:                               ;   in Loop: Header=BB24_5 Depth=1
	s_or_b64 exec, exec, s[26:27]
	s_and_b64 s[26:27], exec, s[24:25]
	s_or_b64 s[22:23], s[26:27], s[22:23]
	s_andn2_b64 exec, exec, s[22:23]
	s_cbranch_execz .LBB24_9
.LBB24_5:                               ; =>This Inner Loop Header: Depth=1
	v_lshlrev_b64 v[4:5], 4, v[2:3]
	v_add_co_u32_e32 v4, vcc, s33, v4
	v_addc_co_u32_e32 v5, vcc, v9, v5, vcc
	global_load_dwordx4 v[14:17], v[4:5], off
	v_add_u32_e32 v4, v2, v8
	v_cmp_gt_u32_e32 vcc, s12, v4
	s_or_b64 s[24:25], s[24:25], exec
	s_waitcnt vmcnt(0)
	v_fmac_f32_e32 v1, v14, v14
	v_fmac_f32_e32 v1, v15, v15
	;; [unrolled: 1-line block ×4, first 2 shown]
	s_and_saveexec_b64 s[26:27], vcc
	s_cbranch_execz .LBB24_4
; %bb.6:                                ;   in Loop: Header=BB24_5 Depth=1
	v_mov_b32_e32 v5, v3
	v_lshlrev_b64 v[6:7], 4, v[4:5]
	v_add_co_u32_e32 v6, vcc, s33, v6
	v_addc_co_u32_e32 v7, vcc, v9, v7, vcc
	global_load_dwordx4 v[14:17], v[6:7], off
	v_add_u32_e32 v6, v11, v2
	v_cmp_gt_u32_e32 vcc, s12, v6
	s_mov_b64 s[30:31], -1
	s_waitcnt vmcnt(0)
	v_fmac_f32_e32 v1, v14, v14
	v_fmac_f32_e32 v1, v15, v15
	v_fmac_f32_e32 v1, v16, v16
	v_fmac_f32_e32 v1, v17, v17
	s_and_saveexec_b64 s[28:29], vcc
	s_cbranch_execz .LBB24_3
; %bb.7:                                ;   in Loop: Header=BB24_5 Depth=1
	v_mov_b32_e32 v7, v3
	v_lshlrev_b64 v[6:7], 4, v[6:7]
	v_add_co_u32_e32 v6, vcc, s33, v6
	v_addc_co_u32_e32 v7, vcc, v9, v7, vcc
	global_load_dwordx4 v[14:17], v[6:7], off
	v_add_u32_e32 v2, v10, v2
	v_cmp_gt_u32_e32 vcc, s12, v2
	s_mov_b64 s[34:35], -1
	s_waitcnt vmcnt(0)
	v_fmac_f32_e32 v1, v14, v14
	v_fmac_f32_e32 v1, v15, v15
	;; [unrolled: 1-line block ×4, first 2 shown]
	s_and_saveexec_b64 s[30:31], vcc
	s_xor_b64 s[30:31], exec, s[30:31]
	s_cbranch_execz .LBB24_2
; %bb.8:                                ;   in Loop: Header=BB24_5 Depth=1
	v_lshlrev_b64 v[6:7], 4, v[2:3]
	v_add_co_u32_e32 v6, vcc, s33, v6
	v_addc_co_u32_e32 v7, vcc, v9, v7, vcc
	global_load_dwordx4 v[14:17], v[6:7], off
	v_add_u32_e32 v2, v12, v4
	v_cmp_le_u32_e32 vcc, s12, v2
	s_orn2_b64 s[34:35], vcc, exec
	s_waitcnt vmcnt(0)
	v_fmac_f32_e32 v1, v14, v14
	v_fmac_f32_e32 v1, v15, v15
	;; [unrolled: 1-line block ×4, first 2 shown]
	s_branch .LBB24_2
.LBB24_9:
	s_or_b64 exec, exec, s[22:23]
.LBB24_10:
	s_or_b64 exec, exec, s[2:3]
	v_mbcnt_lo_u32_b32 v2, -1, 0
	v_mbcnt_hi_u32_b32 v2, -1, v2
	v_and_b32_e32 v3, 63, v2
	v_cmp_ne_u32_e32 vcc, 63, v3
	s_load_dword s2, s[18:19], 0xc
	v_addc_co_u32_e32 v4, vcc, 0, v2, vcc
	v_lshlrev_b32_e32 v4, 2, v4
	ds_bpermute_b32 v4, v4, v1
	s_waitcnt lgkmcnt(0)
	s_and_b32 s13, s2, 0xffff
	v_and_b32_e32 v5, 0x3c0, v0
	v_sub_u32_e64 v5, s13, v5 clamp
	v_add_u32_e32 v6, 1, v2
	v_add_f32_e32 v4, v1, v4
	v_cmp_lt_u32_e32 vcc, v6, v5
	v_cndmask_b32_e32 v1, v1, v4, vcc
	v_cmp_gt_u32_e32 vcc, 62, v3
	v_cndmask_b32_e64 v4, 0, 1, vcc
	v_lshlrev_b32_e32 v4, 1, v4
	v_add_lshl_u32 v4, v4, v2, 2
	ds_bpermute_b32 v4, v4, v1
	v_add_u32_e32 v6, 2, v2
	v_cmp_lt_u32_e32 vcc, v6, v5
	v_add_u32_e32 v6, 4, v2
	s_waitcnt lgkmcnt(0)
	v_add_f32_e32 v4, v1, v4
	v_cndmask_b32_e32 v1, v1, v4, vcc
	v_cmp_gt_u32_e32 vcc, 60, v3
	v_cndmask_b32_e64 v4, 0, 1, vcc
	v_lshlrev_b32_e32 v4, 2, v4
	v_add_lshl_u32 v4, v4, v2, 2
	ds_bpermute_b32 v4, v4, v1
	v_cmp_lt_u32_e32 vcc, v6, v5
	v_add_u32_e32 v6, 8, v2
	s_waitcnt lgkmcnt(0)
	v_add_f32_e32 v4, v1, v4
	v_cndmask_b32_e32 v1, v1, v4, vcc
	v_cmp_gt_u32_e32 vcc, 56, v3
	v_cndmask_b32_e64 v4, 0, 1, vcc
	v_lshlrev_b32_e32 v4, 3, v4
	v_add_lshl_u32 v4, v4, v2, 2
	ds_bpermute_b32 v4, v4, v1
	;; [unrolled: 10-line block ×3, first 2 shown]
	v_cmp_lt_u32_e32 vcc, v6, v5
	s_waitcnt lgkmcnt(0)
	v_add_f32_e32 v4, v1, v4
	v_cndmask_b32_e32 v1, v1, v4, vcc
	v_cmp_gt_u32_e32 vcc, 32, v3
	v_cndmask_b32_e64 v3, 0, 1, vcc
	v_lshlrev_b32_e32 v3, 5, v3
	v_add_lshl_u32 v3, v3, v2, 2
	ds_bpermute_b32 v3, v3, v1
	v_add_u32_e32 v4, 32, v2
	v_cmp_lt_u32_e32 vcc, v4, v5
	s_waitcnt lgkmcnt(0)
	v_add_f32_e32 v3, v1, v3
	v_cndmask_b32_e32 v1, v1, v3, vcc
	v_cmp_eq_u32_e32 vcc, 0, v2
	s_and_saveexec_b64 s[2:3], vcc
	s_cbranch_execz .LBB24_12
; %bb.11:
	v_lshrrev_b32_e32 v3, 4, v0
	v_and_b32_e32 v3, 60, v3
	ds_write_b32 v3, v1 offset:4096
.LBB24_12:
	s_or_b64 exec, exec, s[2:3]
	v_cmp_gt_u32_e32 vcc, 16, v0
	s_waitcnt lgkmcnt(0)
	s_barrier
	s_and_saveexec_b64 s[22:23], vcc
	s_cbranch_execz .LBB24_14
; %bb.13:
	v_lshlrev_b32_e32 v1, 2, v2
	ds_read_b32 v1, v1 offset:4096
	v_and_b32_e32 v3, 15, v2
	v_cmp_ne_u32_e32 vcc, 15, v3
	v_addc_co_u32_e32 v4, vcc, 0, v2, vcc
	v_lshlrev_b32_e32 v4, 2, v4
	s_waitcnt lgkmcnt(0)
	ds_bpermute_b32 v4, v4, v1
	s_add_i32 s13, s13, 63
	s_lshr_b32 s13, s13, 6
	v_add_u32_e32 v5, 1, v3
	v_cmp_gt_u32_e64 s[2:3], 14, v3
	v_cmp_gt_u32_e32 vcc, s13, v5
	v_cndmask_b32_e64 v5, 0, 1, s[2:3]
	s_waitcnt lgkmcnt(0)
	v_add_f32_e32 v4, v1, v4
	v_lshlrev_b32_e32 v5, 1, v5
	v_cndmask_b32_e32 v4, v1, v4, vcc
	v_add_lshl_u32 v5, v5, v2, 2
	ds_bpermute_b32 v5, v5, v4
	v_add_u32_e32 v6, 2, v3
	v_cmp_gt_u32_e64 s[2:3], s13, v6
	v_add_u32_e32 v6, 4, v3
	s_waitcnt lgkmcnt(0)
	v_add_f32_e32 v5, v4, v5
	v_cndmask_b32_e64 v4, v4, v5, s[2:3]
	v_cmp_gt_u32_e64 s[2:3], 12, v3
	v_cndmask_b32_e64 v5, 0, 1, s[2:3]
	v_lshlrev_b32_e32 v5, 2, v5
	v_add_lshl_u32 v5, v5, v2, 2
	ds_bpermute_b32 v5, v5, v4
	v_cmp_gt_u32_e64 s[2:3], s13, v6
	s_waitcnt lgkmcnt(0)
	v_add_f32_e32 v5, v4, v5
	v_cndmask_b32_e64 v4, v4, v5, s[2:3]
	v_cmp_gt_u32_e64 s[2:3], 8, v3
	v_cndmask_b32_e64 v5, 0, 1, s[2:3]
	v_lshlrev_b32_e32 v5, 3, v5
	v_add_lshl_u32 v2, v5, v2, 2
	ds_bpermute_b32 v2, v2, v4
	v_add_u32_e32 v3, 8, v3
	v_cmp_gt_u32_e64 s[2:3], s13, v3
	s_waitcnt lgkmcnt(0)
	v_add_f32_e32 v2, v4, v2
	v_cndmask_b32_e64 v2, v4, v2, s[2:3]
	v_cndmask_b32_e32 v1, v1, v2, vcc
.LBB24_14:
	s_or_b64 exec, exec, s[22:23]
	v_cmp_eq_u32_e32 vcc, 0, v0
	s_and_saveexec_b64 s[2:3], vcc
	s_cbranch_execz .LBB24_16
; %bb.15:
	v_cvt_f32_i32_e32 v2, s17
	s_mov_b32 s13, 0x800000
	v_div_scale_f32 v3, s[22:23], v2, v2, v1
	v_rcp_f32_e32 v4, v3
	v_div_scale_f32 v5, vcc, v1, v2, v1
	v_fma_f32 v6, -v3, v4, 1.0
	v_fmac_f32_e32 v4, v6, v4
	v_mul_f32_e32 v6, v5, v4
	v_fma_f32 v7, -v3, v6, v5
	v_fmac_f32_e32 v6, v7, v4
	v_fma_f32 v3, -v3, v6, v5
	v_div_fmas_f32 v3, v3, v4, v6
	v_div_fixup_f32 v1, v3, v2, v1
	v_add_f32_e32 v1, s16, v1
	v_mul_f32_e32 v2, 0x4b800000, v1
	v_cmp_gt_f32_e32 vcc, s13, v1
	v_cndmask_b32_e32 v1, v1, v2, vcc
	v_rsq_f32_e32 v1, v1
	v_mul_f32_e32 v2, 0x45800000, v1
	v_cndmask_b32_e32 v1, v1, v2, vcc
	v_mov_b32_e32 v2, 0
	ds_write_b32 v2, v1 offset:4160
.LBB24_16:
	s_or_b64 exec, exec, s[2:3]
	s_ashr_i32 s21, s17, 31
	s_lshr_b32 s2, s21, 25
	s_add_i32 s3, s17, s2
	s_ashr_i32 s2, s3, 7
	s_cmp_lt_u32 s6, s45
	s_cselect_b32 s13, 12, 18
	s_add_u32 s18, s18, s13
	v_mov_b32_e32 v5, 0
	s_addc_u32 s19, s19, 0
	s_waitcnt lgkmcnt(0)
	s_barrier
	global_load_ushort v1, v5, s[18:19]
	ds_read_b32 v36, v5 offset:4160
	s_abs_i32 s13, s2
	v_cvt_f32_u32_e32 v2, s13
	s_sub_i32 s16, 0, s13
	s_ashr_i32 s3, s3, 31
	v_mov_b32_e32 v10, s12
	v_rcp_iflag_f32_e32 v2, v2
	v_mul_f32_e32 v2, 0x4f7ffffe, v2
	v_cvt_u32_f32_e32 v2, v2
	v_readfirstlane_b32 s18, v2
	s_mul_i32 s16, s16, s18
	s_mul_hi_u32 s16, s18, s16
	s_add_i32 s18, s18, s16
	s_waitcnt vmcnt(0)
	v_readfirstlane_b32 s16, v1
	s_mul_hi_u32 s18, s16, s18
	s_mul_i32 s19, s18, s13
	s_sub_i32 s19, s16, s19
	s_add_i32 s22, s18, 1
	s_sub_i32 s23, s19, s13
	s_cmp_ge_u32 s19, s13
	s_cselect_b32 s18, s22, s18
	s_cselect_b32 s19, s23, s19
	s_add_i32 s22, s18, 1
	s_cmp_ge_u32 s19, s13
	s_cselect_b32 s13, s22, s18
	s_xor_b32 s13, s13, s3
	s_sub_i32 s18, s13, s3
	s_abs_i32 s3, s18
	v_cvt_f32_u32_e32 v1, s3
	s_sub_i32 s22, 0, s3
	s_ashr_i32 s19, s18, 31
	s_ashr_i32 s13, s12, 31
	v_rcp_iflag_f32_e32 v1, v1
	v_mov_b32_e32 v11, s13
	v_mul_f32_e32 v1, 0x4f7ffffe, v1
	v_cvt_u32_f32_e32 v1, v1
	v_mul_lo_u32 v2, s22, v1
	v_mul_hi_u32 v2, v1, v2
	v_add_u32_e32 v1, v1, v2
	v_mul_hi_u32 v1, v0, v1
	v_mul_lo_u32 v2, v1, s3
	v_sub_u32_e32 v2, v0, v2
	v_add_u32_e32 v3, 1, v1
	v_cmp_le_u32_e32 vcc, s3, v2
	v_cndmask_b32_e32 v1, v1, v3, vcc
	v_subrev_u32_e32 v3, s3, v2
	v_cndmask_b32_e32 v2, v2, v3, vcc
	v_add_u32_e32 v3, 1, v1
	v_cmp_le_u32_e32 vcc, s3, v2
	v_cndmask_b32_e32 v1, v1, v3, vcc
	v_xor_b32_e32 v1, s19, v1
	v_subrev_u32_e32 v2, s19, v1
	v_mul_lo_u32 v1, v2, s18
	v_ashrrev_i32_e32 v3, 31, v2
	v_sub_u32_e32 v4, v0, v1
	v_lshlrev_b64 v[8:9], 5, v[2:3]
	v_add_co_u32_e32 v6, vcc, v8, v4
	v_addc_co_u32_e32 v7, vcc, 0, v9, vcc
	v_add_co_u32_e32 v8, vcc, 32, v8
	v_addc_co_u32_e32 v9, vcc, 0, v9, vcc
	v_cmp_gt_i64_e32 vcc, s[12:13], v[8:9]
	v_cndmask_b32_e32 v8, v10, v8, vcc
	v_cndmask_b32_e32 v9, v11, v9, vcc
	v_ashrrev_i32_e32 v11, 31, v8
	v_mov_b32_e32 v10, v8
	v_cmp_lt_i64_e32 vcc, v[6:7], v[10:11]
	s_and_saveexec_b64 s[22:23], vcc
	s_cbranch_execz .LBB24_26
; %bb.17:
	v_lshlrev_b64 v[12:13], 9, v[2:3]
	v_lshlrev_b64 v[14:15], 4, v[4:5]
	v_add_co_u32_e32 v12, vcc, v12, v14
	v_addc_co_u32_e32 v1, vcc, v13, v15, vcc
	s_lshl_b64 s[24:25], s[18:19], 6
	s_mul_hi_i32 s3, s18, 3
	s_mul_i32 s13, s18, 3
	s_lshl_b64 s[26:27], s[18:19], 1
	s_lshl_b64 s[30:31], s[18:19], 4
	s_mov_b64 s[28:29], 0
	v_mov_b32_e32 v5, 0
	v_mov_b32_e32 v13, s44
	;; [unrolled: 1-line block ×4, first 2 shown]
	v_pk_mov_b32 v[14:15], v[6:7], v[6:7] op_sel:[0,1]
                                        ; implicit-def: $sgpr34_sgpr35
	s_branch .LBB24_21
.LBB24_18:                              ;   in Loop: Header=BB24_21 Depth=1
	s_or_b64 exec, exec, s[40:41]
	s_orn2_b64 s[40:41], s[42:43], exec
.LBB24_19:                              ;   in Loop: Header=BB24_21 Depth=1
	s_or_b64 exec, exec, s[38:39]
	s_andn2_b64 s[34:35], s[34:35], exec
	s_and_b64 s[38:39], s[40:41], exec
	s_or_b64 s[34:35], s[34:35], s[38:39]
.LBB24_20:                              ;   in Loop: Header=BB24_21 Depth=1
	s_or_b64 exec, exec, s[36:37]
	s_and_b64 s[36:37], exec, s[34:35]
	s_or_b64 s[28:29], s[36:37], s[28:29]
	s_andn2_b64 exec, exec, s[28:29]
	s_cbranch_execz .LBB24_25
.LBB24_21:                              ; =>This Inner Loop Header: Depth=1
	v_add_co_u32_e32 v18, vcc, s33, v12
	v_addc_co_u32_e32 v19, vcc, v13, v1, vcc
	v_add_co_u32_e32 v20, vcc, s14, v12
	global_load_dwordx4 v[24:27], v[18:19], off
	v_addc_co_u32_e32 v21, vcc, v22, v1, vcc
	global_load_dwordx4 v[28:31], v[20:21], off
	v_add_co_u32_e32 v16, vcc, s18, v14
	v_addc_co_u32_e32 v17, vcc, v15, v23, vcc
	v_cmp_lt_i64_e32 vcc, v[16:17], v[10:11]
	s_or_b64 s[34:35], s[34:35], exec
	s_waitcnt vmcnt(1) lgkmcnt(0)
	v_mul_f32_e32 v24, v36, v24
	v_mul_f32_e32 v25, v36, v25
	;; [unrolled: 1-line block ×4, first 2 shown]
	s_waitcnt vmcnt(0)
	v_mul_f32_e32 v24, v24, v28
	v_mul_f32_e32 v25, v25, v29
	v_mul_f32_e32 v26, v26, v30
	v_mul_f32_e32 v27, v27, v31
	v_max3_f32 v5, v5, |v24|, |v25|
	v_max3_f32 v5, v5, |v26|, |v27|
	s_and_saveexec_b64 s[36:37], vcc
	s_cbranch_execz .LBB24_20
; %bb.22:                               ;   in Loop: Header=BB24_21 Depth=1
	v_mov_b32_e32 v28, s31
	v_add_co_u32_e32 v18, vcc, s30, v18
	v_addc_co_u32_e32 v19, vcc, v19, v28, vcc
	v_add_co_u32_e32 v20, vcc, s30, v20
	global_load_dwordx4 v[24:27], v[18:19], off
	v_addc_co_u32_e32 v21, vcc, v21, v28, vcc
	global_load_dwordx4 v[28:31], v[20:21], off
	v_mov_b32_e32 v33, s27
	v_add_co_u32_e32 v32, vcc, s26, v14
	v_addc_co_u32_e32 v33, vcc, v33, v15, vcc
	v_cmp_lt_i64_e32 vcc, v[32:33], v[10:11]
	s_mov_b64 s[40:41], -1
	s_waitcnt vmcnt(1)
	v_mul_f32_e32 v24, v36, v24
	v_mul_f32_e32 v25, v36, v25
	;; [unrolled: 1-line block ×4, first 2 shown]
	s_waitcnt vmcnt(0)
	v_mul_f32_e32 v24, v24, v28
	v_mul_f32_e32 v25, v25, v29
	;; [unrolled: 1-line block ×4, first 2 shown]
	v_max3_f32 v5, v5, |v24|, |v25|
	v_max3_f32 v5, v5, |v26|, |v27|
	s_and_saveexec_b64 s[38:39], vcc
	s_cbranch_execz .LBB24_19
; %bb.23:                               ;   in Loop: Header=BB24_21 Depth=1
	v_mov_b32_e32 v28, s31
	v_add_co_u32_e32 v18, vcc, s30, v18
	v_addc_co_u32_e32 v19, vcc, v19, v28, vcc
	v_add_co_u32_e32 v20, vcc, s30, v20
	global_load_dwordx4 v[24:27], v[18:19], off
	v_addc_co_u32_e32 v21, vcc, v21, v28, vcc
	global_load_dwordx4 v[28:31], v[20:21], off
	v_mov_b32_e32 v32, s3
	v_add_co_u32_e32 v14, vcc, s13, v14
	v_addc_co_u32_e32 v15, vcc, v32, v15, vcc
	v_cmp_lt_i64_e32 vcc, v[14:15], v[10:11]
	s_mov_b64 s[42:43], -1
	s_waitcnt vmcnt(1)
	v_mul_f32_e32 v14, v36, v24
	v_mul_f32_e32 v15, v36, v25
	;; [unrolled: 1-line block ×4, first 2 shown]
	s_waitcnt vmcnt(0)
	v_mul_f32_e32 v14, v14, v28
	v_mul_f32_e32 v15, v15, v29
	;; [unrolled: 1-line block ×4, first 2 shown]
	v_max3_f32 v5, v5, |v14|, |v15|
	v_max3_f32 v5, v5, |v24|, |v25|
                                        ; implicit-def: $vgpr14_vgpr15
	s_and_saveexec_b64 s[40:41], vcc
	s_xor_b64 s[40:41], exec, s[40:41]
	s_cbranch_execz .LBB24_18
; %bb.24:                               ;   in Loop: Header=BB24_21 Depth=1
	v_mov_b32_e32 v28, s31
	v_add_co_u32_e32 v14, vcc, s30, v18
	v_addc_co_u32_e32 v15, vcc, v19, v28, vcc
	global_load_dwordx4 v[24:27], v[14:15], off
	v_add_co_u32_e32 v14, vcc, s30, v20
	v_addc_co_u32_e32 v15, vcc, v21, v28, vcc
	global_load_dwordx4 v[18:21], v[14:15], off
	s_add_u32 s42, s18, s18
	s_addc_u32 s43, s19, s19
	v_mov_b32_e32 v14, s25
	v_add_co_u32_e32 v12, vcc, s24, v12
	s_add_u32 s42, s42, s18
	v_addc_co_u32_e32 v1, vcc, v1, v14, vcc
	s_addc_u32 s43, s43, s19
	v_mov_b32_e32 v15, s43
	v_add_co_u32_e32 v14, vcc, s42, v16
	v_addc_co_u32_e32 v15, vcc, v15, v17, vcc
	v_cmp_ge_i64_e32 vcc, v[14:15], v[10:11]
	s_orn2_b64 s[42:43], vcc, exec
	s_waitcnt vmcnt(1)
	v_mul_f32_e32 v16, v36, v24
	v_mul_f32_e32 v17, v36, v25
	;; [unrolled: 1-line block ×4, first 2 shown]
	s_waitcnt vmcnt(0)
	v_mul_f32_e32 v16, v16, v18
	v_mul_f32_e32 v17, v17, v19
	;; [unrolled: 1-line block ×4, first 2 shown]
	v_max3_f32 v5, v5, |v16|, |v17|
	v_max3_f32 v5, v5, |v18|, |v19|
	s_branch .LBB24_18
.LBB24_25:
	s_or_b64 exec, exec, s[28:29]
.LBB24_26:
	s_or_b64 exec, exec, s[22:23]
	s_lshr_b32 s13, s16, 6
	v_cvt_f32_u32_e32 v10, s13
	v_lshlrev_b32_e32 v1, 2, v0
	ds_write_b32 v1, v5
	s_sub_i32 s23, 0, s13
	v_rcp_iflag_f32_e32 v5, v10
	s_add_i32 s3, s2, s13
	s_add_i32 s3, s3, -1
	s_ashr_i32 s22, s3, 31
	v_mul_f32_e32 v5, 0x4f7ffffe, v5
	v_cvt_u32_f32_e32 v5, v5
	s_abs_i32 s3, s3
	s_waitcnt lgkmcnt(0)
	s_barrier
	v_readfirstlane_b32 s24, v5
	s_mul_i32 s23, s23, s24
	s_mul_hi_u32 s23, s24, s23
	s_add_i32 s24, s24, s23
	s_mul_hi_u32 s23, s3, s24
	s_mul_i32 s24, s23, s13
	s_sub_i32 s3, s3, s24
	s_add_i32 s24, s23, 1
	s_sub_i32 s25, s3, s13
	s_cmp_ge_u32 s3, s13
	s_cselect_b32 s23, s24, s23
	s_cselect_b32 s3, s25, s3
	s_add_i32 s24, s23, 1
	s_cmp_ge_u32 s3, s13
	s_cselect_b32 s3, s24, s23
	s_xor_b32 s3, s3, s22
	s_sub_i32 s22, s3, s22
	s_ashr_i32 s23, s22, 31
	v_cmp_lt_i64_e64 s[24:25], s[22:23], 1
	s_and_b64 vcc, exec, s[24:25]
	s_cbranch_vccnz .LBB24_48
; %bb.27:
	v_and_b32_e32 v12, 63, v0
	v_add_co_u32_e32 v14, vcc, 32, v12
	v_addc_co_u32_e64 v15, s[24:25], 0, 0, vcc
	v_add_co_u32_e32 v16, vcc, 16, v12
	v_addc_co_u32_e64 v17, s[24:25], 0, 0, vcc
	;; [unrolled: 2-line block ×4, first 2 shown]
	v_add_co_u32_e32 v22, vcc, 2, v12
	v_lshrrev_b32_e32 v10, 6, v0
	v_addc_co_u32_e64 v23, s[24:25], 0, 0, vcc
	v_add_co_u32_e32 v24, vcc, 1, v12
	v_addc_co_u32_e64 v25, s[24:25], 0, 0, vcc
	v_mul_lo_u32 v5, s18, v10
	v_lshlrev_b32_e32 v5, 2, v5
	v_lshlrev_b32_e32 v26, 2, v12
	s_movk_i32 s24, 0x100
	v_mov_b32_e32 v11, 0
	v_add3_u32 v5, v5, v26, s24
	s_mul_i32 s24, s18, s13
	s_ashr_i32 s3, s2, 31
	v_mov_b32_e32 v13, v11
	s_lshl_b32 s36, s24, 2
	s_mov_b64 s[24:25], 0
	v_mov_b32_e32 v37, s13
	s_mov_b64 s[26:27], src_shared_base
	s_branch .LBB24_30
.LBB24_28:                              ;   in Loop: Header=BB24_30 Depth=1
	s_or_b64 exec, exec, s[30:31]
	v_mov_b32_e32 v27, s27
	flat_load_dword v26, v[26:27] glc
	s_waitcnt vmcnt(0)
.LBB24_29:                              ;   in Loop: Header=BB24_30 Depth=1
	s_or_b64 exec, exec, s[28:29]
	s_add_u32 s24, s24, 1
	s_addc_u32 s25, s25, 0
	s_cmp_eq_u64 s[24:25], s[22:23]
	v_add_u32_e32 v5, s36, v5
	s_cbranch_scc1 .LBB24_48
.LBB24_30:                              ; =>This Loop Header: Depth=1
                                        ;     Child Loop BB24_33 Depth 2
	v_mad_u64_u32 v[30:31], s[28:29], s24, v37, v[10:11]
	s_mul_i32 s26, s25, s13
	v_add_u32_e32 v31, s26, v31
	v_cmp_gt_i64_e32 vcc, s[2:3], v[30:31]
	s_and_saveexec_b64 s[28:29], vcc
	s_cbranch_execz .LBB24_29
; %bb.31:                               ;   in Loop: Header=BB24_30 Depth=1
	v_pk_mov_b32 v[32:33], s[18:19], s[18:19] op_sel:[0,1]
	v_mul_lo_u32 v29, v31, s18
	v_mul_lo_u32 v38, v30, s19
	v_mad_u64_u32 v[32:33], s[30:31], v30, s18, v[32:33]
	v_add3_u32 v33, v29, v33, v38
	v_mov_b32_e32 v28, s21
	v_cmp_gt_i64_e32 vcc, s[20:21], v[32:33]
	s_waitcnt lgkmcnt(0)
	v_mad_u64_u32 v[26:27], s[30:31], v30, s18, v[12:13]
	v_cndmask_b32_e32 v33, v28, v33, vcc
	v_mov_b32_e32 v28, s17
	v_add3_u32 v27, v29, v27, v38
	v_cndmask_b32_e32 v32, v28, v32, vcc
	v_add_co_u32_e32 v34, vcc, 64, v26
	v_addc_co_u32_e32 v35, vcc, 0, v27, vcc
	v_cmp_lt_i64_e32 vcc, v[34:35], v[32:33]
	v_lshlrev_b32_e32 v28, 2, v26
	s_and_saveexec_b64 s[30:31], vcc
	s_cbranch_execz .LBB24_34
; %bb.32:                               ;   in Loop: Header=BB24_30 Depth=1
	ds_read_b32 v31, v28
	s_mov_b64 s[34:35], 0
	v_mov_b32_e32 v27, v5
.LBB24_33:                              ;   Parent Loop BB24_30 Depth=1
                                        ; =>  This Inner Loop Header: Depth=2
	ds_read_b32 v39, v27
	v_add_co_u32_e32 v34, vcc, 64, v34
	v_addc_co_u32_e32 v35, vcc, 0, v35, vcc
	s_waitcnt lgkmcnt(1)
	v_max_f32_e32 v31, v31, v31
	v_cmp_ge_i64_e32 vcc, v[34:35], v[32:33]
	s_waitcnt lgkmcnt(0)
	v_max_f32_e32 v39, v39, v39
	v_add_u32_e32 v27, 0x100, v27
	s_or_b64 s[34:35], vcc, s[34:35]
	v_max_f32_e32 v31, v31, v39
	ds_write_b32 v28, v31
	s_andn2_b64 exec, exec, s[34:35]
	s_cbranch_execnz .LBB24_33
.LBB24_34:                              ;   in Loop: Header=BB24_30 Depth=1
	s_or_b64 exec, exec, s[30:31]
	v_mad_u64_u32 v[30:31], s[30:31], v30, s18, 0
	v_add3_u32 v27, v31, v38, v29
	v_sub_co_u32_e32 v30, vcc, v32, v30
	v_subb_co_u32_e32 v31, vcc, v33, v27, vcc
	v_cmp_gt_i64_e32 vcc, 64, v[30:31]
	v_cndmask_b32_e32 v31, 0, v31, vcc
	v_cndmask_b32_e32 v30, 64, v30, vcc
	v_cmp_lt_i64_e32 vcc, v[14:15], v[30:31]
	s_and_saveexec_b64 s[30:31], vcc
	s_cbranch_execnz .LBB24_46
; %bb.35:                               ;   in Loop: Header=BB24_30 Depth=1
	s_or_b64 exec, exec, s[30:31]
	v_cmp_lt_i64_e32 vcc, v[16:17], v[30:31]
	s_and_saveexec_b64 s[30:31], vcc
	s_cbranch_execnz .LBB24_47
.LBB24_36:                              ;   in Loop: Header=BB24_30 Depth=1
	s_or_b64 exec, exec, s[30:31]
	v_cmp_lt_i64_e32 vcc, v[18:19], v[30:31]
	s_and_saveexec_b64 s[30:31], vcc
	s_cbranch_execz .LBB24_38
.LBB24_37:                              ;   in Loop: Header=BB24_30 Depth=1
	v_mov_b32_e32 v29, s27
	v_add_u32_e32 v32, 32, v28
	v_mov_b32_e32 v33, s27
	flat_load_dword v27, v[28:29] glc
	s_waitcnt vmcnt(0)
	flat_load_dword v34, v[32:33] glc
	s_waitcnt vmcnt(0) lgkmcnt(0)
	v_max_f32_e32 v27, v27, v27
	v_max_f32_e32 v32, v34, v34
	v_max_f32_e32 v27, v27, v32
	flat_store_dword v[28:29], v27
	s_waitcnt vmcnt(0)
.LBB24_38:                              ;   in Loop: Header=BB24_30 Depth=1
	s_or_b64 exec, exec, s[30:31]
	v_cmp_ge_i64_e32 vcc, v[20:21], v[30:31]
	s_and_saveexec_b64 s[30:31], vcc
	s_xor_b64 s[30:31], exec, s[30:31]
; %bb.39:                               ;   in Loop: Header=BB24_30 Depth=1
                                        ; implicit-def: $vgpr28
; %bb.40:                               ;   in Loop: Header=BB24_30 Depth=1
	s_andn2_saveexec_b64 s[30:31], s[30:31]
	s_cbranch_execz .LBB24_42
; %bb.41:                               ;   in Loop: Header=BB24_30 Depth=1
	v_mov_b32_e32 v29, s27
	v_add_u32_e32 v32, 16, v28
	v_mov_b32_e32 v33, s27
	flat_load_dword v27, v[28:29] glc
	s_waitcnt vmcnt(0)
	flat_load_dword v34, v[32:33] glc
	s_waitcnt vmcnt(0) lgkmcnt(0)
	v_max_f32_e32 v27, v27, v27
	v_max_f32_e32 v32, v34, v34
	;; [unrolled: 1-line block ×3, first 2 shown]
	flat_store_dword v[28:29], v27
	s_waitcnt vmcnt(0)
.LBB24_42:                              ;   in Loop: Header=BB24_30 Depth=1
	s_or_b64 exec, exec, s[30:31]
	v_cmp_lt_i64_e32 vcc, v[22:23], v[30:31]
	v_lshlrev_b32_e32 v26, 2, v26
	s_and_saveexec_b64 s[30:31], vcc
	s_cbranch_execz .LBB24_44
; %bb.43:                               ;   in Loop: Header=BB24_30 Depth=1
	v_mov_b32_e32 v27, s27
	v_add_u32_e32 v28, 8, v26
	v_mov_b32_e32 v29, s27
	flat_load_dword v32, v[26:27] glc
	s_waitcnt vmcnt(0)
	flat_load_dword v33, v[28:29] glc
	s_waitcnt vmcnt(0) lgkmcnt(0)
	v_max_f32_e32 v28, v32, v32
	v_max_f32_e32 v29, v33, v33
	;; [unrolled: 1-line block ×3, first 2 shown]
	flat_store_dword v[26:27], v28
	s_waitcnt vmcnt(0)
.LBB24_44:                              ;   in Loop: Header=BB24_30 Depth=1
	s_or_b64 exec, exec, s[30:31]
	v_cmp_lt_i64_e32 vcc, v[24:25], v[30:31]
	s_and_saveexec_b64 s[30:31], vcc
	s_cbranch_execz .LBB24_28
; %bb.45:                               ;   in Loop: Header=BB24_30 Depth=1
	v_mov_b32_e32 v27, s27
	v_add_u32_e32 v28, 4, v26
	v_mov_b32_e32 v29, s27
	flat_load_dword v30, v[26:27] glc
	s_waitcnt vmcnt(0)
	flat_load_dword v31, v[28:29] glc
	s_waitcnt vmcnt(0) lgkmcnt(0)
	v_max_f32_e32 v28, v30, v30
	v_max_f32_e32 v29, v31, v31
	;; [unrolled: 1-line block ×3, first 2 shown]
	flat_store_dword v[26:27], v28
	s_waitcnt vmcnt(0)
	s_branch .LBB24_28
.LBB24_46:                              ;   in Loop: Header=BB24_30 Depth=1
	v_mov_b32_e32 v29, s27
	v_add_u32_e32 v32, 0x80, v28
	v_mov_b32_e32 v33, s27
	flat_load_dword v27, v[28:29] glc
	s_waitcnt vmcnt(0)
	flat_load_dword v34, v[32:33] glc
	s_waitcnt vmcnt(0) lgkmcnt(0)
	v_max_f32_e32 v27, v27, v27
	v_max_f32_e32 v32, v34, v34
	;; [unrolled: 1-line block ×3, first 2 shown]
	flat_store_dword v[28:29], v27
	s_waitcnt vmcnt(0)
	s_or_b64 exec, exec, s[30:31]
	v_cmp_lt_i64_e32 vcc, v[16:17], v[30:31]
	s_and_saveexec_b64 s[30:31], vcc
	s_cbranch_execz .LBB24_36
.LBB24_47:                              ;   in Loop: Header=BB24_30 Depth=1
	v_mov_b32_e32 v29, s27
	v_add_u32_e32 v32, 64, v28
	v_mov_b32_e32 v33, s27
	flat_load_dword v27, v[28:29] glc
	s_waitcnt vmcnt(0)
	flat_load_dword v34, v[32:33] glc
	s_waitcnt vmcnt(0) lgkmcnt(0)
	v_max_f32_e32 v27, v27, v27
	v_max_f32_e32 v32, v34, v34
	;; [unrolled: 1-line block ×3, first 2 shown]
	flat_store_dword v[28:29], v27
	s_waitcnt vmcnt(0)
	s_or_b64 exec, exec, s[30:31]
	v_cmp_lt_i64_e32 vcc, v[18:19], v[30:31]
	s_and_saveexec_b64 s[30:31], vcc
	s_cbranch_execnz .LBB24_37
	s_branch .LBB24_38
.LBB24_48:
	s_load_dwordx2 s[18:19], s[4:5], 0x40
	v_cmp_eq_u32_e32 vcc, 0, v4
	v_cmp_lt_i64_e64 s[2:3], v[6:7], v[8:9]
	s_and_b64 s[2:3], vcc, s[2:3]
	s_waitcnt lgkmcnt(0)
	s_barrier
	s_and_saveexec_b64 s[22:23], s[2:3]
	s_cbranch_execz .LBB24_55
; %bb.49:
	s_load_dwordx2 s[2:3], s[4:5], 0x20
	ds_read_b32 v1, v1
	s_waitcnt lgkmcnt(0)
	s_cmp_eq_u64 s[2:3], 0
	s_cbranch_scc1 .LBB24_51
; %bb.50:
	s_load_dword s2, s[2:3], 0x0
	v_max_f32_e32 v1, v1, v1
	s_waitcnt lgkmcnt(0)
	v_max_f32_e64 v4, s2, s2
	v_min_f32_e32 v1, v1, v4
.LBB24_51:
	s_add_u32 s3, s18, s45
	s_addc_u32 s4, s19, 0
	s_add_u32 s24, s3, -1
	s_addc_u32 s25, s4, -1
	s_or_b64 s[4:5], s[24:25], s[18:19]
	s_mov_b32 s2, 0
	s_mov_b32 s3, s5
	s_cmp_lg_u64 s[2:3], 0
	s_mov_b64 s[26:27], -1
	s_cbranch_scc0 .LBB24_164
; %bb.52:
	s_ashr_i32 s2, s19, 31
	s_add_u32 s4, s18, s2
	s_mov_b32 s3, s2
	s_addc_u32 s5, s19, s2
	s_xor_b64 s[28:29], s[4:5], s[2:3]
	v_cvt_f32_u32_e32 v4, s28
	v_cvt_f32_u32_e32 v5, s29
	s_sub_u32 s2, 0, s28
	s_subb_u32 s3, 0, s29
	v_madmk_f32 v4, v5, 0x4f800000, v4
	v_rcp_f32_e32 v4, v4
	v_mul_f32_e32 v4, 0x5f7ffffc, v4
	v_mul_f32_e32 v5, 0x2f800000, v4
	v_trunc_f32_e32 v5, v5
	v_madmk_f32 v4, v5, 0xcf800000, v4
	v_cvt_u32_f32_e32 v5, v5
	v_cvt_u32_f32_e32 v4, v4
	v_readfirstlane_b32 s4, v5
	v_readfirstlane_b32 s5, v4
	s_mul_i32 s13, s2, s4
	s_mul_hi_u32 s30, s2, s5
	s_mul_i32 s20, s3, s5
	s_add_i32 s13, s30, s13
	s_add_i32 s13, s13, s20
	s_mul_i32 s31, s2, s5
	s_mul_hi_u32 s20, s5, s13
	s_mul_i32 s30, s5, s13
	s_mul_hi_u32 s5, s5, s31
	s_add_u32 s5, s5, s30
	s_addc_u32 s20, 0, s20
	s_mul_hi_u32 s34, s4, s31
	s_mul_i32 s31, s4, s31
	s_add_u32 s5, s5, s31
	s_mul_hi_u32 s30, s4, s13
	s_addc_u32 s5, s20, s34
	s_addc_u32 s20, s30, 0
	s_mul_i32 s13, s4, s13
	s_add_u32 s5, s5, s13
	s_addc_u32 s13, 0, s20
	v_add_co_u32_e32 v4, vcc, s5, v4
	s_cmp_lg_u64 vcc, 0
	s_addc_u32 s4, s4, s13
	v_readfirstlane_b32 s13, v4
	s_mul_i32 s5, s2, s4
	s_mul_hi_u32 s20, s2, s13
	s_add_i32 s5, s20, s5
	s_mul_i32 s3, s3, s13
	s_add_i32 s5, s5, s3
	s_mul_i32 s2, s2, s13
	s_mul_hi_u32 s20, s4, s2
	s_mul_i32 s30, s4, s2
	s_mul_i32 s34, s13, s5
	s_mul_hi_u32 s2, s13, s2
	s_mul_hi_u32 s31, s13, s5
	s_add_u32 s2, s2, s34
	s_addc_u32 s13, 0, s31
	s_add_u32 s2, s2, s30
	s_mul_hi_u32 s3, s4, s5
	s_addc_u32 s2, s13, s20
	s_addc_u32 s3, s3, 0
	s_mul_i32 s5, s4, s5
	s_add_u32 s2, s2, s5
	s_addc_u32 s3, 0, s3
	v_add_co_u32_e32 v4, vcc, s2, v4
	s_cmp_lg_u64 vcc, 0
	s_addc_u32 s4, s4, s3
	s_ashr_i32 s30, s25, 31
	s_add_u32 s2, s24, s30
	s_mov_b32 s31, s30
	s_addc_u32 s3, s25, s30
	s_xor_b64 s[34:35], s[2:3], s[30:31]
	v_readfirstlane_b32 s5, v4
	s_mul_i32 s3, s34, s4
	s_mul_hi_u32 s13, s34, s5
	s_mul_hi_u32 s2, s34, s4
	s_add_u32 s3, s13, s3
	s_addc_u32 s2, 0, s2
	s_mul_hi_u32 s20, s35, s5
	s_mul_i32 s5, s35, s5
	s_add_u32 s3, s3, s5
	s_mul_hi_u32 s13, s35, s4
	s_addc_u32 s2, s2, s20
	s_addc_u32 s3, s13, 0
	s_mul_i32 s4, s35, s4
	s_add_u32 s2, s2, s4
	s_addc_u32 s3, 0, s3
	s_mul_i32 s3, s28, s3
	s_mul_hi_u32 s4, s28, s2
	s_add_i32 s3, s4, s3
	s_mul_i32 s4, s29, s2
	s_mul_i32 s2, s28, s2
	s_add_i32 s13, s3, s4
	v_mov_b32_e32 v4, s2
	s_sub_i32 s3, s35, s13
	v_sub_co_u32_e32 v4, vcc, s34, v4
	s_cmp_lg_u64 vcc, 0
	s_subb_u32 s20, s3, s29
	v_subrev_co_u32_e64 v5, s[2:3], s28, v4
	s_cmp_lg_u64 s[2:3], 0
	s_subb_u32 s31, s20, 0
	s_cmp_ge_u32 s31, s29
	s_cselect_b32 s34, -1, 0
	v_cmp_le_u32_e64 s[4:5], s28, v5
	s_cmp_eq_u32 s31, s29
	v_cndmask_b32_e64 v6, 0, -1, s[4:5]
	v_mov_b32_e32 v7, s34
	s_cselect_b64 s[4:5], -1, 0
	s_cmp_lg_u64 s[2:3], 0
	v_cndmask_b32_e64 v6, v7, v6, s[4:5]
	s_subb_u32 s4, s20, s29
	v_subrev_co_u32_e64 v7, s[2:3], s28, v5
	s_cmp_lg_u64 s[2:3], 0
	s_subb_u32 s4, s4, 0
	v_cmp_ne_u32_e64 s[2:3], 0, v6
	v_cndmask_b32_e64 v5, v5, v7, s[2:3]
	v_mov_b32_e32 v6, s31
	v_mov_b32_e32 v7, s4
	s_cmp_lg_u64 vcc, 0
	v_cndmask_b32_e64 v6, v6, v7, s[2:3]
	s_subb_u32 s2, s35, s13
	s_cmp_ge_u32 s2, s29
	s_cselect_b32 s3, -1, 0
	v_cmp_le_u32_e32 vcc, s28, v4
	s_cmp_eq_u32 s2, s29
	v_cndmask_b32_e64 v7, 0, -1, vcc
	v_mov_b32_e32 v8, s3
	s_cselect_b64 vcc, -1, 0
	v_cndmask_b32_e32 v7, v8, v7, vcc
	v_cmp_ne_u32_e32 vcc, 0, v7
	v_mov_b32_e32 v8, s2
	v_cndmask_b32_e32 v4, v4, v5, vcc
	v_cndmask_b32_e32 v6, v8, v6, vcc
	v_xor_b32_e32 v4, s30, v4
	v_xor_b32_e32 v5, s30, v6
	v_mov_b32_e32 v6, s30
	v_subrev_co_u32_e32 v4, vcc, s30, v4
	v_subb_co_u32_e32 v5, vcc, v5, v6, vcc
	s_cbranch_execnz .LBB24_54
.LBB24_53:
	v_cvt_f32_u32_e32 v4, s18
	s_sub_i32 s2, 0, s18
	v_rcp_iflag_f32_e32 v4, v4
	v_mul_f32_e32 v4, 0x4f7ffffe, v4
	v_cvt_u32_f32_e32 v4, v4
	v_mul_lo_u32 v5, s2, v4
	v_mul_hi_u32 v5, v4, v5
	v_add_u32_e32 v4, v4, v5
	v_mul_hi_u32 v4, s24, v4
	v_mul_lo_u32 v4, v4, s18
	v_sub_u32_e32 v4, s24, v4
	v_subrev_u32_e32 v5, s18, v4
	v_cmp_le_u32_e32 vcc, s18, v4
	v_cndmask_b32_e32 v4, v4, v5, vcc
	v_subrev_u32_e32 v5, s18, v4
	v_cmp_le_u32_e32 vcc, s18, v4
	v_cndmask_b32_e32 v4, v4, v5, vcc
	v_mov_b32_e32 v5, 0
.LBB24_54:
	s_mov_b32 s4, 0x43e00000
	v_div_scale_f32 v6, s[2:3], s4, s4, v1
	v_rcp_f32_e32 v7, v6
	v_div_scale_f32 v8, vcc, v1, s4, v1
	v_fma_f32 v9, -v6, v7, 1.0
	v_fmac_f32_e32 v7, v9, v7
	v_mul_f32_e32 v9, v8, v7
	v_fma_f32 v10, -v6, v9, v8
	v_fmac_f32_e32 v9, v10, v7
	v_fma_f32 v6, -v6, v9, v8
	v_div_fmas_f32 v6, v6, v7, v9
	v_div_fixup_f32 v1, v6, s4, v1
	v_mov_b32_e32 v6, s25
	v_sub_co_u32_e32 v4, vcc, s24, v4
	v_subb_co_u32_e32 v5, vcc, v6, v5, vcc
	v_mul_lo_u32 v5, v5, v2
	v_mul_lo_u32 v6, v4, v3
	v_mad_u64_u32 v[2:3], s[2:3], v4, v2, 0
	s_lshl_b64 s[2:3], s[6:7], 2
	v_add3_u32 v3, v3, v6, v5
	s_add_u32 s2, s2, s10
	v_lshlrev_b64 v[2:3], 2, v[2:3]
	s_addc_u32 s3, s3, s11
	v_mov_b32_e32 v4, s3
	v_add_co_u32_e32 v2, vcc, s2, v2
	v_max_f32_e32 v1, 0x36924925, v1
	v_addc_co_u32_e32 v3, vcc, v4, v3, vcc
	global_store_dword v[2:3], v1, off
.LBB24_55:
	s_or_b64 exec, exec, s[22:23]
	s_barrier
	s_and_saveexec_b64 s[2:3], s[0:1]
	s_cbranch_execz .LBB24_163
; %bb.56:
	s_add_u32 s1, s18, s45
	s_addc_u32 s2, s19, 0
	s_add_u32 s4, s1, -1
	s_addc_u32 s5, s2, -1
	s_or_b64 s[2:3], s[4:5], s[18:19]
	s_mov_b32 s0, 0
	s_mov_b32 s1, s3
	s_cmp_lg_u64 s[0:1], 0
	s_mov_b64 s[22:23], -1
	s_cbranch_scc0 .LBB24_165
; %bb.57:
	s_ashr_i32 s0, s19, 31
	s_add_u32 s2, s18, s0
	s_mov_b32 s1, s0
	s_addc_u32 s3, s19, s0
	s_xor_b64 s[24:25], s[2:3], s[0:1]
	v_cvt_f32_u32_e32 v1, s24
	v_cvt_f32_u32_e32 v2, s25
	s_sub_u32 s0, 0, s24
	s_subb_u32 s1, 0, s25
	v_madmk_f32 v1, v2, 0x4f800000, v1
	v_rcp_f32_e32 v1, v1
	v_mul_f32_e32 v1, 0x5f7ffffc, v1
	v_mul_f32_e32 v2, 0x2f800000, v1
	v_trunc_f32_e32 v2, v2
	v_madmk_f32 v1, v2, 0xcf800000, v1
	v_cvt_u32_f32_e32 v2, v2
	v_cvt_u32_f32_e32 v1, v1
	v_readfirstlane_b32 s2, v2
	v_readfirstlane_b32 s3, v1
	s_mul_i32 s13, s0, s2
	s_mul_hi_u32 s20, s0, s3
	s_mul_i32 s19, s1, s3
	s_add_i32 s13, s20, s13
	s_add_i32 s13, s13, s19
	s_mul_i32 s26, s0, s3
	s_mul_hi_u32 s19, s3, s13
	s_mul_i32 s20, s3, s13
	s_mul_hi_u32 s3, s3, s26
	s_add_u32 s3, s3, s20
	s_addc_u32 s19, 0, s19
	s_mul_hi_u32 s27, s2, s26
	s_mul_i32 s26, s2, s26
	s_add_u32 s3, s3, s26
	s_mul_hi_u32 s20, s2, s13
	s_addc_u32 s3, s19, s27
	s_addc_u32 s19, s20, 0
	s_mul_i32 s13, s2, s13
	s_add_u32 s3, s3, s13
	s_addc_u32 s13, 0, s19
	v_add_co_u32_e32 v1, vcc, s3, v1
	s_cmp_lg_u64 vcc, 0
	s_addc_u32 s2, s2, s13
	v_readfirstlane_b32 s13, v1
	s_mul_i32 s3, s0, s2
	s_mul_hi_u32 s19, s0, s13
	s_add_i32 s3, s19, s3
	s_mul_i32 s1, s1, s13
	s_add_i32 s3, s3, s1
	s_mul_i32 s0, s0, s13
	s_mul_hi_u32 s19, s2, s0
	s_mul_i32 s20, s2, s0
	s_mul_i32 s27, s13, s3
	s_mul_hi_u32 s0, s13, s0
	s_mul_hi_u32 s26, s13, s3
	s_add_u32 s0, s0, s27
	s_addc_u32 s13, 0, s26
	s_add_u32 s0, s0, s20
	s_mul_hi_u32 s1, s2, s3
	s_addc_u32 s0, s13, s19
	s_addc_u32 s1, s1, 0
	s_mul_i32 s3, s2, s3
	s_add_u32 s0, s0, s3
	s_addc_u32 s1, 0, s1
	v_add_co_u32_e32 v1, vcc, s0, v1
	s_cmp_lg_u64 vcc, 0
	s_addc_u32 s2, s2, s1
	s_ashr_i32 s26, s5, 31
	s_add_u32 s0, s4, s26
	s_mov_b32 s27, s26
	s_addc_u32 s1, s5, s26
	s_xor_b64 s[28:29], s[0:1], s[26:27]
	v_readfirstlane_b32 s3, v1
	s_mul_i32 s1, s28, s2
	s_mul_hi_u32 s13, s28, s3
	s_mul_hi_u32 s0, s28, s2
	s_add_u32 s1, s13, s1
	s_addc_u32 s0, 0, s0
	s_mul_hi_u32 s19, s29, s3
	s_mul_i32 s3, s29, s3
	s_add_u32 s1, s1, s3
	s_mul_hi_u32 s13, s29, s2
	s_addc_u32 s0, s0, s19
	s_addc_u32 s1, s13, 0
	s_mul_i32 s2, s29, s2
	s_add_u32 s0, s0, s2
	s_addc_u32 s1, 0, s1
	s_mul_i32 s1, s24, s1
	s_mul_hi_u32 s2, s24, s0
	s_add_i32 s1, s2, s1
	s_mul_i32 s2, s25, s0
	s_mul_i32 s0, s24, s0
	s_add_i32 s13, s1, s2
	v_mov_b32_e32 v1, s0
	s_sub_i32 s1, s29, s13
	v_sub_co_u32_e32 v1, vcc, s28, v1
	s_cmp_lg_u64 vcc, 0
	s_subb_u32 s19, s1, s25
	v_subrev_co_u32_e64 v2, s[0:1], s24, v1
	s_cmp_lg_u64 s[0:1], 0
	s_subb_u32 s20, s19, 0
	s_cmp_ge_u32 s20, s25
	s_cselect_b32 s27, -1, 0
	v_cmp_le_u32_e64 s[2:3], s24, v2
	s_cmp_eq_u32 s20, s25
	v_cndmask_b32_e64 v3, 0, -1, s[2:3]
	v_mov_b32_e32 v4, s27
	s_cselect_b64 s[2:3], -1, 0
	s_cmp_lg_u64 s[0:1], 0
	v_cndmask_b32_e64 v3, v4, v3, s[2:3]
	s_subb_u32 s2, s19, s25
	v_subrev_co_u32_e64 v4, s[0:1], s24, v2
	s_cmp_lg_u64 s[0:1], 0
	s_subb_u32 s2, s2, 0
	v_cmp_ne_u32_e64 s[0:1], 0, v3
	v_cndmask_b32_e64 v2, v2, v4, s[0:1]
	v_mov_b32_e32 v3, s20
	v_mov_b32_e32 v4, s2
	s_cmp_lg_u64 vcc, 0
	v_cndmask_b32_e64 v3, v3, v4, s[0:1]
	s_subb_u32 s0, s29, s13
	s_cmp_ge_u32 s0, s25
	s_cselect_b32 s1, -1, 0
	v_cmp_le_u32_e32 vcc, s24, v1
	s_cmp_eq_u32 s0, s25
	v_cndmask_b32_e64 v4, 0, -1, vcc
	v_mov_b32_e32 v5, s1
	s_cselect_b64 vcc, -1, 0
	v_cndmask_b32_e32 v4, v5, v4, vcc
	v_cmp_ne_u32_e32 vcc, 0, v4
	v_mov_b32_e32 v5, s0
	v_cndmask_b32_e32 v1, v1, v2, vcc
	v_cndmask_b32_e32 v3, v5, v3, vcc
	v_xor_b32_e32 v1, s26, v1
	v_xor_b32_e32 v3, s26, v3
	v_mov_b32_e32 v4, s26
	v_subrev_co_u32_e32 v2, vcc, s26, v1
	v_subb_co_u32_e32 v3, vcc, v3, v4, vcc
	s_cbranch_execnz .LBB24_59
.LBB24_58:
	v_cvt_f32_u32_e32 v1, s18
	s_sub_i32 s0, 0, s18
	v_mov_b32_e32 v3, 0
	v_rcp_iflag_f32_e32 v1, v1
	v_mul_f32_e32 v1, 0x4f7ffffe, v1
	v_cvt_u32_f32_e32 v1, v1
	v_mul_lo_u32 v2, s0, v1
	v_mul_hi_u32 v2, v1, v2
	v_add_u32_e32 v1, v1, v2
	v_mul_hi_u32 v1, s4, v1
	v_mul_lo_u32 v1, v1, s18
	v_sub_u32_e32 v1, s4, v1
	v_subrev_u32_e32 v2, s18, v1
	v_cmp_le_u32_e32 vcc, s18, v1
	v_cndmask_b32_e32 v1, v1, v2, vcc
	v_subrev_u32_e32 v2, s18, v1
	v_cmp_le_u32_e32 vcc, s18, v1
	v_cndmask_b32_e32 v2, v1, v2, vcc
.LBB24_59:
	s_mul_i32 s0, s21, s6
	s_mul_hi_u32 s1, s17, s6
	s_add_i32 s1, s1, s0
	s_mul_i32 s0, s17, s6
	s_add_u32 s13, s8, s0
	s_addc_u32 s17, s9, s1
	s_lshl_b64 s[0:1], s[6:7], 2
	s_add_u32 s18, s10, s0
	s_addc_u32 s19, s11, s1
	v_mov_b32_e32 v1, s5
	v_sub_co_u32_e32 v14, vcc, s4, v2
	v_subb_co_u32_e32 v15, vcc, v1, v3, vcc
	s_mul_i32 s20, s16, 3
	s_lshl_b32 s21, s16, 1
	s_mov_b64 s[0:1], 0
	v_mov_b32_e32 v1, 0
	v_mov_b32_e32 v16, s44
	;; [unrolled: 1-line block ×4, first 2 shown]
	s_mov_b32 s22, 0x43f00000
	s_mov_b32 s23, 0x3c7fffff
	s_mov_b32 s24, 0x407ffff
	s_mov_b32 s25, 0x46800000
	s_movk_i32 s26, 0x80
	s_movk_i32 s27, 0xff
	s_branch .LBB24_65
.LBB24_60:                              ;   in Loop: Header=BB24_65 Depth=1
	s_or_b64 exec, exec, s[10:11]
.LBB24_61:                              ;   in Loop: Header=BB24_65 Depth=1
	s_or_b64 exec, exec, s[8:9]
	v_and_b32_sdwa v12, v8, s26 dst_sel:DWORD dst_unused:UNUSED_PAD src0_sel:BYTE_3 src1_sel:DWORD
	v_lshlrev_b64 v[8:9], 2, v[0:1]
	v_and_b32_sdwa v3, v3, s26 dst_sel:DWORD dst_unused:UNUSED_PAD src0_sel:BYTE_3 src1_sel:DWORD
	v_mov_b32_e32 v0, s17
	v_add_co_u32_e32 v8, vcc, s13, v8
	v_and_or_b32 v4, v4, s27, v12
	v_lshrrev_b32_e32 v11, 24, v11
	v_addc_co_u32_e32 v9, vcc, v0, v9, vcc
	v_lshlrev_b32_e32 v0, 24, v7
	v_and_b32_e32 v5, 0x80000000, v5
	v_lshlrev_b32_e32 v4, 16, v4
	v_and_or_b32 v2, v2, s27, v3
	v_and_b32_e32 v3, 0xff, v6
	v_or3_b32 v0, v5, v0, v4
	v_lshlrev_b32_e32 v2, 8, v2
	v_and_or_b32 v3, v11, s26, v3
	s_add_i32 s8, s16, s16
	v_or3_b32 v0, v0, v2, v3
	s_add_i32 s8, s8, s16
	global_store_dword v[8:9], v0, off
	v_add_u32_e32 v0, s8, v10
	v_cmp_le_u32_e32 vcc, s12, v0
	s_orn2_b64 s[8:9], vcc, exec
.LBB24_62:                              ;   in Loop: Header=BB24_65 Depth=1
	s_or_b64 exec, exec, s[6:7]
	s_orn2_b64 s[6:7], s[8:9], exec
.LBB24_63:                              ;   in Loop: Header=BB24_65 Depth=1
	s_or_b64 exec, exec, s[4:5]
	s_orn2_b64 s[4:5], s[6:7], exec
.LBB24_64:                              ;   in Loop: Header=BB24_65 Depth=1
	s_or_b64 exec, exec, s[2:3]
	s_and_b64 s[2:3], exec, s[4:5]
	s_or_b64 s[0:1], s[2:3], s[0:1]
	s_andn2_b64 exec, exec, s[0:1]
	s_cbranch_execz .LBB24_163
.LBB24_65:                              ; =>This Inner Loop Header: Depth=1
	v_bfe_u32 v13, v0, 5, 25
	v_lshlrev_b64 v[6:7], 4, v[0:1]
	v_mad_u64_u32 v[10:11], s[2:3], v14, v13, 0
	v_add_co_u32_e32 v2, vcc, s33, v6
	v_mov_b32_e32 v12, v11
	v_addc_co_u32_e32 v3, vcc, v16, v7, vcc
	v_mad_u64_u32 v[12:13], s[2:3], v15, v13, v[12:13]
	v_add_co_u32_e32 v6, vcc, s14, v6
	v_mov_b32_e32 v11, v12
	v_addc_co_u32_e32 v7, vcc, v17, v7, vcc
	v_lshlrev_b64 v[10:11], 2, v[10:11]
	global_load_dwordx4 v[2:5], v[2:3], off
	v_add_co_u32_e32 v10, vcc, s18, v10
	global_load_dwordx4 v[6:9], v[6:7], off
	v_addc_co_u32_e32 v11, vcc, v18, v11, vcc
	global_load_dword v11, v[10:11], off
	s_waitcnt vmcnt(2)
	v_mul_f32_e32 v2, v36, v2
	s_waitcnt vmcnt(1)
	v_mul_f32_e32 v6, v2, v6
	v_mov_b32_e32 v2, 0x7f
	s_waitcnt vmcnt(0)
	v_div_scale_f32 v10, s[2:3], v11, v11, v6
	v_rcp_f32_e32 v12, v10
	v_div_scale_f32 v13, vcc, v6, v11, v6
	v_fma_f32 v19, -v10, v12, 1.0
	v_fmac_f32_e32 v12, v19, v12
	v_mul_f32_e32 v19, v13, v12
	v_fma_f32 v20, -v10, v19, v13
	v_fmac_f32_e32 v19, v20, v12
	v_fma_f32 v10, -v10, v19, v13
	v_div_fmas_f32 v10, v10, v12, v19
	v_div_fixup_f32 v6, v10, v11, v6
	v_min_f32_e32 v6, 0x43e00000, v6
	v_max_f32_e32 v10, 0xc3e00000, v6
	v_and_b32_e32 v12, 0x7fffffff, v10
	v_cmp_gt_u32_e32 vcc, s22, v12
	v_mov_b32_e32 v6, 0x7f
	s_and_saveexec_b64 s[2:3], vcc
	s_cbranch_execz .LBB24_71
; %bb.66:                               ;   in Loop: Header=BB24_65 Depth=1
	v_cmp_lt_u32_e32 vcc, s23, v12
                                        ; implicit-def: $vgpr6
	s_and_saveexec_b64 s[4:5], vcc
	s_xor_b64 s[4:5], exec, s[4:5]
; %bb.67:                               ;   in Loop: Header=BB24_65 Depth=1
	v_bfe_u32 v6, v10, 20, 1
	v_add3_u32 v6, v10, v6, s24
	v_lshrrev_b32_e32 v6, 20, v6
; %bb.68:                               ;   in Loop: Header=BB24_65 Depth=1
	s_andn2_saveexec_b64 s[4:5], s[4:5]
; %bb.69:                               ;   in Loop: Header=BB24_65 Depth=1
	v_add_f32_e64 v6, |v10|, s25
; %bb.70:                               ;   in Loop: Header=BB24_65 Depth=1
	s_or_b64 exec, exec, s[4:5]
.LBB24_71:                              ;   in Loop: Header=BB24_65 Depth=1
	s_or_b64 exec, exec, s[2:3]
	v_mul_f32_e32 v3, v36, v3
	v_mul_f32_e32 v3, v3, v7
	v_div_scale_f32 v7, s[2:3], v11, v11, v3
	v_rcp_f32_e32 v12, v7
	v_div_scale_f32 v13, vcc, v3, v11, v3
	v_fma_f32 v19, -v7, v12, 1.0
	v_fmac_f32_e32 v12, v19, v12
	v_mul_f32_e32 v19, v13, v12
	v_fma_f32 v20, -v7, v19, v13
	v_fmac_f32_e32 v19, v20, v12
	v_fma_f32 v7, -v7, v19, v13
	v_div_fmas_f32 v7, v7, v12, v19
	v_div_fixup_f32 v3, v7, v11, v3
	v_min_f32_e32 v3, 0x43e00000, v3
	v_max_f32_e32 v3, 0xc3e00000, v3
	v_and_b32_e32 v7, 0x7fffffff, v3
	v_cmp_gt_u32_e32 vcc, s22, v7
	s_and_saveexec_b64 s[2:3], vcc
	s_cbranch_execz .LBB24_77
; %bb.72:                               ;   in Loop: Header=BB24_65 Depth=1
	v_cmp_lt_u32_e32 vcc, s23, v7
                                        ; implicit-def: $vgpr2
	s_and_saveexec_b64 s[4:5], vcc
	s_xor_b64 s[4:5], exec, s[4:5]
; %bb.73:                               ;   in Loop: Header=BB24_65 Depth=1
	v_bfe_u32 v2, v3, 20, 1
	v_add3_u32 v2, v3, v2, s24
	v_lshrrev_b32_e32 v2, 20, v2
; %bb.74:                               ;   in Loop: Header=BB24_65 Depth=1
	s_andn2_saveexec_b64 s[4:5], s[4:5]
; %bb.75:                               ;   in Loop: Header=BB24_65 Depth=1
	v_add_f32_e64 v2, |v3|, s25
; %bb.76:                               ;   in Loop: Header=BB24_65 Depth=1
	s_or_b64 exec, exec, s[4:5]
.LBB24_77:                              ;   in Loop: Header=BB24_65 Depth=1
	s_or_b64 exec, exec, s[2:3]
	v_mul_f32_e32 v4, v36, v4
	v_mul_f32_e32 v4, v4, v8
	v_div_scale_f32 v7, s[2:3], v11, v11, v4
	v_rcp_f32_e32 v8, v7
	v_div_scale_f32 v12, vcc, v4, v11, v4
	v_fma_f32 v13, -v7, v8, 1.0
	v_fmac_f32_e32 v8, v13, v8
	v_mul_f32_e32 v13, v12, v8
	v_fma_f32 v19, -v7, v13, v12
	v_fmac_f32_e32 v13, v19, v8
	v_fma_f32 v7, -v7, v13, v12
	v_div_fmas_f32 v7, v7, v8, v13
	v_div_fixup_f32 v4, v7, v11, v4
	v_min_f32_e32 v4, 0x43e00000, v4
	v_max_f32_e32 v8, 0xc3e00000, v4
	v_and_b32_e32 v12, 0x7fffffff, v8
	v_cmp_gt_u32_e32 vcc, s22, v12
	v_mov_b32_e32 v7, 0x7f
	v_mov_b32_e32 v4, 0x7f
	s_and_saveexec_b64 s[2:3], vcc
	s_cbranch_execz .LBB24_83
; %bb.78:                               ;   in Loop: Header=BB24_65 Depth=1
	v_cmp_lt_u32_e32 vcc, s23, v12
                                        ; implicit-def: $vgpr4
	s_and_saveexec_b64 s[4:5], vcc
	s_xor_b64 s[4:5], exec, s[4:5]
; %bb.79:                               ;   in Loop: Header=BB24_65 Depth=1
	v_bfe_u32 v4, v8, 20, 1
	v_add3_u32 v4, v8, v4, s24
	v_lshrrev_b32_e32 v4, 20, v4
; %bb.80:                               ;   in Loop: Header=BB24_65 Depth=1
	s_andn2_saveexec_b64 s[4:5], s[4:5]
; %bb.81:                               ;   in Loop: Header=BB24_65 Depth=1
	v_add_f32_e64 v4, |v8|, s25
; %bb.82:                               ;   in Loop: Header=BB24_65 Depth=1
	s_or_b64 exec, exec, s[4:5]
.LBB24_83:                              ;   in Loop: Header=BB24_65 Depth=1
	s_or_b64 exec, exec, s[2:3]
	v_mul_f32_e32 v5, v36, v5
	v_mul_f32_e32 v5, v5, v9
	v_div_scale_f32 v9, s[2:3], v11, v11, v5
	v_rcp_f32_e32 v12, v9
	v_div_scale_f32 v13, vcc, v5, v11, v5
	v_fma_f32 v19, -v9, v12, 1.0
	v_fmac_f32_e32 v12, v19, v12
	v_mul_f32_e32 v19, v13, v12
	v_fma_f32 v20, -v9, v19, v13
	v_fmac_f32_e32 v19, v20, v12
	v_fma_f32 v9, -v9, v19, v13
	v_div_fmas_f32 v9, v9, v12, v19
	v_div_fixup_f32 v5, v9, v11, v5
	v_min_f32_e32 v5, 0x43e00000, v5
	v_max_f32_e32 v5, 0xc3e00000, v5
	v_and_b32_e32 v9, 0x7fffffff, v5
	v_cmp_gt_u32_e32 vcc, s22, v9
	s_and_saveexec_b64 s[2:3], vcc
	s_cbranch_execz .LBB24_89
; %bb.84:                               ;   in Loop: Header=BB24_65 Depth=1
	v_cmp_lt_u32_e32 vcc, s23, v9
                                        ; implicit-def: $vgpr7
	s_and_saveexec_b64 s[4:5], vcc
	s_xor_b64 s[4:5], exec, s[4:5]
; %bb.85:                               ;   in Loop: Header=BB24_65 Depth=1
	v_bfe_u32 v7, v5, 20, 1
	v_add3_u32 v7, v5, v7, s24
	v_lshrrev_b32_e32 v7, 20, v7
; %bb.86:                               ;   in Loop: Header=BB24_65 Depth=1
	s_andn2_saveexec_b64 s[4:5], s[4:5]
; %bb.87:                               ;   in Loop: Header=BB24_65 Depth=1
	v_add_f32_e64 v7, |v5|, s25
; %bb.88:                               ;   in Loop: Header=BB24_65 Depth=1
	s_or_b64 exec, exec, s[4:5]
.LBB24_89:                              ;   in Loop: Header=BB24_65 Depth=1
	s_or_b64 exec, exec, s[2:3]
	v_and_b32_sdwa v11, v8, s26 dst_sel:DWORD dst_unused:UNUSED_PAD src0_sel:BYTE_3 src1_sel:DWORD
	v_and_b32_sdwa v3, v3, s26 dst_sel:DWORD dst_unused:UNUSED_PAD src0_sel:BYTE_3 src1_sel:DWORD
	v_lshlrev_b64 v[8:9], 2, v[0:1]
	v_and_or_b32 v4, v4, s27, v11
	v_lshrrev_b32_e32 v10, 24, v10
	v_mov_b32_e32 v12, s17
	v_add_co_u32_e32 v8, vcc, s13, v8
	v_lshlrev_b32_e32 v7, 24, v7
	v_and_b32_e32 v5, 0x80000000, v5
	v_lshlrev_b32_e32 v4, 16, v4
	v_and_or_b32 v2, v2, s27, v3
	v_and_b32_e32 v3, 0xff, v6
	v_addc_co_u32_e32 v9, vcc, v12, v9, vcc
	v_or3_b32 v4, v5, v7, v4
	v_lshlrev_b32_e32 v2, 8, v2
	v_and_or_b32 v3, v10, s26, v3
	v_add_u32_e32 v10, s16, v0
	v_or3_b32 v2, v4, v2, v3
	v_cmp_gt_u32_e32 vcc, s12, v10
	s_mov_b64 s[4:5], -1
	global_store_dword v[8:9], v2, off
	s_and_saveexec_b64 s[2:3], vcc
	s_cbranch_execz .LBB24_64
; %bb.90:                               ;   in Loop: Header=BB24_65 Depth=1
	v_mov_b32_e32 v11, v1
	v_bfe_u32 v19, v10, 5, 25
	v_lshlrev_b64 v[6:7], 4, v[10:11]
	v_mad_u64_u32 v[12:13], s[4:5], v14, v19, 0
	v_mov_b32_e32 v3, s44
	v_add_co_u32_e32 v2, vcc, s33, v6
	v_mov_b32_e32 v20, v13
	v_addc_co_u32_e32 v3, vcc, v3, v7, vcc
	v_mad_u64_u32 v[20:21], s[4:5], v15, v19, v[20:21]
	v_mov_b32_e32 v8, s15
	v_add_co_u32_e32 v6, vcc, s14, v6
	v_mov_b32_e32 v13, v20
	v_addc_co_u32_e32 v7, vcc, v8, v7, vcc
	v_lshlrev_b64 v[12:13], 2, v[12:13]
	global_load_dwordx4 v[2:5], v[2:3], off
	v_mov_b32_e32 v19, s19
	v_add_co_u32_e32 v12, vcc, s18, v12
	global_load_dwordx4 v[6:9], v[6:7], off
	v_addc_co_u32_e32 v13, vcc, v19, v13, vcc
	global_load_dword v13, v[12:13], off
	s_waitcnt vmcnt(2)
	v_mul_f32_e32 v2, v36, v2
	s_waitcnt vmcnt(1)
	v_mul_f32_e32 v6, v2, v6
	v_mov_b32_e32 v2, 0x7f
	s_waitcnt vmcnt(0)
	v_div_scale_f32 v12, s[4:5], v13, v13, v6
	v_rcp_f32_e32 v19, v12
	v_div_scale_f32 v20, vcc, v6, v13, v6
	v_fma_f32 v21, -v12, v19, 1.0
	v_fmac_f32_e32 v19, v21, v19
	v_mul_f32_e32 v21, v20, v19
	v_fma_f32 v22, -v12, v21, v20
	v_fmac_f32_e32 v21, v22, v19
	v_fma_f32 v12, -v12, v21, v20
	v_div_fmas_f32 v12, v12, v19, v21
	v_div_fixup_f32 v6, v12, v13, v6
	v_min_f32_e32 v6, 0x43e00000, v6
	v_max_f32_e32 v12, 0xc3e00000, v6
	v_and_b32_e32 v19, 0x7fffffff, v12
	v_cmp_gt_u32_e32 vcc, s22, v19
	v_mov_b32_e32 v6, 0x7f
	s_and_saveexec_b64 s[4:5], vcc
	s_cbranch_execz .LBB24_96
; %bb.91:                               ;   in Loop: Header=BB24_65 Depth=1
	v_cmp_lt_u32_e32 vcc, s23, v19
                                        ; implicit-def: $vgpr6
	s_and_saveexec_b64 s[6:7], vcc
	s_xor_b64 s[6:7], exec, s[6:7]
; %bb.92:                               ;   in Loop: Header=BB24_65 Depth=1
	v_bfe_u32 v6, v12, 20, 1
	v_add3_u32 v6, v12, v6, s24
	v_lshrrev_b32_e32 v6, 20, v6
; %bb.93:                               ;   in Loop: Header=BB24_65 Depth=1
	s_andn2_saveexec_b64 s[6:7], s[6:7]
; %bb.94:                               ;   in Loop: Header=BB24_65 Depth=1
	v_add_f32_e64 v6, |v12|, s25
; %bb.95:                               ;   in Loop: Header=BB24_65 Depth=1
	s_or_b64 exec, exec, s[6:7]
.LBB24_96:                              ;   in Loop: Header=BB24_65 Depth=1
	s_or_b64 exec, exec, s[4:5]
	v_mul_f32_e32 v3, v36, v3
	v_mul_f32_e32 v3, v3, v7
	v_div_scale_f32 v7, s[4:5], v13, v13, v3
	v_rcp_f32_e32 v19, v7
	v_div_scale_f32 v20, vcc, v3, v13, v3
	v_fma_f32 v21, -v7, v19, 1.0
	v_fmac_f32_e32 v19, v21, v19
	v_mul_f32_e32 v21, v20, v19
	v_fma_f32 v22, -v7, v21, v20
	v_fmac_f32_e32 v21, v22, v19
	v_fma_f32 v7, -v7, v21, v20
	v_div_fmas_f32 v7, v7, v19, v21
	v_div_fixup_f32 v3, v7, v13, v3
	v_min_f32_e32 v3, 0x43e00000, v3
	v_max_f32_e32 v3, 0xc3e00000, v3
	v_and_b32_e32 v7, 0x7fffffff, v3
	v_cmp_gt_u32_e32 vcc, s22, v7
	s_and_saveexec_b64 s[4:5], vcc
	s_cbranch_execz .LBB24_102
; %bb.97:                               ;   in Loop: Header=BB24_65 Depth=1
	v_cmp_lt_u32_e32 vcc, s23, v7
                                        ; implicit-def: $vgpr2
	s_and_saveexec_b64 s[6:7], vcc
	s_xor_b64 s[6:7], exec, s[6:7]
; %bb.98:                               ;   in Loop: Header=BB24_65 Depth=1
	v_bfe_u32 v2, v3, 20, 1
	v_add3_u32 v2, v3, v2, s24
	v_lshrrev_b32_e32 v2, 20, v2
; %bb.99:                               ;   in Loop: Header=BB24_65 Depth=1
	s_andn2_saveexec_b64 s[6:7], s[6:7]
; %bb.100:                              ;   in Loop: Header=BB24_65 Depth=1
	v_add_f32_e64 v2, |v3|, s25
; %bb.101:                              ;   in Loop: Header=BB24_65 Depth=1
	s_or_b64 exec, exec, s[6:7]
.LBB24_102:                             ;   in Loop: Header=BB24_65 Depth=1
	s_or_b64 exec, exec, s[4:5]
	v_mul_f32_e32 v4, v36, v4
	v_mul_f32_e32 v4, v4, v8
	v_div_scale_f32 v7, s[4:5], v13, v13, v4
	v_rcp_f32_e32 v8, v7
	v_div_scale_f32 v19, vcc, v4, v13, v4
	v_fma_f32 v20, -v7, v8, 1.0
	v_fmac_f32_e32 v8, v20, v8
	v_mul_f32_e32 v20, v19, v8
	v_fma_f32 v21, -v7, v20, v19
	v_fmac_f32_e32 v20, v21, v8
	v_fma_f32 v7, -v7, v20, v19
	v_div_fmas_f32 v7, v7, v8, v20
	v_div_fixup_f32 v4, v7, v13, v4
	v_min_f32_e32 v4, 0x43e00000, v4
	v_max_f32_e32 v8, 0xc3e00000, v4
	v_and_b32_e32 v19, 0x7fffffff, v8
	v_cmp_gt_u32_e32 vcc, s22, v19
	v_mov_b32_e32 v7, 0x7f
	v_mov_b32_e32 v4, 0x7f
	s_and_saveexec_b64 s[4:5], vcc
	s_cbranch_execz .LBB24_108
; %bb.103:                              ;   in Loop: Header=BB24_65 Depth=1
	v_cmp_lt_u32_e32 vcc, s23, v19
                                        ; implicit-def: $vgpr4
	s_and_saveexec_b64 s[6:7], vcc
	s_xor_b64 s[6:7], exec, s[6:7]
; %bb.104:                              ;   in Loop: Header=BB24_65 Depth=1
	v_bfe_u32 v4, v8, 20, 1
	v_add3_u32 v4, v8, v4, s24
	v_lshrrev_b32_e32 v4, 20, v4
; %bb.105:                              ;   in Loop: Header=BB24_65 Depth=1
	s_andn2_saveexec_b64 s[6:7], s[6:7]
; %bb.106:                              ;   in Loop: Header=BB24_65 Depth=1
	v_add_f32_e64 v4, |v8|, s25
; %bb.107:                              ;   in Loop: Header=BB24_65 Depth=1
	s_or_b64 exec, exec, s[6:7]
.LBB24_108:                             ;   in Loop: Header=BB24_65 Depth=1
	s_or_b64 exec, exec, s[4:5]
	v_mul_f32_e32 v5, v36, v5
	v_mul_f32_e32 v5, v5, v9
	v_div_scale_f32 v9, s[4:5], v13, v13, v5
	v_rcp_f32_e32 v19, v9
	v_div_scale_f32 v20, vcc, v5, v13, v5
	v_fma_f32 v21, -v9, v19, 1.0
	v_fmac_f32_e32 v19, v21, v19
	v_mul_f32_e32 v21, v20, v19
	v_fma_f32 v22, -v9, v21, v20
	v_fmac_f32_e32 v21, v22, v19
	v_fma_f32 v9, -v9, v21, v20
	v_div_fmas_f32 v9, v9, v19, v21
	v_div_fixup_f32 v5, v9, v13, v5
	v_min_f32_e32 v5, 0x43e00000, v5
	v_max_f32_e32 v5, 0xc3e00000, v5
	v_and_b32_e32 v9, 0x7fffffff, v5
	v_cmp_gt_u32_e32 vcc, s22, v9
	s_and_saveexec_b64 s[4:5], vcc
	s_cbranch_execz .LBB24_114
; %bb.109:                              ;   in Loop: Header=BB24_65 Depth=1
	v_cmp_lt_u32_e32 vcc, s23, v9
                                        ; implicit-def: $vgpr7
	s_and_saveexec_b64 s[6:7], vcc
	s_xor_b64 s[6:7], exec, s[6:7]
; %bb.110:                              ;   in Loop: Header=BB24_65 Depth=1
	v_bfe_u32 v7, v5, 20, 1
	v_add3_u32 v7, v5, v7, s24
	v_lshrrev_b32_e32 v7, 20, v7
; %bb.111:                              ;   in Loop: Header=BB24_65 Depth=1
	s_andn2_saveexec_b64 s[6:7], s[6:7]
; %bb.112:                              ;   in Loop: Header=BB24_65 Depth=1
	v_add_f32_e64 v7, |v5|, s25
; %bb.113:                              ;   in Loop: Header=BB24_65 Depth=1
	s_or_b64 exec, exec, s[6:7]
.LBB24_114:                             ;   in Loop: Header=BB24_65 Depth=1
	s_or_b64 exec, exec, s[4:5]
	v_and_b32_sdwa v13, v8, s26 dst_sel:DWORD dst_unused:UNUSED_PAD src0_sel:BYTE_3 src1_sel:DWORD
	v_and_b32_sdwa v3, v3, s26 dst_sel:DWORD dst_unused:UNUSED_PAD src0_sel:BYTE_3 src1_sel:DWORD
	v_lshlrev_b64 v[8:9], 2, v[10:11]
	v_and_or_b32 v4, v4, s27, v13
	v_lshrrev_b32_e32 v12, 24, v12
	v_mov_b32_e32 v11, s17
	v_add_co_u32_e32 v8, vcc, s13, v8
	v_lshlrev_b32_e32 v7, 24, v7
	v_and_b32_e32 v5, 0x80000000, v5
	v_lshlrev_b32_e32 v4, 16, v4
	v_and_or_b32 v2, v2, s27, v3
	v_and_b32_e32 v3, 0xff, v6
	v_addc_co_u32_e32 v9, vcc, v11, v9, vcc
	v_or3_b32 v4, v5, v7, v4
	v_lshlrev_b32_e32 v2, 8, v2
	v_and_or_b32 v3, v12, s26, v3
	v_add_u32_e32 v12, s21, v0
	v_or3_b32 v2, v4, v2, v3
	v_cmp_gt_u32_e32 vcc, s12, v12
	s_mov_b64 s[6:7], -1
	global_store_dword v[8:9], v2, off
	s_and_saveexec_b64 s[4:5], vcc
	s_cbranch_execz .LBB24_63
; %bb.115:                              ;   in Loop: Header=BB24_65 Depth=1
	v_mov_b32_e32 v13, v1
	v_bfe_u32 v11, v12, 5, 25
	v_lshlrev_b64 v[6:7], 4, v[12:13]
	v_mad_u64_u32 v[20:21], s[6:7], v14, v11, 0
	v_mov_b32_e32 v3, s44
	v_add_co_u32_e32 v2, vcc, s33, v6
	v_mov_b32_e32 v22, v21
	v_addc_co_u32_e32 v3, vcc, v3, v7, vcc
	v_mad_u64_u32 v[22:23], s[6:7], v15, v11, v[22:23]
	v_mov_b32_e32 v8, s15
	v_add_co_u32_e32 v6, vcc, s14, v6
	v_mov_b32_e32 v21, v22
	v_addc_co_u32_e32 v7, vcc, v8, v7, vcc
	v_lshlrev_b64 v[20:21], 2, v[20:21]
	global_load_dwordx4 v[2:5], v[2:3], off
	v_mov_b32_e32 v11, s19
	v_add_co_u32_e32 v20, vcc, s18, v20
	global_load_dwordx4 v[6:9], v[6:7], off
	v_addc_co_u32_e32 v21, vcc, v11, v21, vcc
	global_load_dword v19, v[20:21], off
	s_waitcnt vmcnt(2)
	v_mul_f32_e32 v2, v36, v2
	s_waitcnt vmcnt(1)
	v_mul_f32_e32 v6, v2, v6
	v_mov_b32_e32 v2, 0x7f
	s_waitcnt vmcnt(0)
	v_div_scale_f32 v11, s[6:7], v19, v19, v6
	v_rcp_f32_e32 v20, v11
	v_div_scale_f32 v21, vcc, v6, v19, v6
	v_fma_f32 v22, -v11, v20, 1.0
	v_fmac_f32_e32 v20, v22, v20
	v_mul_f32_e32 v22, v21, v20
	v_fma_f32 v23, -v11, v22, v21
	v_fmac_f32_e32 v22, v23, v20
	v_fma_f32 v11, -v11, v22, v21
	v_div_fmas_f32 v11, v11, v20, v22
	v_div_fixup_f32 v6, v11, v19, v6
	v_min_f32_e32 v6, 0x43e00000, v6
	v_max_f32_e32 v11, 0xc3e00000, v6
	v_and_b32_e32 v20, 0x7fffffff, v11
	v_cmp_gt_u32_e32 vcc, s22, v20
	v_mov_b32_e32 v6, 0x7f
	s_and_saveexec_b64 s[6:7], vcc
	s_cbranch_execz .LBB24_121
; %bb.116:                              ;   in Loop: Header=BB24_65 Depth=1
	v_cmp_lt_u32_e32 vcc, s23, v20
                                        ; implicit-def: $vgpr6
	s_and_saveexec_b64 s[8:9], vcc
	s_xor_b64 s[8:9], exec, s[8:9]
; %bb.117:                              ;   in Loop: Header=BB24_65 Depth=1
	v_bfe_u32 v6, v11, 20, 1
	v_add3_u32 v6, v11, v6, s24
	v_lshrrev_b32_e32 v6, 20, v6
; %bb.118:                              ;   in Loop: Header=BB24_65 Depth=1
	s_andn2_saveexec_b64 s[8:9], s[8:9]
; %bb.119:                              ;   in Loop: Header=BB24_65 Depth=1
	v_add_f32_e64 v6, |v11|, s25
; %bb.120:                              ;   in Loop: Header=BB24_65 Depth=1
	s_or_b64 exec, exec, s[8:9]
.LBB24_121:                             ;   in Loop: Header=BB24_65 Depth=1
	s_or_b64 exec, exec, s[6:7]
	v_mul_f32_e32 v3, v36, v3
	v_mul_f32_e32 v3, v3, v7
	v_div_scale_f32 v7, s[6:7], v19, v19, v3
	v_rcp_f32_e32 v20, v7
	v_div_scale_f32 v21, vcc, v3, v19, v3
	v_fma_f32 v22, -v7, v20, 1.0
	v_fmac_f32_e32 v20, v22, v20
	v_mul_f32_e32 v22, v21, v20
	v_fma_f32 v23, -v7, v22, v21
	v_fmac_f32_e32 v22, v23, v20
	v_fma_f32 v7, -v7, v22, v21
	v_div_fmas_f32 v7, v7, v20, v22
	v_div_fixup_f32 v3, v7, v19, v3
	v_min_f32_e32 v3, 0x43e00000, v3
	v_max_f32_e32 v3, 0xc3e00000, v3
	v_and_b32_e32 v7, 0x7fffffff, v3
	v_cmp_gt_u32_e32 vcc, s22, v7
	s_and_saveexec_b64 s[6:7], vcc
	s_cbranch_execz .LBB24_127
; %bb.122:                              ;   in Loop: Header=BB24_65 Depth=1
	v_cmp_lt_u32_e32 vcc, s23, v7
                                        ; implicit-def: $vgpr2
	s_and_saveexec_b64 s[8:9], vcc
	s_xor_b64 s[8:9], exec, s[8:9]
; %bb.123:                              ;   in Loop: Header=BB24_65 Depth=1
	v_bfe_u32 v2, v3, 20, 1
	v_add3_u32 v2, v3, v2, s24
	v_lshrrev_b32_e32 v2, 20, v2
; %bb.124:                              ;   in Loop: Header=BB24_65 Depth=1
	s_andn2_saveexec_b64 s[8:9], s[8:9]
; %bb.125:                              ;   in Loop: Header=BB24_65 Depth=1
	v_add_f32_e64 v2, |v3|, s25
; %bb.126:                              ;   in Loop: Header=BB24_65 Depth=1
	s_or_b64 exec, exec, s[8:9]
.LBB24_127:                             ;   in Loop: Header=BB24_65 Depth=1
	s_or_b64 exec, exec, s[6:7]
	v_mul_f32_e32 v4, v36, v4
	v_mul_f32_e32 v4, v4, v8
	v_div_scale_f32 v7, s[6:7], v19, v19, v4
	v_rcp_f32_e32 v8, v7
	v_div_scale_f32 v20, vcc, v4, v19, v4
	v_fma_f32 v21, -v7, v8, 1.0
	v_fmac_f32_e32 v8, v21, v8
	v_mul_f32_e32 v21, v20, v8
	v_fma_f32 v22, -v7, v21, v20
	v_fmac_f32_e32 v21, v22, v8
	v_fma_f32 v7, -v7, v21, v20
	v_div_fmas_f32 v7, v7, v8, v21
	v_div_fixup_f32 v4, v7, v19, v4
	v_min_f32_e32 v4, 0x43e00000, v4
	v_max_f32_e32 v8, 0xc3e00000, v4
	v_and_b32_e32 v20, 0x7fffffff, v8
	v_cmp_gt_u32_e32 vcc, s22, v20
	v_mov_b32_e32 v7, 0x7f
	v_mov_b32_e32 v4, 0x7f
	s_and_saveexec_b64 s[6:7], vcc
	s_cbranch_execz .LBB24_133
; %bb.128:                              ;   in Loop: Header=BB24_65 Depth=1
	v_cmp_lt_u32_e32 vcc, s23, v20
                                        ; implicit-def: $vgpr4
	s_and_saveexec_b64 s[8:9], vcc
	s_xor_b64 s[8:9], exec, s[8:9]
; %bb.129:                              ;   in Loop: Header=BB24_65 Depth=1
	v_bfe_u32 v4, v8, 20, 1
	v_add3_u32 v4, v8, v4, s24
	v_lshrrev_b32_e32 v4, 20, v4
; %bb.130:                              ;   in Loop: Header=BB24_65 Depth=1
	s_andn2_saveexec_b64 s[8:9], s[8:9]
; %bb.131:                              ;   in Loop: Header=BB24_65 Depth=1
	v_add_f32_e64 v4, |v8|, s25
; %bb.132:                              ;   in Loop: Header=BB24_65 Depth=1
	s_or_b64 exec, exec, s[8:9]
.LBB24_133:                             ;   in Loop: Header=BB24_65 Depth=1
	s_or_b64 exec, exec, s[6:7]
	v_mul_f32_e32 v5, v36, v5
	v_mul_f32_e32 v5, v5, v9
	v_div_scale_f32 v9, s[6:7], v19, v19, v5
	v_rcp_f32_e32 v20, v9
	v_div_scale_f32 v21, vcc, v5, v19, v5
	v_fma_f32 v22, -v9, v20, 1.0
	v_fmac_f32_e32 v20, v22, v20
	v_mul_f32_e32 v22, v21, v20
	v_fma_f32 v23, -v9, v22, v21
	v_fmac_f32_e32 v22, v23, v20
	v_fma_f32 v9, -v9, v22, v21
	v_div_fmas_f32 v9, v9, v20, v22
	v_div_fixup_f32 v5, v9, v19, v5
	v_min_f32_e32 v5, 0x43e00000, v5
	v_max_f32_e32 v5, 0xc3e00000, v5
	v_and_b32_e32 v9, 0x7fffffff, v5
	v_cmp_gt_u32_e32 vcc, s22, v9
	s_and_saveexec_b64 s[6:7], vcc
	s_cbranch_execz .LBB24_139
; %bb.134:                              ;   in Loop: Header=BB24_65 Depth=1
	v_cmp_lt_u32_e32 vcc, s23, v9
                                        ; implicit-def: $vgpr7
	s_and_saveexec_b64 s[8:9], vcc
	s_xor_b64 s[8:9], exec, s[8:9]
; %bb.135:                              ;   in Loop: Header=BB24_65 Depth=1
	v_bfe_u32 v7, v5, 20, 1
	v_add3_u32 v7, v5, v7, s24
	v_lshrrev_b32_e32 v7, 20, v7
; %bb.136:                              ;   in Loop: Header=BB24_65 Depth=1
	s_andn2_saveexec_b64 s[8:9], s[8:9]
; %bb.137:                              ;   in Loop: Header=BB24_65 Depth=1
	v_add_f32_e64 v7, |v5|, s25
; %bb.138:                              ;   in Loop: Header=BB24_65 Depth=1
	s_or_b64 exec, exec, s[8:9]
.LBB24_139:                             ;   in Loop: Header=BB24_65 Depth=1
	s_or_b64 exec, exec, s[6:7]
	v_and_b32_sdwa v19, v8, s26 dst_sel:DWORD dst_unused:UNUSED_PAD src0_sel:BYTE_3 src1_sel:DWORD
	v_and_b32_sdwa v3, v3, s26 dst_sel:DWORD dst_unused:UNUSED_PAD src0_sel:BYTE_3 src1_sel:DWORD
	v_lshlrev_b64 v[8:9], 2, v[12:13]
	v_and_or_b32 v4, v4, s27, v19
	v_lshrrev_b32_e32 v11, 24, v11
	v_mov_b32_e32 v12, s17
	v_add_co_u32_e32 v8, vcc, s13, v8
	v_lshlrev_b32_e32 v7, 24, v7
	v_and_b32_e32 v5, 0x80000000, v5
	v_lshlrev_b32_e32 v4, 16, v4
	v_and_or_b32 v2, v2, s27, v3
	v_and_b32_e32 v3, 0xff, v6
	v_addc_co_u32_e32 v9, vcc, v12, v9, vcc
	v_or3_b32 v4, v5, v7, v4
	v_lshlrev_b32_e32 v2, 8, v2
	v_and_or_b32 v3, v11, s26, v3
	v_add_u32_e32 v0, s20, v0
	v_or3_b32 v2, v4, v2, v3
	v_cmp_gt_u32_e32 vcc, s12, v0
	s_mov_b64 s[8:9], -1
	global_store_dword v[8:9], v2, off
	s_and_saveexec_b64 s[6:7], vcc
	s_cbranch_execz .LBB24_62
; %bb.140:                              ;   in Loop: Header=BB24_65 Depth=1
	v_bfe_u32 v11, v0, 5, 25
	v_lshlrev_b64 v[6:7], 4, v[0:1]
	v_mad_u64_u32 v[12:13], s[8:9], v14, v11, 0
	v_mov_b32_e32 v3, s44
	v_add_co_u32_e32 v2, vcc, s33, v6
	v_mov_b32_e32 v20, v13
	v_addc_co_u32_e32 v3, vcc, v3, v7, vcc
	v_mad_u64_u32 v[20:21], s[8:9], v15, v11, v[20:21]
	v_mov_b32_e32 v8, s15
	v_add_co_u32_e32 v6, vcc, s14, v6
	v_mov_b32_e32 v13, v20
	v_addc_co_u32_e32 v7, vcc, v8, v7, vcc
	v_lshlrev_b64 v[12:13], 2, v[12:13]
	global_load_dwordx4 v[2:5], v[2:3], off
	v_mov_b32_e32 v11, s19
	v_add_co_u32_e32 v12, vcc, s18, v12
	global_load_dwordx4 v[6:9], v[6:7], off
	v_addc_co_u32_e32 v13, vcc, v11, v13, vcc
	global_load_dword v12, v[12:13], off
	s_waitcnt vmcnt(2)
	v_mul_f32_e32 v2, v36, v2
	s_waitcnt vmcnt(1)
	v_mul_f32_e32 v6, v2, v6
	v_mov_b32_e32 v2, 0x7f
	s_waitcnt vmcnt(0)
	v_div_scale_f32 v11, s[8:9], v12, v12, v6
	v_rcp_f32_e32 v13, v11
	v_div_scale_f32 v19, vcc, v6, v12, v6
	v_fma_f32 v20, -v11, v13, 1.0
	v_fmac_f32_e32 v13, v20, v13
	v_mul_f32_e32 v20, v19, v13
	v_fma_f32 v21, -v11, v20, v19
	v_fmac_f32_e32 v20, v21, v13
	v_fma_f32 v11, -v11, v20, v19
	v_div_fmas_f32 v11, v11, v13, v20
	v_div_fixup_f32 v6, v11, v12, v6
	v_min_f32_e32 v6, 0x43e00000, v6
	v_max_f32_e32 v11, 0xc3e00000, v6
	v_and_b32_e32 v13, 0x7fffffff, v11
	v_cmp_gt_u32_e32 vcc, s22, v13
	v_mov_b32_e32 v6, 0x7f
	s_and_saveexec_b64 s[8:9], vcc
	s_cbranch_execz .LBB24_146
; %bb.141:                              ;   in Loop: Header=BB24_65 Depth=1
	v_cmp_lt_u32_e32 vcc, s23, v13
                                        ; implicit-def: $vgpr6
	s_and_saveexec_b64 s[10:11], vcc
	s_xor_b64 s[10:11], exec, s[10:11]
; %bb.142:                              ;   in Loop: Header=BB24_65 Depth=1
	v_bfe_u32 v6, v11, 20, 1
	v_add3_u32 v6, v11, v6, s24
	v_lshrrev_b32_e32 v6, 20, v6
; %bb.143:                              ;   in Loop: Header=BB24_65 Depth=1
	s_andn2_saveexec_b64 s[10:11], s[10:11]
; %bb.144:                              ;   in Loop: Header=BB24_65 Depth=1
	v_add_f32_e64 v6, |v11|, s25
; %bb.145:                              ;   in Loop: Header=BB24_65 Depth=1
	s_or_b64 exec, exec, s[10:11]
.LBB24_146:                             ;   in Loop: Header=BB24_65 Depth=1
	s_or_b64 exec, exec, s[8:9]
	v_mul_f32_e32 v3, v36, v3
	v_mul_f32_e32 v3, v3, v7
	v_div_scale_f32 v7, s[8:9], v12, v12, v3
	v_rcp_f32_e32 v13, v7
	v_div_scale_f32 v19, vcc, v3, v12, v3
	v_fma_f32 v20, -v7, v13, 1.0
	v_fmac_f32_e32 v13, v20, v13
	v_mul_f32_e32 v20, v19, v13
	v_fma_f32 v21, -v7, v20, v19
	v_fmac_f32_e32 v20, v21, v13
	v_fma_f32 v7, -v7, v20, v19
	v_div_fmas_f32 v7, v7, v13, v20
	v_div_fixup_f32 v3, v7, v12, v3
	v_min_f32_e32 v3, 0x43e00000, v3
	v_max_f32_e32 v3, 0xc3e00000, v3
	v_and_b32_e32 v7, 0x7fffffff, v3
	v_cmp_gt_u32_e32 vcc, s22, v7
	s_and_saveexec_b64 s[8:9], vcc
	s_cbranch_execz .LBB24_152
; %bb.147:                              ;   in Loop: Header=BB24_65 Depth=1
	v_cmp_lt_u32_e32 vcc, s23, v7
                                        ; implicit-def: $vgpr2
	s_and_saveexec_b64 s[10:11], vcc
	s_xor_b64 s[10:11], exec, s[10:11]
; %bb.148:                              ;   in Loop: Header=BB24_65 Depth=1
	v_bfe_u32 v2, v3, 20, 1
	v_add3_u32 v2, v3, v2, s24
	v_lshrrev_b32_e32 v2, 20, v2
; %bb.149:                              ;   in Loop: Header=BB24_65 Depth=1
	s_andn2_saveexec_b64 s[10:11], s[10:11]
; %bb.150:                              ;   in Loop: Header=BB24_65 Depth=1
	v_add_f32_e64 v2, |v3|, s25
; %bb.151:                              ;   in Loop: Header=BB24_65 Depth=1
	s_or_b64 exec, exec, s[10:11]
.LBB24_152:                             ;   in Loop: Header=BB24_65 Depth=1
	s_or_b64 exec, exec, s[8:9]
	v_mul_f32_e32 v4, v36, v4
	v_mul_f32_e32 v4, v4, v8
	v_div_scale_f32 v7, s[8:9], v12, v12, v4
	v_rcp_f32_e32 v8, v7
	v_div_scale_f32 v13, vcc, v4, v12, v4
	v_fma_f32 v19, -v7, v8, 1.0
	v_fmac_f32_e32 v8, v19, v8
	v_mul_f32_e32 v19, v13, v8
	v_fma_f32 v20, -v7, v19, v13
	v_fmac_f32_e32 v19, v20, v8
	v_fma_f32 v7, -v7, v19, v13
	v_div_fmas_f32 v7, v7, v8, v19
	v_div_fixup_f32 v4, v7, v12, v4
	v_min_f32_e32 v4, 0x43e00000, v4
	v_max_f32_e32 v8, 0xc3e00000, v4
	v_and_b32_e32 v13, 0x7fffffff, v8
	v_cmp_gt_u32_e32 vcc, s22, v13
	v_mov_b32_e32 v7, 0x7f
	v_mov_b32_e32 v4, 0x7f
	s_and_saveexec_b64 s[8:9], vcc
	s_cbranch_execz .LBB24_158
; %bb.153:                              ;   in Loop: Header=BB24_65 Depth=1
	v_cmp_lt_u32_e32 vcc, s23, v13
                                        ; implicit-def: $vgpr4
	s_and_saveexec_b64 s[10:11], vcc
	s_xor_b64 s[10:11], exec, s[10:11]
; %bb.154:                              ;   in Loop: Header=BB24_65 Depth=1
	v_bfe_u32 v4, v8, 20, 1
	v_add3_u32 v4, v8, v4, s24
	v_lshrrev_b32_e32 v4, 20, v4
; %bb.155:                              ;   in Loop: Header=BB24_65 Depth=1
	s_andn2_saveexec_b64 s[10:11], s[10:11]
; %bb.156:                              ;   in Loop: Header=BB24_65 Depth=1
	v_add_f32_e64 v4, |v8|, s25
; %bb.157:                              ;   in Loop: Header=BB24_65 Depth=1
	s_or_b64 exec, exec, s[10:11]
.LBB24_158:                             ;   in Loop: Header=BB24_65 Depth=1
	s_or_b64 exec, exec, s[8:9]
	v_mul_f32_e32 v5, v36, v5
	v_mul_f32_e32 v5, v5, v9
	v_div_scale_f32 v9, s[8:9], v12, v12, v5
	v_rcp_f32_e32 v13, v9
	v_div_scale_f32 v19, vcc, v5, v12, v5
	v_fma_f32 v20, -v9, v13, 1.0
	v_fmac_f32_e32 v13, v20, v13
	v_mul_f32_e32 v20, v19, v13
	v_fma_f32 v21, -v9, v20, v19
	v_fmac_f32_e32 v20, v21, v13
	v_fma_f32 v9, -v9, v20, v19
	v_div_fmas_f32 v9, v9, v13, v20
	v_div_fixup_f32 v5, v9, v12, v5
	v_min_f32_e32 v5, 0x43e00000, v5
	v_max_f32_e32 v5, 0xc3e00000, v5
	v_and_b32_e32 v9, 0x7fffffff, v5
	v_cmp_gt_u32_e32 vcc, s22, v9
	s_and_saveexec_b64 s[8:9], vcc
	s_cbranch_execz .LBB24_61
; %bb.159:                              ;   in Loop: Header=BB24_65 Depth=1
	v_cmp_lt_u32_e32 vcc, s23, v9
                                        ; implicit-def: $vgpr7
	s_and_saveexec_b64 s[10:11], vcc
	s_xor_b64 s[10:11], exec, s[10:11]
; %bb.160:                              ;   in Loop: Header=BB24_65 Depth=1
	v_bfe_u32 v7, v5, 20, 1
	v_add3_u32 v7, v5, v7, s24
	v_lshrrev_b32_e32 v7, 20, v7
; %bb.161:                              ;   in Loop: Header=BB24_65 Depth=1
	s_andn2_saveexec_b64 s[10:11], s[10:11]
	s_cbranch_execz .LBB24_60
; %bb.162:                              ;   in Loop: Header=BB24_65 Depth=1
	v_add_f32_e64 v7, |v5|, s25
	s_branch .LBB24_60
.LBB24_163:
	s_endpgm
.LBB24_164:
                                        ; implicit-def: $vgpr4_vgpr5
	s_andn2_b64 vcc, exec, s[26:27]
	s_cbranch_vccz .LBB24_53
	s_branch .LBB24_54
.LBB24_165:
                                        ; implicit-def: $vgpr2_vgpr3
	s_andn2_b64 vcc, exec, s[22:23]
	s_cbranch_vccz .LBB24_58
	s_branch .LBB24_59
	.section	.rodata,"a",@progbits
	.p2align	6, 0x0
	.amdhsa_kernel _ZN4vllm31rms_norm_per_block_quant_kernelIfN3c1013Float8_e4m3fnELb0ELb1ELi128EEEvPT0_PfPKT_S8_PKffiiPS6_l
		.amdhsa_group_segment_fixed_size 4164
		.amdhsa_private_segment_fixed_size 0
		.amdhsa_kernarg_size 328
		.amdhsa_user_sgpr_count 6
		.amdhsa_user_sgpr_private_segment_buffer 1
		.amdhsa_user_sgpr_dispatch_ptr 0
		.amdhsa_user_sgpr_queue_ptr 0
		.amdhsa_user_sgpr_kernarg_segment_ptr 1
		.amdhsa_user_sgpr_dispatch_id 0
		.amdhsa_user_sgpr_flat_scratch_init 0
		.amdhsa_user_sgpr_kernarg_preload_length 0
		.amdhsa_user_sgpr_kernarg_preload_offset 0
		.amdhsa_user_sgpr_private_segment_size 0
		.amdhsa_uses_dynamic_stack 0
		.amdhsa_system_sgpr_private_segment_wavefront_offset 0
		.amdhsa_system_sgpr_workgroup_id_x 1
		.amdhsa_system_sgpr_workgroup_id_y 0
		.amdhsa_system_sgpr_workgroup_id_z 0
		.amdhsa_system_sgpr_workgroup_info 0
		.amdhsa_system_vgpr_workitem_id 0
		.amdhsa_next_free_vgpr 40
		.amdhsa_next_free_sgpr 46
		.amdhsa_accum_offset 40
		.amdhsa_reserve_vcc 1
		.amdhsa_reserve_flat_scratch 0
		.amdhsa_float_round_mode_32 0
		.amdhsa_float_round_mode_16_64 0
		.amdhsa_float_denorm_mode_32 3
		.amdhsa_float_denorm_mode_16_64 3
		.amdhsa_dx10_clamp 1
		.amdhsa_ieee_mode 1
		.amdhsa_fp16_overflow 0
		.amdhsa_tg_split 0
		.amdhsa_exception_fp_ieee_invalid_op 0
		.amdhsa_exception_fp_denorm_src 0
		.amdhsa_exception_fp_ieee_div_zero 0
		.amdhsa_exception_fp_ieee_overflow 0
		.amdhsa_exception_fp_ieee_underflow 0
		.amdhsa_exception_fp_ieee_inexact 0
		.amdhsa_exception_int_div_zero 0
	.end_amdhsa_kernel
	.section	.text._ZN4vllm31rms_norm_per_block_quant_kernelIfN3c1013Float8_e4m3fnELb0ELb1ELi128EEEvPT0_PfPKT_S8_PKffiiPS6_l,"axG",@progbits,_ZN4vllm31rms_norm_per_block_quant_kernelIfN3c1013Float8_e4m3fnELb0ELb1ELi128EEEvPT0_PfPKT_S8_PKffiiPS6_l,comdat
.Lfunc_end24:
	.size	_ZN4vllm31rms_norm_per_block_quant_kernelIfN3c1013Float8_e4m3fnELb0ELb1ELi128EEEvPT0_PfPKT_S8_PKffiiPS6_l, .Lfunc_end24-_ZN4vllm31rms_norm_per_block_quant_kernelIfN3c1013Float8_e4m3fnELb0ELb1ELi128EEEvPT0_PfPKT_S8_PKffiiPS6_l
                                        ; -- End function
	.section	.AMDGPU.csdata,"",@progbits
; Kernel info:
; codeLenInByte = 9208
; NumSgprs: 50
; NumVgprs: 40
; NumAgprs: 0
; TotalNumVgprs: 40
; ScratchSize: 0
; MemoryBound: 0
; FloatMode: 240
; IeeeMode: 1
; LDSByteSize: 4164 bytes/workgroup (compile time only)
; SGPRBlocks: 6
; VGPRBlocks: 4
; NumSGPRsForWavesPerEU: 50
; NumVGPRsForWavesPerEU: 40
; AccumOffset: 40
; Occupancy: 8
; WaveLimiterHint : 0
; COMPUTE_PGM_RSRC2:SCRATCH_EN: 0
; COMPUTE_PGM_RSRC2:USER_SGPR: 6
; COMPUTE_PGM_RSRC2:TRAP_HANDLER: 0
; COMPUTE_PGM_RSRC2:TGID_X_EN: 1
; COMPUTE_PGM_RSRC2:TGID_Y_EN: 0
; COMPUTE_PGM_RSRC2:TGID_Z_EN: 0
; COMPUTE_PGM_RSRC2:TIDIG_COMP_CNT: 0
; COMPUTE_PGM_RSRC3_GFX90A:ACCUM_OFFSET: 9
; COMPUTE_PGM_RSRC3_GFX90A:TG_SPLIT: 0
	.section	.text._ZN4vllm31rms_norm_per_block_quant_kernelIfN3c1015Float8_e4m3fnuzELb0ELb1ELi128EEEvPT0_PfPKT_S8_PKffiiPS6_l,"axG",@progbits,_ZN4vllm31rms_norm_per_block_quant_kernelIfN3c1015Float8_e4m3fnuzELb0ELb1ELi128EEEvPT0_PfPKT_S8_PKffiiPS6_l,comdat
	.protected	_ZN4vllm31rms_norm_per_block_quant_kernelIfN3c1015Float8_e4m3fnuzELb0ELb1ELi128EEEvPT0_PfPKT_S8_PKffiiPS6_l ; -- Begin function _ZN4vllm31rms_norm_per_block_quant_kernelIfN3c1015Float8_e4m3fnuzELb0ELb1ELi128EEEvPT0_PfPKT_S8_PKffiiPS6_l
	.globl	_ZN4vllm31rms_norm_per_block_quant_kernelIfN3c1015Float8_e4m3fnuzELb0ELb1ELi128EEEvPT0_PfPKT_S8_PKffiiPS6_l
	.p2align	8
	.type	_ZN4vllm31rms_norm_per_block_quant_kernelIfN3c1015Float8_e4m3fnuzELb0ELb1ELi128EEEvPT0_PfPKT_S8_PKffiiPS6_l,@function
_ZN4vllm31rms_norm_per_block_quant_kernelIfN3c1015Float8_e4m3fnuzELb0ELb1ELi128EEEvPT0_PfPKT_S8_PKffiiPS6_l: ; @_ZN4vllm31rms_norm_per_block_quant_kernelIfN3c1015Float8_e4m3fnuzELb0ELb1ELi128EEEvPT0_PfPKT_S8_PKffiiPS6_l
; %bb.0:
	s_load_dwordx4 s[16:19], s[4:5], 0x28
	s_load_dwordx8 s[8:15], s[4:5], 0x0
	s_load_dword s46, s[4:5], 0x48
	s_mov_b32 s7, 0
	v_mov_b32_e32 v1, 0
	s_waitcnt lgkmcnt(0)
	s_ashr_i32 s0, s18, 31
	s_mul_hi_u32 s1, s18, s6
	s_mul_i32 s0, s0, s6
	s_add_i32 s1, s1, s0
	s_mul_i32 s0, s18, s6
	s_lshl_b64 s[0:1], s[0:1], 2
	s_add_u32 s33, s12, s0
	s_addc_u32 s44, s13, s1
	s_ashr_i32 s12, s17, 2
	s_add_u32 s18, s4, 0x48
	s_mov_b32 s20, s17
	v_cmp_gt_u32_e64 s[0:1], s12, v0
	s_addc_u32 s19, s5, 0
	s_and_saveexec_b64 s[2:3], s[0:1]
	s_cbranch_execz .LBB25_10
; %bb.1:
	s_cmp_lt_u32 s6, s46
	s_cselect_b32 s13, 12, 18
	s_add_u32 s22, s18, s13
	s_addc_u32 s23, s19, 0
	v_mov_b32_e32 v3, 0
	global_load_ushort v8, v3, s[22:23]
	s_mov_b64 s[22:23], 0
	v_mov_b32_e32 v9, s44
	v_mov_b32_e32 v2, v0
                                        ; implicit-def: $sgpr24_sgpr25
	s_waitcnt vmcnt(0)
	v_add_u32_e32 v1, v8, v8
	v_mul_lo_u32 v10, v8, 3
	v_lshlrev_b32_e32 v11, 1, v8
	v_add_u32_e32 v12, v1, v8
	v_mov_b32_e32 v1, v3
	s_branch .LBB25_5
.LBB25_2:                               ;   in Loop: Header=BB25_5 Depth=1
	s_or_b64 exec, exec, s[30:31]
	s_orn2_b64 s[30:31], s[34:35], exec
.LBB25_3:                               ;   in Loop: Header=BB25_5 Depth=1
	s_or_b64 exec, exec, s[28:29]
	s_andn2_b64 s[24:25], s[24:25], exec
	s_and_b64 s[28:29], s[30:31], exec
	s_or_b64 s[24:25], s[24:25], s[28:29]
.LBB25_4:                               ;   in Loop: Header=BB25_5 Depth=1
	s_or_b64 exec, exec, s[26:27]
	s_and_b64 s[26:27], exec, s[24:25]
	s_or_b64 s[22:23], s[26:27], s[22:23]
	s_andn2_b64 exec, exec, s[22:23]
	s_cbranch_execz .LBB25_9
.LBB25_5:                               ; =>This Inner Loop Header: Depth=1
	v_lshlrev_b64 v[4:5], 4, v[2:3]
	v_add_co_u32_e32 v4, vcc, s33, v4
	v_addc_co_u32_e32 v5, vcc, v9, v5, vcc
	global_load_dwordx4 v[14:17], v[4:5], off
	v_add_u32_e32 v4, v2, v8
	v_cmp_gt_u32_e32 vcc, s12, v4
	s_or_b64 s[24:25], s[24:25], exec
	s_waitcnt vmcnt(0)
	v_fmac_f32_e32 v1, v14, v14
	v_fmac_f32_e32 v1, v15, v15
	;; [unrolled: 1-line block ×4, first 2 shown]
	s_and_saveexec_b64 s[26:27], vcc
	s_cbranch_execz .LBB25_4
; %bb.6:                                ;   in Loop: Header=BB25_5 Depth=1
	v_mov_b32_e32 v5, v3
	v_lshlrev_b64 v[6:7], 4, v[4:5]
	v_add_co_u32_e32 v6, vcc, s33, v6
	v_addc_co_u32_e32 v7, vcc, v9, v7, vcc
	global_load_dwordx4 v[14:17], v[6:7], off
	v_add_u32_e32 v6, v11, v2
	v_cmp_gt_u32_e32 vcc, s12, v6
	s_mov_b64 s[30:31], -1
	s_waitcnt vmcnt(0)
	v_fmac_f32_e32 v1, v14, v14
	v_fmac_f32_e32 v1, v15, v15
	;; [unrolled: 1-line block ×4, first 2 shown]
	s_and_saveexec_b64 s[28:29], vcc
	s_cbranch_execz .LBB25_3
; %bb.7:                                ;   in Loop: Header=BB25_5 Depth=1
	v_mov_b32_e32 v7, v3
	v_lshlrev_b64 v[6:7], 4, v[6:7]
	v_add_co_u32_e32 v6, vcc, s33, v6
	v_addc_co_u32_e32 v7, vcc, v9, v7, vcc
	global_load_dwordx4 v[14:17], v[6:7], off
	v_add_u32_e32 v2, v10, v2
	v_cmp_gt_u32_e32 vcc, s12, v2
	s_mov_b64 s[34:35], -1
	s_waitcnt vmcnt(0)
	v_fmac_f32_e32 v1, v14, v14
	v_fmac_f32_e32 v1, v15, v15
	;; [unrolled: 1-line block ×4, first 2 shown]
	s_and_saveexec_b64 s[30:31], vcc
	s_xor_b64 s[30:31], exec, s[30:31]
	s_cbranch_execz .LBB25_2
; %bb.8:                                ;   in Loop: Header=BB25_5 Depth=1
	v_lshlrev_b64 v[6:7], 4, v[2:3]
	v_add_co_u32_e32 v6, vcc, s33, v6
	v_addc_co_u32_e32 v7, vcc, v9, v7, vcc
	global_load_dwordx4 v[14:17], v[6:7], off
	v_add_u32_e32 v2, v12, v4
	v_cmp_le_u32_e32 vcc, s12, v2
	s_orn2_b64 s[34:35], vcc, exec
	s_waitcnt vmcnt(0)
	v_fmac_f32_e32 v1, v14, v14
	v_fmac_f32_e32 v1, v15, v15
	;; [unrolled: 1-line block ×4, first 2 shown]
	s_branch .LBB25_2
.LBB25_9:
	s_or_b64 exec, exec, s[22:23]
.LBB25_10:
	s_or_b64 exec, exec, s[2:3]
	v_mbcnt_lo_u32_b32 v2, -1, 0
	v_mbcnt_hi_u32_b32 v2, -1, v2
	v_and_b32_e32 v3, 63, v2
	v_cmp_ne_u32_e32 vcc, 63, v3
	s_load_dword s2, s[18:19], 0xc
	v_addc_co_u32_e32 v4, vcc, 0, v2, vcc
	v_lshlrev_b32_e32 v4, 2, v4
	ds_bpermute_b32 v4, v4, v1
	s_waitcnt lgkmcnt(0)
	s_and_b32 s13, s2, 0xffff
	v_and_b32_e32 v5, 0x3c0, v0
	v_sub_u32_e64 v5, s13, v5 clamp
	v_add_u32_e32 v6, 1, v2
	v_add_f32_e32 v4, v1, v4
	v_cmp_lt_u32_e32 vcc, v6, v5
	v_cndmask_b32_e32 v1, v1, v4, vcc
	v_cmp_gt_u32_e32 vcc, 62, v3
	v_cndmask_b32_e64 v4, 0, 1, vcc
	v_lshlrev_b32_e32 v4, 1, v4
	v_add_lshl_u32 v4, v4, v2, 2
	ds_bpermute_b32 v4, v4, v1
	v_add_u32_e32 v6, 2, v2
	v_cmp_lt_u32_e32 vcc, v6, v5
	v_add_u32_e32 v6, 4, v2
	s_waitcnt lgkmcnt(0)
	v_add_f32_e32 v4, v1, v4
	v_cndmask_b32_e32 v1, v1, v4, vcc
	v_cmp_gt_u32_e32 vcc, 60, v3
	v_cndmask_b32_e64 v4, 0, 1, vcc
	v_lshlrev_b32_e32 v4, 2, v4
	v_add_lshl_u32 v4, v4, v2, 2
	ds_bpermute_b32 v4, v4, v1
	v_cmp_lt_u32_e32 vcc, v6, v5
	v_add_u32_e32 v6, 8, v2
	s_waitcnt lgkmcnt(0)
	v_add_f32_e32 v4, v1, v4
	v_cndmask_b32_e32 v1, v1, v4, vcc
	v_cmp_gt_u32_e32 vcc, 56, v3
	v_cndmask_b32_e64 v4, 0, 1, vcc
	v_lshlrev_b32_e32 v4, 3, v4
	v_add_lshl_u32 v4, v4, v2, 2
	ds_bpermute_b32 v4, v4, v1
	;; [unrolled: 10-line block ×3, first 2 shown]
	v_cmp_lt_u32_e32 vcc, v6, v5
	s_waitcnt lgkmcnt(0)
	v_add_f32_e32 v4, v1, v4
	v_cndmask_b32_e32 v1, v1, v4, vcc
	v_cmp_gt_u32_e32 vcc, 32, v3
	v_cndmask_b32_e64 v3, 0, 1, vcc
	v_lshlrev_b32_e32 v3, 5, v3
	v_add_lshl_u32 v3, v3, v2, 2
	ds_bpermute_b32 v3, v3, v1
	v_add_u32_e32 v4, 32, v2
	v_cmp_lt_u32_e32 vcc, v4, v5
	s_waitcnt lgkmcnt(0)
	v_add_f32_e32 v3, v1, v3
	v_cndmask_b32_e32 v1, v1, v3, vcc
	v_cmp_eq_u32_e32 vcc, 0, v2
	s_and_saveexec_b64 s[2:3], vcc
	s_cbranch_execz .LBB25_12
; %bb.11:
	v_lshrrev_b32_e32 v3, 4, v0
	v_and_b32_e32 v3, 60, v3
	ds_write_b32 v3, v1 offset:4096
.LBB25_12:
	s_or_b64 exec, exec, s[2:3]
	v_cmp_gt_u32_e32 vcc, 16, v0
	s_waitcnt lgkmcnt(0)
	s_barrier
	s_and_saveexec_b64 s[22:23], vcc
	s_cbranch_execz .LBB25_14
; %bb.13:
	v_lshlrev_b32_e32 v1, 2, v2
	ds_read_b32 v1, v1 offset:4096
	v_and_b32_e32 v3, 15, v2
	v_cmp_ne_u32_e32 vcc, 15, v3
	v_addc_co_u32_e32 v4, vcc, 0, v2, vcc
	v_lshlrev_b32_e32 v4, 2, v4
	s_waitcnt lgkmcnt(0)
	ds_bpermute_b32 v4, v4, v1
	s_add_i32 s13, s13, 63
	s_lshr_b32 s13, s13, 6
	v_add_u32_e32 v5, 1, v3
	v_cmp_gt_u32_e64 s[2:3], 14, v3
	v_cmp_gt_u32_e32 vcc, s13, v5
	v_cndmask_b32_e64 v5, 0, 1, s[2:3]
	s_waitcnt lgkmcnt(0)
	v_add_f32_e32 v4, v1, v4
	v_lshlrev_b32_e32 v5, 1, v5
	v_cndmask_b32_e32 v4, v1, v4, vcc
	v_add_lshl_u32 v5, v5, v2, 2
	ds_bpermute_b32 v5, v5, v4
	v_add_u32_e32 v6, 2, v3
	v_cmp_gt_u32_e64 s[2:3], s13, v6
	v_add_u32_e32 v6, 4, v3
	s_waitcnt lgkmcnt(0)
	v_add_f32_e32 v5, v4, v5
	v_cndmask_b32_e64 v4, v4, v5, s[2:3]
	v_cmp_gt_u32_e64 s[2:3], 12, v3
	v_cndmask_b32_e64 v5, 0, 1, s[2:3]
	v_lshlrev_b32_e32 v5, 2, v5
	v_add_lshl_u32 v5, v5, v2, 2
	ds_bpermute_b32 v5, v5, v4
	v_cmp_gt_u32_e64 s[2:3], s13, v6
	s_waitcnt lgkmcnt(0)
	v_add_f32_e32 v5, v4, v5
	v_cndmask_b32_e64 v4, v4, v5, s[2:3]
	v_cmp_gt_u32_e64 s[2:3], 8, v3
	v_cndmask_b32_e64 v5, 0, 1, s[2:3]
	v_lshlrev_b32_e32 v5, 3, v5
	v_add_lshl_u32 v2, v5, v2, 2
	ds_bpermute_b32 v2, v2, v4
	v_add_u32_e32 v3, 8, v3
	v_cmp_gt_u32_e64 s[2:3], s13, v3
	s_waitcnt lgkmcnt(0)
	v_add_f32_e32 v2, v4, v2
	v_cndmask_b32_e64 v2, v4, v2, s[2:3]
	v_cndmask_b32_e32 v1, v1, v2, vcc
.LBB25_14:
	s_or_b64 exec, exec, s[22:23]
	v_cmp_eq_u32_e32 vcc, 0, v0
	s_and_saveexec_b64 s[2:3], vcc
	s_cbranch_execz .LBB25_16
; %bb.15:
	v_cvt_f32_i32_e32 v2, s17
	s_mov_b32 s13, 0x800000
	v_div_scale_f32 v3, s[22:23], v2, v2, v1
	v_rcp_f32_e32 v4, v3
	v_div_scale_f32 v5, vcc, v1, v2, v1
	v_fma_f32 v6, -v3, v4, 1.0
	v_fmac_f32_e32 v4, v6, v4
	v_mul_f32_e32 v6, v5, v4
	v_fma_f32 v7, -v3, v6, v5
	v_fmac_f32_e32 v6, v7, v4
	v_fma_f32 v3, -v3, v6, v5
	v_div_fmas_f32 v3, v3, v4, v6
	v_div_fixup_f32 v1, v3, v2, v1
	v_add_f32_e32 v1, s16, v1
	v_mul_f32_e32 v2, 0x4b800000, v1
	v_cmp_gt_f32_e32 vcc, s13, v1
	v_cndmask_b32_e32 v1, v1, v2, vcc
	v_rsq_f32_e32 v1, v1
	v_mul_f32_e32 v2, 0x45800000, v1
	v_cndmask_b32_e32 v1, v1, v2, vcc
	v_mov_b32_e32 v2, 0
	ds_write_b32 v2, v1 offset:4160
.LBB25_16:
	s_or_b64 exec, exec, s[2:3]
	s_ashr_i32 s21, s17, 31
	s_lshr_b32 s2, s21, 25
	s_add_i32 s3, s17, s2
	s_ashr_i32 s2, s3, 7
	s_cmp_lt_u32 s6, s46
	s_cselect_b32 s13, 12, 18
	s_add_u32 s18, s18, s13
	v_mov_b32_e32 v5, 0
	s_addc_u32 s19, s19, 0
	s_waitcnt lgkmcnt(0)
	s_barrier
	global_load_ushort v1, v5, s[18:19]
	ds_read_b32 v36, v5 offset:4160
	s_abs_i32 s13, s2
	v_cvt_f32_u32_e32 v2, s13
	s_sub_i32 s16, 0, s13
	s_ashr_i32 s3, s3, 31
	v_mov_b32_e32 v10, s12
	v_rcp_iflag_f32_e32 v2, v2
	v_mul_f32_e32 v2, 0x4f7ffffe, v2
	v_cvt_u32_f32_e32 v2, v2
	v_readfirstlane_b32 s18, v2
	s_mul_i32 s16, s16, s18
	s_mul_hi_u32 s16, s18, s16
	s_add_i32 s18, s18, s16
	s_waitcnt vmcnt(0)
	v_readfirstlane_b32 s45, v1
	s_mul_hi_u32 s16, s45, s18
	s_mul_i32 s18, s16, s13
	s_sub_i32 s18, s45, s18
	s_add_i32 s19, s16, 1
	s_sub_i32 s22, s18, s13
	s_cmp_ge_u32 s18, s13
	s_cselect_b32 s16, s19, s16
	s_cselect_b32 s18, s22, s18
	s_add_i32 s19, s16, 1
	s_cmp_ge_u32 s18, s13
	s_cselect_b32 s13, s19, s16
	s_xor_b32 s13, s13, s3
	s_sub_i32 s18, s13, s3
	s_abs_i32 s3, s18
	v_cvt_f32_u32_e32 v1, s3
	s_sub_i32 s16, 0, s3
	s_ashr_i32 s19, s18, 31
	s_ashr_i32 s13, s12, 31
	v_rcp_iflag_f32_e32 v1, v1
	v_mov_b32_e32 v11, s13
	v_mul_f32_e32 v1, 0x4f7ffffe, v1
	v_cvt_u32_f32_e32 v1, v1
	v_mul_lo_u32 v2, s16, v1
	v_mul_hi_u32 v2, v1, v2
	v_add_u32_e32 v1, v1, v2
	v_mul_hi_u32 v1, v0, v1
	v_mul_lo_u32 v2, v1, s3
	v_sub_u32_e32 v2, v0, v2
	v_add_u32_e32 v3, 1, v1
	v_cmp_le_u32_e32 vcc, s3, v2
	v_cndmask_b32_e32 v1, v1, v3, vcc
	v_subrev_u32_e32 v3, s3, v2
	v_cndmask_b32_e32 v2, v2, v3, vcc
	v_add_u32_e32 v3, 1, v1
	v_cmp_le_u32_e32 vcc, s3, v2
	v_cndmask_b32_e32 v1, v1, v3, vcc
	v_xor_b32_e32 v1, s19, v1
	v_subrev_u32_e32 v2, s19, v1
	v_mul_lo_u32 v1, v2, s18
	v_ashrrev_i32_e32 v3, 31, v2
	v_sub_u32_e32 v4, v0, v1
	v_lshlrev_b64 v[8:9], 5, v[2:3]
	v_add_co_u32_e32 v6, vcc, v8, v4
	v_addc_co_u32_e32 v7, vcc, 0, v9, vcc
	v_add_co_u32_e32 v8, vcc, 32, v8
	v_addc_co_u32_e32 v9, vcc, 0, v9, vcc
	v_cmp_gt_i64_e32 vcc, s[12:13], v[8:9]
	v_cndmask_b32_e32 v8, v10, v8, vcc
	v_cndmask_b32_e32 v9, v11, v9, vcc
	v_ashrrev_i32_e32 v11, 31, v8
	v_mov_b32_e32 v10, v8
	v_cmp_lt_i64_e32 vcc, v[6:7], v[10:11]
	s_and_saveexec_b64 s[22:23], vcc
	s_cbranch_execz .LBB25_26
; %bb.17:
	v_lshlrev_b64 v[12:13], 9, v[2:3]
	v_lshlrev_b64 v[14:15], 4, v[4:5]
	v_add_co_u32_e32 v12, vcc, v12, v14
	v_addc_co_u32_e32 v1, vcc, v13, v15, vcc
	s_lshl_b64 s[24:25], s[18:19], 6
	s_mul_hi_i32 s3, s18, 3
	s_mul_i32 s13, s18, 3
	s_lshl_b64 s[26:27], s[18:19], 1
	s_lshl_b64 s[30:31], s[18:19], 4
	s_mov_b64 s[28:29], 0
	v_mov_b32_e32 v5, 0
	v_mov_b32_e32 v13, s44
	v_mov_b32_e32 v22, s15
	v_mov_b32_e32 v23, s19
	v_pk_mov_b32 v[14:15], v[6:7], v[6:7] op_sel:[0,1]
                                        ; implicit-def: $sgpr34_sgpr35
	s_branch .LBB25_21
.LBB25_18:                              ;   in Loop: Header=BB25_21 Depth=1
	s_or_b64 exec, exec, s[40:41]
	s_orn2_b64 s[40:41], s[42:43], exec
.LBB25_19:                              ;   in Loop: Header=BB25_21 Depth=1
	s_or_b64 exec, exec, s[38:39]
	s_andn2_b64 s[34:35], s[34:35], exec
	s_and_b64 s[38:39], s[40:41], exec
	s_or_b64 s[34:35], s[34:35], s[38:39]
.LBB25_20:                              ;   in Loop: Header=BB25_21 Depth=1
	s_or_b64 exec, exec, s[36:37]
	s_and_b64 s[36:37], exec, s[34:35]
	s_or_b64 s[28:29], s[36:37], s[28:29]
	s_andn2_b64 exec, exec, s[28:29]
	s_cbranch_execz .LBB25_25
.LBB25_21:                              ; =>This Inner Loop Header: Depth=1
	v_add_co_u32_e32 v18, vcc, s33, v12
	v_addc_co_u32_e32 v19, vcc, v13, v1, vcc
	v_add_co_u32_e32 v20, vcc, s14, v12
	global_load_dwordx4 v[24:27], v[18:19], off
	v_addc_co_u32_e32 v21, vcc, v22, v1, vcc
	global_load_dwordx4 v[28:31], v[20:21], off
	v_add_co_u32_e32 v16, vcc, s18, v14
	v_addc_co_u32_e32 v17, vcc, v15, v23, vcc
	v_cmp_lt_i64_e32 vcc, v[16:17], v[10:11]
	s_or_b64 s[34:35], s[34:35], exec
	s_waitcnt vmcnt(1) lgkmcnt(0)
	v_mul_f32_e32 v24, v36, v24
	v_mul_f32_e32 v25, v36, v25
	;; [unrolled: 1-line block ×4, first 2 shown]
	s_waitcnt vmcnt(0)
	v_mul_f32_e32 v24, v24, v28
	v_mul_f32_e32 v25, v25, v29
	;; [unrolled: 1-line block ×4, first 2 shown]
	v_max3_f32 v5, v5, |v24|, |v25|
	v_max3_f32 v5, v5, |v26|, |v27|
	s_and_saveexec_b64 s[36:37], vcc
	s_cbranch_execz .LBB25_20
; %bb.22:                               ;   in Loop: Header=BB25_21 Depth=1
	v_mov_b32_e32 v28, s31
	v_add_co_u32_e32 v18, vcc, s30, v18
	v_addc_co_u32_e32 v19, vcc, v19, v28, vcc
	v_add_co_u32_e32 v20, vcc, s30, v20
	global_load_dwordx4 v[24:27], v[18:19], off
	v_addc_co_u32_e32 v21, vcc, v21, v28, vcc
	global_load_dwordx4 v[28:31], v[20:21], off
	v_mov_b32_e32 v33, s27
	v_add_co_u32_e32 v32, vcc, s26, v14
	v_addc_co_u32_e32 v33, vcc, v33, v15, vcc
	v_cmp_lt_i64_e32 vcc, v[32:33], v[10:11]
	s_mov_b64 s[40:41], -1
	s_waitcnt vmcnt(1)
	v_mul_f32_e32 v24, v36, v24
	v_mul_f32_e32 v25, v36, v25
	;; [unrolled: 1-line block ×4, first 2 shown]
	s_waitcnt vmcnt(0)
	v_mul_f32_e32 v24, v24, v28
	v_mul_f32_e32 v25, v25, v29
	;; [unrolled: 1-line block ×4, first 2 shown]
	v_max3_f32 v5, v5, |v24|, |v25|
	v_max3_f32 v5, v5, |v26|, |v27|
	s_and_saveexec_b64 s[38:39], vcc
	s_cbranch_execz .LBB25_19
; %bb.23:                               ;   in Loop: Header=BB25_21 Depth=1
	v_mov_b32_e32 v28, s31
	v_add_co_u32_e32 v18, vcc, s30, v18
	v_addc_co_u32_e32 v19, vcc, v19, v28, vcc
	v_add_co_u32_e32 v20, vcc, s30, v20
	global_load_dwordx4 v[24:27], v[18:19], off
	v_addc_co_u32_e32 v21, vcc, v21, v28, vcc
	global_load_dwordx4 v[28:31], v[20:21], off
	v_mov_b32_e32 v32, s3
	v_add_co_u32_e32 v14, vcc, s13, v14
	v_addc_co_u32_e32 v15, vcc, v32, v15, vcc
	v_cmp_lt_i64_e32 vcc, v[14:15], v[10:11]
	s_mov_b64 s[42:43], -1
	s_waitcnt vmcnt(1)
	v_mul_f32_e32 v14, v36, v24
	v_mul_f32_e32 v15, v36, v25
	;; [unrolled: 1-line block ×4, first 2 shown]
	s_waitcnt vmcnt(0)
	v_mul_f32_e32 v14, v14, v28
	v_mul_f32_e32 v15, v15, v29
	v_mul_f32_e32 v24, v24, v30
	v_mul_f32_e32 v25, v25, v31
	v_max3_f32 v5, v5, |v14|, |v15|
	v_max3_f32 v5, v5, |v24|, |v25|
                                        ; implicit-def: $vgpr14_vgpr15
	s_and_saveexec_b64 s[40:41], vcc
	s_xor_b64 s[40:41], exec, s[40:41]
	s_cbranch_execz .LBB25_18
; %bb.24:                               ;   in Loop: Header=BB25_21 Depth=1
	v_mov_b32_e32 v28, s31
	v_add_co_u32_e32 v14, vcc, s30, v18
	v_addc_co_u32_e32 v15, vcc, v19, v28, vcc
	global_load_dwordx4 v[24:27], v[14:15], off
	v_add_co_u32_e32 v14, vcc, s30, v20
	v_addc_co_u32_e32 v15, vcc, v21, v28, vcc
	global_load_dwordx4 v[18:21], v[14:15], off
	s_add_u32 s16, s18, s18
	s_addc_u32 s42, s19, s19
	v_mov_b32_e32 v14, s25
	v_add_co_u32_e32 v12, vcc, s24, v12
	s_add_u32 s16, s16, s18
	v_addc_co_u32_e32 v1, vcc, v1, v14, vcc
	s_addc_u32 s42, s42, s19
	v_mov_b32_e32 v15, s42
	v_add_co_u32_e32 v14, vcc, s16, v16
	v_addc_co_u32_e32 v15, vcc, v15, v17, vcc
	v_cmp_ge_i64_e32 vcc, v[14:15], v[10:11]
	s_orn2_b64 s[42:43], vcc, exec
	s_waitcnt vmcnt(1)
	v_mul_f32_e32 v16, v36, v24
	v_mul_f32_e32 v17, v36, v25
	;; [unrolled: 1-line block ×4, first 2 shown]
	s_waitcnt vmcnt(0)
	v_mul_f32_e32 v16, v16, v18
	v_mul_f32_e32 v17, v17, v19
	;; [unrolled: 1-line block ×4, first 2 shown]
	v_max3_f32 v5, v5, |v16|, |v17|
	v_max3_f32 v5, v5, |v18|, |v19|
	s_branch .LBB25_18
.LBB25_25:
	s_or_b64 exec, exec, s[28:29]
.LBB25_26:
	s_or_b64 exec, exec, s[22:23]
	s_lshr_b32 s13, s45, 6
	v_cvt_f32_u32_e32 v10, s13
	v_lshlrev_b32_e32 v1, 2, v0
	ds_write_b32 v1, v5
	s_sub_i32 s22, 0, s13
	v_rcp_iflag_f32_e32 v5, v10
	s_add_i32 s3, s2, s13
	s_add_i32 s3, s3, -1
	s_ashr_i32 s16, s3, 31
	v_mul_f32_e32 v5, 0x4f7ffffe, v5
	v_cvt_u32_f32_e32 v5, v5
	s_abs_i32 s3, s3
	s_waitcnt lgkmcnt(0)
	s_barrier
	v_readfirstlane_b32 s23, v5
	s_mul_i32 s22, s22, s23
	s_mul_hi_u32 s22, s23, s22
	s_add_i32 s23, s23, s22
	s_mul_hi_u32 s22, s3, s23
	s_mul_i32 s23, s22, s13
	s_sub_i32 s3, s3, s23
	s_add_i32 s23, s22, 1
	s_sub_i32 s24, s3, s13
	s_cmp_ge_u32 s3, s13
	s_cselect_b32 s22, s23, s22
	s_cselect_b32 s3, s24, s3
	s_add_i32 s23, s22, 1
	s_cmp_ge_u32 s3, s13
	s_cselect_b32 s3, s23, s22
	s_xor_b32 s3, s3, s16
	s_sub_i32 s22, s3, s16
	s_ashr_i32 s23, s22, 31
	v_cmp_lt_i64_e64 s[24:25], s[22:23], 1
	s_and_b64 vcc, exec, s[24:25]
	s_cbranch_vccnz .LBB25_48
; %bb.27:
	v_and_b32_e32 v12, 63, v0
	v_add_co_u32_e32 v14, vcc, 32, v12
	v_addc_co_u32_e64 v15, s[24:25], 0, 0, vcc
	v_add_co_u32_e32 v16, vcc, 16, v12
	v_addc_co_u32_e64 v17, s[24:25], 0, 0, vcc
	v_add_co_u32_e32 v18, vcc, 8, v12
	v_lshrrev_b32_e32 v10, 6, v0
	v_addc_co_u32_e64 v19, s[24:25], 0, 0, vcc
	v_add_co_u32_e32 v20, vcc, 4, v12
	v_addc_co_u32_e64 v21, s[24:25], 0, 0, vcc
	v_add_co_u32_e32 v22, vcc, 2, v12
	v_mul_lo_u32 v5, s18, v10
	v_addc_co_u32_e64 v23, s[24:25], 0, 0, vcc
	v_add_co_u32_e32 v24, vcc, 1, v12
	v_lshlrev_b32_e32 v5, 2, v5
	v_lshlrev_b32_e32 v26, 2, v12
	s_movk_i32 s16, 0x100
	v_mov_b32_e32 v11, 0
	v_addc_co_u32_e64 v25, s[24:25], 0, 0, vcc
	v_add3_u32 v5, v5, v26, s16
	s_mul_i32 s16, s18, s13
	s_ashr_i32 s3, s2, 31
	v_mov_b32_e32 v13, v11
	s_lshl_b32 s16, s16, 2
	s_mov_b64 s[24:25], 0
	v_mov_b32_e32 v37, s13
	s_mov_b64 s[26:27], src_shared_base
	s_branch .LBB25_30
.LBB25_28:                              ;   in Loop: Header=BB25_30 Depth=1
	s_or_b64 exec, exec, s[30:31]
	v_mov_b32_e32 v27, s27
	flat_load_dword v26, v[26:27] glc
	s_waitcnt vmcnt(0)
.LBB25_29:                              ;   in Loop: Header=BB25_30 Depth=1
	s_or_b64 exec, exec, s[28:29]
	s_add_u32 s24, s24, 1
	s_addc_u32 s25, s25, 0
	s_cmp_eq_u64 s[24:25], s[22:23]
	v_add_u32_e32 v5, s16, v5
	s_cbranch_scc1 .LBB25_48
.LBB25_30:                              ; =>This Loop Header: Depth=1
                                        ;     Child Loop BB25_33 Depth 2
	v_mad_u64_u32 v[30:31], s[28:29], s24, v37, v[10:11]
	s_mul_i32 s26, s25, s13
	v_add_u32_e32 v31, s26, v31
	v_cmp_gt_i64_e32 vcc, s[2:3], v[30:31]
	s_and_saveexec_b64 s[28:29], vcc
	s_cbranch_execz .LBB25_29
; %bb.31:                               ;   in Loop: Header=BB25_30 Depth=1
	v_pk_mov_b32 v[32:33], s[18:19], s[18:19] op_sel:[0,1]
	v_mul_lo_u32 v29, v31, s18
	v_mul_lo_u32 v38, v30, s19
	v_mad_u64_u32 v[32:33], s[30:31], v30, s18, v[32:33]
	v_add3_u32 v33, v29, v33, v38
	v_mov_b32_e32 v28, s21
	v_cmp_gt_i64_e32 vcc, s[20:21], v[32:33]
	s_waitcnt lgkmcnt(0)
	v_mad_u64_u32 v[26:27], s[30:31], v30, s18, v[12:13]
	v_cndmask_b32_e32 v33, v28, v33, vcc
	v_mov_b32_e32 v28, s17
	v_add3_u32 v27, v29, v27, v38
	v_cndmask_b32_e32 v32, v28, v32, vcc
	v_add_co_u32_e32 v34, vcc, 64, v26
	v_addc_co_u32_e32 v35, vcc, 0, v27, vcc
	v_cmp_lt_i64_e32 vcc, v[34:35], v[32:33]
	v_lshlrev_b32_e32 v28, 2, v26
	s_and_saveexec_b64 s[30:31], vcc
	s_cbranch_execz .LBB25_34
; %bb.32:                               ;   in Loop: Header=BB25_30 Depth=1
	ds_read_b32 v31, v28
	s_mov_b64 s[34:35], 0
	v_mov_b32_e32 v27, v5
.LBB25_33:                              ;   Parent Loop BB25_30 Depth=1
                                        ; =>  This Inner Loop Header: Depth=2
	ds_read_b32 v39, v27
	v_add_co_u32_e32 v34, vcc, 64, v34
	v_addc_co_u32_e32 v35, vcc, 0, v35, vcc
	s_waitcnt lgkmcnt(1)
	v_max_f32_e32 v31, v31, v31
	v_cmp_ge_i64_e32 vcc, v[34:35], v[32:33]
	s_waitcnt lgkmcnt(0)
	v_max_f32_e32 v39, v39, v39
	v_add_u32_e32 v27, 0x100, v27
	s_or_b64 s[34:35], vcc, s[34:35]
	v_max_f32_e32 v31, v31, v39
	ds_write_b32 v28, v31
	s_andn2_b64 exec, exec, s[34:35]
	s_cbranch_execnz .LBB25_33
.LBB25_34:                              ;   in Loop: Header=BB25_30 Depth=1
	s_or_b64 exec, exec, s[30:31]
	v_mad_u64_u32 v[30:31], s[30:31], v30, s18, 0
	v_add3_u32 v27, v31, v38, v29
	v_sub_co_u32_e32 v30, vcc, v32, v30
	v_subb_co_u32_e32 v31, vcc, v33, v27, vcc
	v_cmp_gt_i64_e32 vcc, 64, v[30:31]
	v_cndmask_b32_e32 v31, 0, v31, vcc
	v_cndmask_b32_e32 v30, 64, v30, vcc
	v_cmp_lt_i64_e32 vcc, v[14:15], v[30:31]
	s_and_saveexec_b64 s[30:31], vcc
	s_cbranch_execnz .LBB25_46
; %bb.35:                               ;   in Loop: Header=BB25_30 Depth=1
	s_or_b64 exec, exec, s[30:31]
	v_cmp_lt_i64_e32 vcc, v[16:17], v[30:31]
	s_and_saveexec_b64 s[30:31], vcc
	s_cbranch_execnz .LBB25_47
.LBB25_36:                              ;   in Loop: Header=BB25_30 Depth=1
	s_or_b64 exec, exec, s[30:31]
	v_cmp_lt_i64_e32 vcc, v[18:19], v[30:31]
	s_and_saveexec_b64 s[30:31], vcc
	s_cbranch_execz .LBB25_38
.LBB25_37:                              ;   in Loop: Header=BB25_30 Depth=1
	v_mov_b32_e32 v29, s27
	v_add_u32_e32 v32, 32, v28
	v_mov_b32_e32 v33, s27
	flat_load_dword v27, v[28:29] glc
	s_waitcnt vmcnt(0)
	flat_load_dword v34, v[32:33] glc
	s_waitcnt vmcnt(0) lgkmcnt(0)
	v_max_f32_e32 v27, v27, v27
	v_max_f32_e32 v32, v34, v34
	;; [unrolled: 1-line block ×3, first 2 shown]
	flat_store_dword v[28:29], v27
	s_waitcnt vmcnt(0)
.LBB25_38:                              ;   in Loop: Header=BB25_30 Depth=1
	s_or_b64 exec, exec, s[30:31]
	v_cmp_ge_i64_e32 vcc, v[20:21], v[30:31]
	s_and_saveexec_b64 s[30:31], vcc
	s_xor_b64 s[30:31], exec, s[30:31]
; %bb.39:                               ;   in Loop: Header=BB25_30 Depth=1
                                        ; implicit-def: $vgpr28
; %bb.40:                               ;   in Loop: Header=BB25_30 Depth=1
	s_andn2_saveexec_b64 s[30:31], s[30:31]
	s_cbranch_execz .LBB25_42
; %bb.41:                               ;   in Loop: Header=BB25_30 Depth=1
	v_mov_b32_e32 v29, s27
	v_add_u32_e32 v32, 16, v28
	v_mov_b32_e32 v33, s27
	flat_load_dword v27, v[28:29] glc
	s_waitcnt vmcnt(0)
	flat_load_dword v34, v[32:33] glc
	s_waitcnt vmcnt(0) lgkmcnt(0)
	v_max_f32_e32 v27, v27, v27
	v_max_f32_e32 v32, v34, v34
	;; [unrolled: 1-line block ×3, first 2 shown]
	flat_store_dword v[28:29], v27
	s_waitcnt vmcnt(0)
.LBB25_42:                              ;   in Loop: Header=BB25_30 Depth=1
	s_or_b64 exec, exec, s[30:31]
	v_cmp_lt_i64_e32 vcc, v[22:23], v[30:31]
	v_lshlrev_b32_e32 v26, 2, v26
	s_and_saveexec_b64 s[30:31], vcc
	s_cbranch_execz .LBB25_44
; %bb.43:                               ;   in Loop: Header=BB25_30 Depth=1
	v_mov_b32_e32 v27, s27
	v_add_u32_e32 v28, 8, v26
	v_mov_b32_e32 v29, s27
	flat_load_dword v32, v[26:27] glc
	s_waitcnt vmcnt(0)
	flat_load_dword v33, v[28:29] glc
	s_waitcnt vmcnt(0) lgkmcnt(0)
	v_max_f32_e32 v28, v32, v32
	v_max_f32_e32 v29, v33, v33
	;; [unrolled: 1-line block ×3, first 2 shown]
	flat_store_dword v[26:27], v28
	s_waitcnt vmcnt(0)
.LBB25_44:                              ;   in Loop: Header=BB25_30 Depth=1
	s_or_b64 exec, exec, s[30:31]
	v_cmp_lt_i64_e32 vcc, v[24:25], v[30:31]
	s_and_saveexec_b64 s[30:31], vcc
	s_cbranch_execz .LBB25_28
; %bb.45:                               ;   in Loop: Header=BB25_30 Depth=1
	v_mov_b32_e32 v27, s27
	v_add_u32_e32 v28, 4, v26
	v_mov_b32_e32 v29, s27
	flat_load_dword v30, v[26:27] glc
	s_waitcnt vmcnt(0)
	flat_load_dword v31, v[28:29] glc
	s_waitcnt vmcnt(0) lgkmcnt(0)
	v_max_f32_e32 v28, v30, v30
	v_max_f32_e32 v29, v31, v31
	;; [unrolled: 1-line block ×3, first 2 shown]
	flat_store_dword v[26:27], v28
	s_waitcnt vmcnt(0)
	s_branch .LBB25_28
.LBB25_46:                              ;   in Loop: Header=BB25_30 Depth=1
	v_mov_b32_e32 v29, s27
	v_add_u32_e32 v32, 0x80, v28
	v_mov_b32_e32 v33, s27
	flat_load_dword v27, v[28:29] glc
	s_waitcnt vmcnt(0)
	flat_load_dword v34, v[32:33] glc
	s_waitcnt vmcnt(0) lgkmcnt(0)
	v_max_f32_e32 v27, v27, v27
	v_max_f32_e32 v32, v34, v34
	;; [unrolled: 1-line block ×3, first 2 shown]
	flat_store_dword v[28:29], v27
	s_waitcnt vmcnt(0)
	s_or_b64 exec, exec, s[30:31]
	v_cmp_lt_i64_e32 vcc, v[16:17], v[30:31]
	s_and_saveexec_b64 s[30:31], vcc
	s_cbranch_execz .LBB25_36
.LBB25_47:                              ;   in Loop: Header=BB25_30 Depth=1
	v_mov_b32_e32 v29, s27
	v_add_u32_e32 v32, 64, v28
	v_mov_b32_e32 v33, s27
	flat_load_dword v27, v[28:29] glc
	s_waitcnt vmcnt(0)
	flat_load_dword v34, v[32:33] glc
	s_waitcnt vmcnt(0) lgkmcnt(0)
	v_max_f32_e32 v27, v27, v27
	v_max_f32_e32 v32, v34, v34
	v_max_f32_e32 v27, v27, v32
	flat_store_dword v[28:29], v27
	s_waitcnt vmcnt(0)
	s_or_b64 exec, exec, s[30:31]
	v_cmp_lt_i64_e32 vcc, v[18:19], v[30:31]
	s_and_saveexec_b64 s[30:31], vcc
	s_cbranch_execnz .LBB25_37
	s_branch .LBB25_38
.LBB25_48:
	s_load_dwordx2 s[18:19], s[4:5], 0x40
	v_cmp_eq_u32_e32 vcc, 0, v4
	v_cmp_lt_i64_e64 s[2:3], v[6:7], v[8:9]
	s_and_b64 s[2:3], vcc, s[2:3]
	s_waitcnt lgkmcnt(0)
	s_barrier
	s_and_saveexec_b64 s[22:23], s[2:3]
	s_cbranch_execz .LBB25_55
; %bb.49:
	s_load_dwordx2 s[2:3], s[4:5], 0x20
	ds_read_b32 v1, v1
	s_waitcnt lgkmcnt(0)
	s_cmp_eq_u64 s[2:3], 0
	s_cbranch_scc1 .LBB25_51
; %bb.50:
	s_load_dword s2, s[2:3], 0x0
	v_max_f32_e32 v1, v1, v1
	s_waitcnt lgkmcnt(0)
	v_max_f32_e64 v4, s2, s2
	v_min_f32_e32 v1, v1, v4
.LBB25_51:
	s_add_u32 s3, s18, s46
	s_addc_u32 s4, s19, 0
	s_add_u32 s24, s3, -1
	s_addc_u32 s25, s4, -1
	s_or_b64 s[4:5], s[24:25], s[18:19]
	s_mov_b32 s2, 0
	s_mov_b32 s3, s5
	s_cmp_lg_u64 s[2:3], 0
	s_mov_b64 s[26:27], -1
	s_cbranch_scc0 .LBB25_196
; %bb.52:
	s_ashr_i32 s2, s19, 31
	s_add_u32 s4, s18, s2
	s_mov_b32 s3, s2
	s_addc_u32 s5, s19, s2
	s_xor_b64 s[28:29], s[4:5], s[2:3]
	v_cvt_f32_u32_e32 v4, s28
	v_cvt_f32_u32_e32 v5, s29
	s_sub_u32 s2, 0, s28
	s_subb_u32 s3, 0, s29
	v_madmk_f32 v4, v5, 0x4f800000, v4
	v_rcp_f32_e32 v4, v4
	v_mul_f32_e32 v4, 0x5f7ffffc, v4
	v_mul_f32_e32 v5, 0x2f800000, v4
	v_trunc_f32_e32 v5, v5
	v_madmk_f32 v4, v5, 0xcf800000, v4
	v_cvt_u32_f32_e32 v5, v5
	v_cvt_u32_f32_e32 v4, v4
	v_readfirstlane_b32 s4, v5
	v_readfirstlane_b32 s5, v4
	s_mul_i32 s13, s2, s4
	s_mul_hi_u32 s20, s2, s5
	s_mul_i32 s16, s3, s5
	s_add_i32 s13, s20, s13
	s_add_i32 s13, s13, s16
	s_mul_i32 s30, s2, s5
	s_mul_hi_u32 s16, s5, s13
	s_mul_i32 s20, s5, s13
	s_mul_hi_u32 s5, s5, s30
	s_add_u32 s5, s5, s20
	s_addc_u32 s16, 0, s16
	s_mul_hi_u32 s31, s4, s30
	s_mul_i32 s30, s4, s30
	s_add_u32 s5, s5, s30
	s_mul_hi_u32 s20, s4, s13
	s_addc_u32 s5, s16, s31
	s_addc_u32 s16, s20, 0
	s_mul_i32 s13, s4, s13
	s_add_u32 s5, s5, s13
	s_addc_u32 s13, 0, s16
	v_add_co_u32_e32 v4, vcc, s5, v4
	s_cmp_lg_u64 vcc, 0
	s_addc_u32 s4, s4, s13
	v_readfirstlane_b32 s13, v4
	s_mul_i32 s5, s2, s4
	s_mul_hi_u32 s16, s2, s13
	s_add_i32 s5, s16, s5
	s_mul_i32 s3, s3, s13
	s_add_i32 s5, s5, s3
	s_mul_i32 s2, s2, s13
	s_mul_hi_u32 s16, s4, s2
	s_mul_i32 s20, s4, s2
	s_mul_i32 s31, s13, s5
	s_mul_hi_u32 s2, s13, s2
	s_mul_hi_u32 s30, s13, s5
	s_add_u32 s2, s2, s31
	s_addc_u32 s13, 0, s30
	s_add_u32 s2, s2, s20
	s_mul_hi_u32 s3, s4, s5
	s_addc_u32 s2, s13, s16
	s_addc_u32 s3, s3, 0
	s_mul_i32 s5, s4, s5
	s_add_u32 s2, s2, s5
	s_addc_u32 s3, 0, s3
	v_add_co_u32_e32 v4, vcc, s2, v4
	s_cmp_lg_u64 vcc, 0
	s_addc_u32 s4, s4, s3
	s_ashr_i32 s30, s25, 31
	s_add_u32 s2, s24, s30
	s_mov_b32 s31, s30
	s_addc_u32 s3, s25, s30
	s_xor_b64 s[34:35], s[2:3], s[30:31]
	v_readfirstlane_b32 s5, v4
	s_mul_i32 s3, s34, s4
	s_mul_hi_u32 s13, s34, s5
	s_mul_hi_u32 s2, s34, s4
	s_add_u32 s3, s13, s3
	s_addc_u32 s2, 0, s2
	s_mul_hi_u32 s16, s35, s5
	s_mul_i32 s5, s35, s5
	s_add_u32 s3, s3, s5
	s_mul_hi_u32 s13, s35, s4
	s_addc_u32 s2, s2, s16
	s_addc_u32 s3, s13, 0
	s_mul_i32 s4, s35, s4
	s_add_u32 s2, s2, s4
	s_addc_u32 s3, 0, s3
	s_mul_i32 s3, s28, s3
	s_mul_hi_u32 s4, s28, s2
	s_add_i32 s3, s4, s3
	s_mul_i32 s4, s29, s2
	s_mul_i32 s2, s28, s2
	s_add_i32 s13, s3, s4
	v_mov_b32_e32 v4, s2
	s_sub_i32 s3, s35, s13
	v_sub_co_u32_e32 v4, vcc, s34, v4
	s_cmp_lg_u64 vcc, 0
	s_subb_u32 s16, s3, s29
	v_subrev_co_u32_e64 v5, s[2:3], s28, v4
	s_cmp_lg_u64 s[2:3], 0
	s_subb_u32 s20, s16, 0
	s_cmp_ge_u32 s20, s29
	s_cselect_b32 s31, -1, 0
	v_cmp_le_u32_e64 s[4:5], s28, v5
	s_cmp_eq_u32 s20, s29
	v_cndmask_b32_e64 v6, 0, -1, s[4:5]
	v_mov_b32_e32 v7, s31
	s_cselect_b64 s[4:5], -1, 0
	s_cmp_lg_u64 s[2:3], 0
	v_cndmask_b32_e64 v6, v7, v6, s[4:5]
	s_subb_u32 s4, s16, s29
	v_subrev_co_u32_e64 v7, s[2:3], s28, v5
	s_cmp_lg_u64 s[2:3], 0
	s_subb_u32 s4, s4, 0
	v_cmp_ne_u32_e64 s[2:3], 0, v6
	v_cndmask_b32_e64 v5, v5, v7, s[2:3]
	v_mov_b32_e32 v6, s20
	v_mov_b32_e32 v7, s4
	s_cmp_lg_u64 vcc, 0
	v_cndmask_b32_e64 v6, v6, v7, s[2:3]
	s_subb_u32 s2, s35, s13
	s_cmp_ge_u32 s2, s29
	s_cselect_b32 s3, -1, 0
	v_cmp_le_u32_e32 vcc, s28, v4
	s_cmp_eq_u32 s2, s29
	v_cndmask_b32_e64 v7, 0, -1, vcc
	v_mov_b32_e32 v8, s3
	s_cselect_b64 vcc, -1, 0
	v_cndmask_b32_e32 v7, v8, v7, vcc
	v_cmp_ne_u32_e32 vcc, 0, v7
	v_mov_b32_e32 v8, s2
	v_cndmask_b32_e32 v4, v4, v5, vcc
	v_cndmask_b32_e32 v6, v8, v6, vcc
	v_xor_b32_e32 v4, s30, v4
	v_xor_b32_e32 v5, s30, v6
	v_mov_b32_e32 v6, s30
	v_subrev_co_u32_e32 v4, vcc, s30, v4
	v_subb_co_u32_e32 v5, vcc, v5, v6, vcc
	s_cbranch_execnz .LBB25_54
.LBB25_53:
	v_cvt_f32_u32_e32 v4, s18
	s_sub_i32 s2, 0, s18
	v_rcp_iflag_f32_e32 v4, v4
	v_mul_f32_e32 v4, 0x4f7ffffe, v4
	v_cvt_u32_f32_e32 v4, v4
	v_mul_lo_u32 v5, s2, v4
	v_mul_hi_u32 v5, v4, v5
	v_add_u32_e32 v4, v4, v5
	v_mul_hi_u32 v4, s24, v4
	v_mul_lo_u32 v4, v4, s18
	v_sub_u32_e32 v4, s24, v4
	v_subrev_u32_e32 v5, s18, v4
	v_cmp_le_u32_e32 vcc, s18, v4
	v_cndmask_b32_e32 v4, v4, v5, vcc
	v_subrev_u32_e32 v5, s18, v4
	v_cmp_le_u32_e32 vcc, s18, v4
	v_cndmask_b32_e32 v4, v4, v5, vcc
	v_mov_b32_e32 v5, 0
.LBB25_54:
	s_mov_b32 s4, 0x43600000
	v_div_scale_f32 v6, s[2:3], s4, s4, v1
	v_rcp_f32_e32 v7, v6
	v_div_scale_f32 v8, vcc, v1, s4, v1
	v_fma_f32 v9, -v6, v7, 1.0
	v_fmac_f32_e32 v7, v9, v7
	v_mul_f32_e32 v9, v8, v7
	v_fma_f32 v10, -v6, v9, v8
	v_fmac_f32_e32 v9, v10, v7
	v_fma_f32 v6, -v6, v9, v8
	v_div_fmas_f32 v6, v6, v7, v9
	v_div_fixup_f32 v1, v6, s4, v1
	v_mov_b32_e32 v6, s25
	v_sub_co_u32_e32 v4, vcc, s24, v4
	v_subb_co_u32_e32 v5, vcc, v6, v5, vcc
	v_mul_lo_u32 v5, v5, v2
	v_mul_lo_u32 v6, v4, v3
	v_mad_u64_u32 v[2:3], s[2:3], v4, v2, 0
	s_lshl_b64 s[2:3], s[6:7], 2
	v_add3_u32 v3, v3, v6, v5
	s_add_u32 s2, s2, s10
	v_lshlrev_b64 v[2:3], 2, v[2:3]
	s_addc_u32 s3, s3, s11
	v_mov_b32_e32 v4, s3
	v_add_co_u32_e32 v2, vcc, s2, v2
	v_max_f32_e32 v1, 0x37124925, v1
	v_addc_co_u32_e32 v3, vcc, v4, v3, vcc
	global_store_dword v[2:3], v1, off
.LBB25_55:
	s_or_b64 exec, exec, s[22:23]
	s_barrier
	s_and_saveexec_b64 s[2:3], s[0:1]
	s_cbranch_execz .LBB25_195
; %bb.56:
	s_add_u32 s1, s18, s46
	s_addc_u32 s2, s19, 0
	s_add_u32 s4, s1, -1
	s_addc_u32 s5, s2, -1
	s_or_b64 s[2:3], s[4:5], s[18:19]
	s_mov_b32 s0, 0
	s_mov_b32 s1, s3
	s_cmp_lg_u64 s[0:1], 0
	s_mov_b64 s[22:23], -1
	s_cbranch_scc0 .LBB25_197
; %bb.57:
	s_ashr_i32 s0, s19, 31
	s_add_u32 s2, s18, s0
	s_mov_b32 s1, s0
	s_addc_u32 s3, s19, s0
	s_xor_b64 s[24:25], s[2:3], s[0:1]
	v_cvt_f32_u32_e32 v1, s24
	v_cvt_f32_u32_e32 v2, s25
	s_sub_u32 s0, 0, s24
	s_subb_u32 s1, 0, s25
	v_madmk_f32 v1, v2, 0x4f800000, v1
	v_rcp_f32_e32 v1, v1
	v_mul_f32_e32 v1, 0x5f7ffffc, v1
	v_mul_f32_e32 v2, 0x2f800000, v1
	v_trunc_f32_e32 v2, v2
	v_madmk_f32 v1, v2, 0xcf800000, v1
	v_cvt_u32_f32_e32 v2, v2
	v_cvt_u32_f32_e32 v1, v1
	v_readfirstlane_b32 s2, v2
	v_readfirstlane_b32 s3, v1
	s_mul_i32 s13, s0, s2
	s_mul_hi_u32 s19, s0, s3
	s_mul_i32 s16, s1, s3
	s_add_i32 s13, s19, s13
	s_add_i32 s13, s13, s16
	s_mul_i32 s20, s0, s3
	s_mul_hi_u32 s16, s3, s13
	s_mul_i32 s19, s3, s13
	s_mul_hi_u32 s3, s3, s20
	s_add_u32 s3, s3, s19
	s_addc_u32 s16, 0, s16
	s_mul_hi_u32 s26, s2, s20
	s_mul_i32 s20, s2, s20
	s_add_u32 s3, s3, s20
	s_mul_hi_u32 s19, s2, s13
	s_addc_u32 s3, s16, s26
	s_addc_u32 s16, s19, 0
	s_mul_i32 s13, s2, s13
	s_add_u32 s3, s3, s13
	s_addc_u32 s13, 0, s16
	v_add_co_u32_e32 v1, vcc, s3, v1
	s_cmp_lg_u64 vcc, 0
	s_addc_u32 s2, s2, s13
	v_readfirstlane_b32 s13, v1
	s_mul_i32 s3, s0, s2
	s_mul_hi_u32 s16, s0, s13
	s_add_i32 s3, s16, s3
	s_mul_i32 s1, s1, s13
	s_add_i32 s3, s3, s1
	s_mul_i32 s0, s0, s13
	s_mul_hi_u32 s16, s2, s0
	s_mul_i32 s19, s2, s0
	s_mul_i32 s26, s13, s3
	s_mul_hi_u32 s0, s13, s0
	s_mul_hi_u32 s20, s13, s3
	s_add_u32 s0, s0, s26
	s_addc_u32 s13, 0, s20
	s_add_u32 s0, s0, s19
	s_mul_hi_u32 s1, s2, s3
	s_addc_u32 s0, s13, s16
	s_addc_u32 s1, s1, 0
	s_mul_i32 s3, s2, s3
	s_add_u32 s0, s0, s3
	s_addc_u32 s1, 0, s1
	v_add_co_u32_e32 v1, vcc, s0, v1
	s_cmp_lg_u64 vcc, 0
	s_addc_u32 s2, s2, s1
	s_ashr_i32 s26, s5, 31
	s_add_u32 s0, s4, s26
	s_mov_b32 s27, s26
	s_addc_u32 s1, s5, s26
	s_xor_b64 s[28:29], s[0:1], s[26:27]
	v_readfirstlane_b32 s3, v1
	s_mul_i32 s1, s28, s2
	s_mul_hi_u32 s13, s28, s3
	s_mul_hi_u32 s0, s28, s2
	s_add_u32 s1, s13, s1
	s_addc_u32 s0, 0, s0
	s_mul_hi_u32 s16, s29, s3
	s_mul_i32 s3, s29, s3
	s_add_u32 s1, s1, s3
	s_mul_hi_u32 s13, s29, s2
	s_addc_u32 s0, s0, s16
	s_addc_u32 s1, s13, 0
	s_mul_i32 s2, s29, s2
	s_add_u32 s0, s0, s2
	s_addc_u32 s1, 0, s1
	s_mul_i32 s1, s24, s1
	s_mul_hi_u32 s2, s24, s0
	s_add_i32 s1, s2, s1
	s_mul_i32 s2, s25, s0
	s_mul_i32 s0, s24, s0
	s_add_i32 s13, s1, s2
	v_mov_b32_e32 v1, s0
	s_sub_i32 s1, s29, s13
	v_sub_co_u32_e32 v1, vcc, s28, v1
	s_cmp_lg_u64 vcc, 0
	s_subb_u32 s16, s1, s25
	v_subrev_co_u32_e64 v2, s[0:1], s24, v1
	s_cmp_lg_u64 s[0:1], 0
	s_subb_u32 s19, s16, 0
	s_cmp_ge_u32 s19, s25
	s_cselect_b32 s20, -1, 0
	v_cmp_le_u32_e64 s[2:3], s24, v2
	s_cmp_eq_u32 s19, s25
	v_cndmask_b32_e64 v3, 0, -1, s[2:3]
	v_mov_b32_e32 v4, s20
	s_cselect_b64 s[2:3], -1, 0
	s_cmp_lg_u64 s[0:1], 0
	v_cndmask_b32_e64 v3, v4, v3, s[2:3]
	s_subb_u32 s2, s16, s25
	v_subrev_co_u32_e64 v4, s[0:1], s24, v2
	s_cmp_lg_u64 s[0:1], 0
	s_subb_u32 s2, s2, 0
	v_cmp_ne_u32_e64 s[0:1], 0, v3
	v_cndmask_b32_e64 v2, v2, v4, s[0:1]
	v_mov_b32_e32 v3, s19
	v_mov_b32_e32 v4, s2
	s_cmp_lg_u64 vcc, 0
	v_cndmask_b32_e64 v3, v3, v4, s[0:1]
	s_subb_u32 s0, s29, s13
	s_cmp_ge_u32 s0, s25
	s_cselect_b32 s1, -1, 0
	v_cmp_le_u32_e32 vcc, s24, v1
	s_cmp_eq_u32 s0, s25
	v_cndmask_b32_e64 v4, 0, -1, vcc
	v_mov_b32_e32 v5, s1
	s_cselect_b64 vcc, -1, 0
	v_cndmask_b32_e32 v4, v5, v4, vcc
	v_cmp_ne_u32_e32 vcc, 0, v4
	v_mov_b32_e32 v5, s0
	v_cndmask_b32_e32 v1, v1, v2, vcc
	v_cndmask_b32_e32 v3, v5, v3, vcc
	v_xor_b32_e32 v1, s26, v1
	v_xor_b32_e32 v3, s26, v3
	v_mov_b32_e32 v4, s26
	v_subrev_co_u32_e32 v2, vcc, s26, v1
	v_subb_co_u32_e32 v3, vcc, v3, v4, vcc
	s_cbranch_execnz .LBB25_59
.LBB25_58:
	v_cvt_f32_u32_e32 v1, s18
	s_sub_i32 s0, 0, s18
	v_mov_b32_e32 v3, 0
	v_rcp_iflag_f32_e32 v1, v1
	v_mul_f32_e32 v1, 0x4f7ffffe, v1
	v_cvt_u32_f32_e32 v1, v1
	v_mul_lo_u32 v2, s0, v1
	v_mul_hi_u32 v2, v1, v2
	v_add_u32_e32 v1, v1, v2
	v_mul_hi_u32 v1, s4, v1
	v_mul_lo_u32 v1, v1, s18
	v_sub_u32_e32 v1, s4, v1
	v_subrev_u32_e32 v2, s18, v1
	v_cmp_le_u32_e32 vcc, s18, v1
	v_cndmask_b32_e32 v1, v1, v2, vcc
	v_subrev_u32_e32 v2, s18, v1
	v_cmp_le_u32_e32 vcc, s18, v1
	v_cndmask_b32_e32 v2, v1, v2, vcc
.LBB25_59:
	s_mul_i32 s0, s21, s6
	s_mul_hi_u32 s1, s17, s6
	s_add_i32 s1, s1, s0
	s_mul_i32 s0, s17, s6
	s_add_u32 s13, s8, s0
	s_addc_u32 s18, s9, s1
	s_lshl_b64 s[0:1], s[6:7], 2
	s_add_u32 s19, s10, s0
	s_addc_u32 s20, s11, s1
	v_mov_b32_e32 v1, s5
	v_sub_co_u32_e32 v14, vcc, s4, v2
	v_subb_co_u32_e32 v15, vcc, v1, v3, vcc
	s_mul_i32 s21, s45, 3
	s_lshl_b32 s22, s45, 1
	s_mov_b64 s[0:1], 0
	v_mov_b32_e32 v1, 0
	v_mov_b32_e32 v16, s44
	;; [unrolled: 1-line block ×4, first 2 shown]
	s_mov_b32 s23, 0x43800000
	s_mov_b32 s24, 0x3bffffff
	;; [unrolled: 1-line block ×4, first 2 shown]
	s_movk_i32 s27, 0x80
	s_mov_b32 s28, 0x4020c0c
	s_branch .LBB25_65
.LBB25_60:                              ;   in Loop: Header=BB25_65 Depth=1
	s_or_b64 exec, exec, s[16:17]
.LBB25_61:                              ;   in Loop: Header=BB25_65 Depth=1
	s_or_b64 exec, exec, s[8:9]
	v_lshlrev_b64 v[8:9], 2, v[0:1]
	v_mov_b32_e32 v0, s18
	v_add_co_u32_e32 v8, vcc, s13, v8
	v_addc_co_u32_e32 v9, vcc, v0, v9, vcc
	v_lshlrev_b32_e32 v0, 16, v4
	v_lshlrev_b32_e32 v2, 8, v2
	v_perm_b32 v0, v3, v0, s28
	v_and_b32_e32 v2, 0xff00, v2
	v_and_b32_e32 v3, 0xff, v6
	s_add_i32 s8, s45, s45
	v_or3_b32 v0, v0, v2, v3
	s_add_i32 s8, s8, s45
	global_store_dword v[8:9], v0, off
	v_add_u32_e32 v0, s8, v10
	v_cmp_le_u32_e32 vcc, s12, v0
	s_orn2_b64 s[8:9], vcc, exec
.LBB25_62:                              ;   in Loop: Header=BB25_65 Depth=1
	s_or_b64 exec, exec, s[6:7]
	s_orn2_b64 s[6:7], s[8:9], exec
.LBB25_63:                              ;   in Loop: Header=BB25_65 Depth=1
	s_or_b64 exec, exec, s[4:5]
	s_orn2_b64 s[4:5], s[6:7], exec
.LBB25_64:                              ;   in Loop: Header=BB25_65 Depth=1
	s_or_b64 exec, exec, s[2:3]
	s_and_b64 s[2:3], exec, s[4:5]
	s_or_b64 s[0:1], s[2:3], s[0:1]
	s_andn2_b64 exec, exec, s[0:1]
	s_cbranch_execz .LBB25_195
.LBB25_65:                              ; =>This Inner Loop Header: Depth=1
	v_bfe_u32 v13, v0, 5, 25
	v_lshlrev_b64 v[6:7], 4, v[0:1]
	v_mad_u64_u32 v[10:11], s[2:3], v14, v13, 0
	v_add_co_u32_e32 v2, vcc, s33, v6
	v_mov_b32_e32 v12, v11
	v_addc_co_u32_e32 v3, vcc, v16, v7, vcc
	v_mad_u64_u32 v[12:13], s[2:3], v15, v13, v[12:13]
	v_add_co_u32_e32 v6, vcc, s14, v6
	v_mov_b32_e32 v11, v12
	v_addc_co_u32_e32 v7, vcc, v17, v7, vcc
	v_lshlrev_b64 v[10:11], 2, v[10:11]
	global_load_dwordx4 v[2:5], v[2:3], off
	v_add_co_u32_e32 v10, vcc, s19, v10
	global_load_dwordx4 v[6:9], v[6:7], off
	v_addc_co_u32_e32 v11, vcc, v18, v11, vcc
	global_load_dword v10, v[10:11], off
	s_waitcnt vmcnt(2)
	v_mul_f32_e32 v2, v36, v2
	s_waitcnt vmcnt(1)
	v_mul_f32_e32 v6, v2, v6
	v_mov_b32_e32 v2, 0x80
	s_waitcnt vmcnt(0)
	v_div_scale_f32 v11, s[2:3], v10, v10, v6
	v_rcp_f32_e32 v12, v11
	v_div_scale_f32 v13, vcc, v6, v10, v6
	v_fma_f32 v19, -v11, v12, 1.0
	v_fmac_f32_e32 v12, v19, v12
	v_mul_f32_e32 v19, v13, v12
	v_fma_f32 v20, -v11, v19, v13
	v_fmac_f32_e32 v19, v20, v12
	v_fma_f32 v11, -v11, v19, v13
	v_div_fmas_f32 v11, v11, v12, v19
	v_div_fixup_f32 v6, v11, v10, v6
	v_min_f32_e32 v6, 0x43600000, v6
	v_max_f32_e32 v11, 0xc3600000, v6
	v_and_b32_e32 v12, 0x7fffffff, v11
	v_cmp_gt_u32_e32 vcc, s23, v12
	v_mov_b32_e32 v6, 0x80
	s_and_saveexec_b64 s[2:3], vcc
	s_cbranch_execz .LBB25_71
; %bb.66:                               ;   in Loop: Header=BB25_65 Depth=1
	v_cmp_lt_u32_e32 vcc, s24, v12
	s_mov_b64 s[4:5], 0
                                        ; implicit-def: $vgpr12
	s_and_saveexec_b64 s[6:7], vcc
	s_xor_b64 s[6:7], exec, s[6:7]
	s_cbranch_execnz .LBB25_162
; %bb.67:                               ;   in Loop: Header=BB25_65 Depth=1
	s_or_saveexec_b64 s[6:7], s[6:7]
                                        ; implicit-def: $sgpr8
	s_xor_b64 exec, exec, s[6:7]
	s_cbranch_execnz .LBB25_163
.LBB25_68:                              ;   in Loop: Header=BB25_65 Depth=1
	s_or_b64 exec, exec, s[6:7]
	v_mov_b32_e32 v6, s8
	s_and_saveexec_b64 s[6:7], s[4:5]
.LBB25_69:                              ;   in Loop: Header=BB25_65 Depth=1
	v_lshrrev_b32_e32 v6, 24, v11
	v_and_or_b32 v6, v6, s27, v12
.LBB25_70:                              ;   in Loop: Header=BB25_65 Depth=1
	s_or_b64 exec, exec, s[6:7]
.LBB25_71:                              ;   in Loop: Header=BB25_65 Depth=1
	s_or_b64 exec, exec, s[2:3]
	v_mul_f32_e32 v3, v36, v3
	v_mul_f32_e32 v3, v3, v7
	v_div_scale_f32 v7, s[2:3], v10, v10, v3
	v_rcp_f32_e32 v11, v7
	v_div_scale_f32 v12, vcc, v3, v10, v3
	v_fma_f32 v13, -v7, v11, 1.0
	v_fmac_f32_e32 v11, v13, v11
	v_mul_f32_e32 v13, v12, v11
	v_fma_f32 v19, -v7, v13, v12
	v_fmac_f32_e32 v13, v19, v11
	v_fma_f32 v7, -v7, v13, v12
	v_div_fmas_f32 v7, v7, v11, v13
	v_div_fixup_f32 v3, v7, v10, v3
	v_min_f32_e32 v3, 0x43600000, v3
	v_max_f32_e32 v3, 0xc3600000, v3
	v_and_b32_e32 v7, 0x7fffffff, v3
	v_cmp_gt_u32_e32 vcc, s23, v7
	s_and_saveexec_b64 s[2:3], vcc
	s_cbranch_execz .LBB25_77
; %bb.72:                               ;   in Loop: Header=BB25_65 Depth=1
	v_cmp_lt_u32_e32 vcc, s24, v7
	s_mov_b64 s[4:5], 0
                                        ; implicit-def: $vgpr7
	s_and_saveexec_b64 s[6:7], vcc
	s_xor_b64 s[6:7], exec, s[6:7]
	s_cbranch_execnz .LBB25_164
; %bb.73:                               ;   in Loop: Header=BB25_65 Depth=1
	s_or_saveexec_b64 s[6:7], s[6:7]
                                        ; implicit-def: $sgpr8
	s_xor_b64 exec, exec, s[6:7]
	s_cbranch_execnz .LBB25_165
.LBB25_74:                              ;   in Loop: Header=BB25_65 Depth=1
	s_or_b64 exec, exec, s[6:7]
	v_mov_b32_e32 v2, s8
	s_and_saveexec_b64 s[6:7], s[4:5]
.LBB25_75:                              ;   in Loop: Header=BB25_65 Depth=1
	v_lshrrev_b32_e32 v2, 24, v3
	v_and_or_b32 v2, v2, s27, v7
.LBB25_76:                              ;   in Loop: Header=BB25_65 Depth=1
	s_or_b64 exec, exec, s[6:7]
.LBB25_77:                              ;   in Loop: Header=BB25_65 Depth=1
	s_or_b64 exec, exec, s[2:3]
	v_mul_f32_e32 v3, v36, v4
	v_mul_f32_e32 v3, v3, v8
	v_div_scale_f32 v4, s[2:3], v10, v10, v3
	v_rcp_f32_e32 v7, v4
	v_div_scale_f32 v8, vcc, v3, v10, v3
	v_fma_f32 v11, -v4, v7, 1.0
	v_fmac_f32_e32 v7, v11, v7
	v_mul_f32_e32 v11, v8, v7
	v_fma_f32 v12, -v4, v11, v8
	v_fmac_f32_e32 v11, v12, v7
	v_fma_f32 v4, -v4, v11, v8
	v_div_fmas_f32 v4, v4, v7, v11
	v_div_fixup_f32 v3, v4, v10, v3
	v_min_f32_e32 v3, 0x43600000, v3
	v_max_f32_e32 v7, 0xc3600000, v3
	v_and_b32_e32 v8, 0x7fffffff, v7
	v_cmp_gt_u32_e32 vcc, s23, v8
	v_mov_b32_e32 v3, 0x80
	v_mov_b32_e32 v4, 0x80
	s_and_saveexec_b64 s[2:3], vcc
	s_cbranch_execz .LBB25_83
; %bb.78:                               ;   in Loop: Header=BB25_65 Depth=1
	v_cmp_lt_u32_e32 vcc, s24, v8
	s_mov_b64 s[4:5], 0
                                        ; implicit-def: $vgpr8
	s_and_saveexec_b64 s[6:7], vcc
	s_xor_b64 s[6:7], exec, s[6:7]
	s_cbranch_execnz .LBB25_166
; %bb.79:                               ;   in Loop: Header=BB25_65 Depth=1
	s_or_saveexec_b64 s[6:7], s[6:7]
                                        ; implicit-def: $sgpr8
	s_xor_b64 exec, exec, s[6:7]
	s_cbranch_execnz .LBB25_167
.LBB25_80:                              ;   in Loop: Header=BB25_65 Depth=1
	s_or_b64 exec, exec, s[6:7]
	v_mov_b32_e32 v4, s8
	s_and_saveexec_b64 s[6:7], s[4:5]
.LBB25_81:                              ;   in Loop: Header=BB25_65 Depth=1
	v_lshrrev_b32_e32 v4, 24, v7
	v_and_or_b32 v4, v4, s27, v8
.LBB25_82:                              ;   in Loop: Header=BB25_65 Depth=1
	s_or_b64 exec, exec, s[6:7]
.LBB25_83:                              ;   in Loop: Header=BB25_65 Depth=1
	s_or_b64 exec, exec, s[2:3]
	v_mul_f32_e32 v5, v36, v5
	v_mul_f32_e32 v5, v5, v9
	v_div_scale_f32 v7, s[2:3], v10, v10, v5
	v_rcp_f32_e32 v8, v7
	v_div_scale_f32 v9, vcc, v5, v10, v5
	v_fma_f32 v11, -v7, v8, 1.0
	v_fmac_f32_e32 v8, v11, v8
	v_mul_f32_e32 v11, v9, v8
	v_fma_f32 v12, -v7, v11, v9
	v_fmac_f32_e32 v11, v12, v8
	v_fma_f32 v7, -v7, v11, v9
	v_div_fmas_f32 v7, v7, v8, v11
	v_div_fixup_f32 v5, v7, v10, v5
	v_min_f32_e32 v5, 0x43600000, v5
	v_max_f32_e32 v5, 0xc3600000, v5
	v_and_b32_e32 v7, 0x7fffffff, v5
	v_cmp_gt_u32_e32 vcc, s23, v7
	s_and_saveexec_b64 s[2:3], vcc
	s_cbranch_execz .LBB25_89
; %bb.84:                               ;   in Loop: Header=BB25_65 Depth=1
	v_cmp_lt_u32_e32 vcc, s24, v7
	s_mov_b64 s[4:5], 0
                                        ; implicit-def: $vgpr7
	s_and_saveexec_b64 s[6:7], vcc
	s_xor_b64 s[6:7], exec, s[6:7]
	s_cbranch_execnz .LBB25_168
; %bb.85:                               ;   in Loop: Header=BB25_65 Depth=1
	s_or_saveexec_b64 s[6:7], s[6:7]
                                        ; implicit-def: $sgpr8
	s_xor_b64 exec, exec, s[6:7]
	s_cbranch_execnz .LBB25_169
.LBB25_86:                              ;   in Loop: Header=BB25_65 Depth=1
	s_or_b64 exec, exec, s[6:7]
	v_mov_b32_e32 v3, s8
	s_and_saveexec_b64 s[6:7], s[4:5]
.LBB25_87:                              ;   in Loop: Header=BB25_65 Depth=1
	v_lshrrev_b32_e32 v3, 24, v5
	v_and_or_b32 v3, v3, s27, v7
.LBB25_88:                              ;   in Loop: Header=BB25_65 Depth=1
	s_or_b64 exec, exec, s[6:7]
.LBB25_89:                              ;   in Loop: Header=BB25_65 Depth=1
	s_or_b64 exec, exec, s[2:3]
	v_lshlrev_b64 v[8:9], 2, v[0:1]
	v_mov_b32_e32 v5, s18
	v_add_co_u32_e32 v8, vcc, s13, v8
	v_lshlrev_b32_e32 v4, 16, v4
	v_lshlrev_b32_e32 v2, 8, v2
	v_addc_co_u32_e32 v9, vcc, v5, v9, vcc
	v_perm_b32 v3, v3, v4, s28
	v_and_b32_e32 v2, 0xff00, v2
	v_and_b32_e32 v4, 0xff, v6
	v_add_u32_e32 v10, s45, v0
	v_or3_b32 v2, v3, v2, v4
	v_cmp_gt_u32_e32 vcc, s12, v10
	s_mov_b64 s[4:5], -1
	global_store_dword v[8:9], v2, off
	s_and_saveexec_b64 s[2:3], vcc
	s_cbranch_execz .LBB25_64
; %bb.90:                               ;   in Loop: Header=BB25_65 Depth=1
	v_mov_b32_e32 v11, v1
	v_bfe_u32 v19, v10, 5, 25
	v_lshlrev_b64 v[6:7], 4, v[10:11]
	v_mad_u64_u32 v[12:13], s[4:5], v14, v19, 0
	v_mov_b32_e32 v3, s44
	v_add_co_u32_e32 v2, vcc, s33, v6
	v_mov_b32_e32 v20, v13
	v_addc_co_u32_e32 v3, vcc, v3, v7, vcc
	v_mad_u64_u32 v[20:21], s[4:5], v15, v19, v[20:21]
	v_mov_b32_e32 v8, s15
	v_add_co_u32_e32 v6, vcc, s14, v6
	v_mov_b32_e32 v13, v20
	v_addc_co_u32_e32 v7, vcc, v8, v7, vcc
	v_lshlrev_b64 v[12:13], 2, v[12:13]
	global_load_dwordx4 v[2:5], v[2:3], off
	v_mov_b32_e32 v19, s20
	v_add_co_u32_e32 v12, vcc, s19, v12
	global_load_dwordx4 v[6:9], v[6:7], off
	v_addc_co_u32_e32 v13, vcc, v19, v13, vcc
	global_load_dword v12, v[12:13], off
	s_waitcnt vmcnt(2)
	v_mul_f32_e32 v2, v36, v2
	s_waitcnt vmcnt(1)
	v_mul_f32_e32 v6, v2, v6
	v_mov_b32_e32 v2, 0x80
	s_waitcnt vmcnt(0)
	v_div_scale_f32 v13, s[4:5], v12, v12, v6
	v_rcp_f32_e32 v19, v13
	v_div_scale_f32 v20, vcc, v6, v12, v6
	v_fma_f32 v21, -v13, v19, 1.0
	v_fmac_f32_e32 v19, v21, v19
	v_mul_f32_e32 v21, v20, v19
	v_fma_f32 v22, -v13, v21, v20
	v_fmac_f32_e32 v21, v22, v19
	v_fma_f32 v13, -v13, v21, v20
	v_div_fmas_f32 v13, v13, v19, v21
	v_div_fixup_f32 v6, v13, v12, v6
	v_min_f32_e32 v6, 0x43600000, v6
	v_max_f32_e32 v13, 0xc3600000, v6
	v_and_b32_e32 v19, 0x7fffffff, v13
	v_cmp_gt_u32_e32 vcc, s23, v19
	v_mov_b32_e32 v6, 0x80
	s_and_saveexec_b64 s[4:5], vcc
	s_cbranch_execz .LBB25_96
; %bb.91:                               ;   in Loop: Header=BB25_65 Depth=1
	v_cmp_lt_u32_e32 vcc, s24, v19
	s_mov_b64 s[6:7], 0
                                        ; implicit-def: $vgpr19
	s_and_saveexec_b64 s[8:9], vcc
	s_xor_b64 s[8:9], exec, s[8:9]
	s_cbranch_execnz .LBB25_170
; %bb.92:                               ;   in Loop: Header=BB25_65 Depth=1
	s_or_saveexec_b64 s[8:9], s[8:9]
                                        ; implicit-def: $sgpr10
	s_xor_b64 exec, exec, s[8:9]
	s_cbranch_execnz .LBB25_171
.LBB25_93:                              ;   in Loop: Header=BB25_65 Depth=1
	s_or_b64 exec, exec, s[8:9]
	v_mov_b32_e32 v6, s10
	s_and_saveexec_b64 s[8:9], s[6:7]
.LBB25_94:                              ;   in Loop: Header=BB25_65 Depth=1
	v_lshrrev_b32_e32 v6, 24, v13
	v_and_or_b32 v6, v6, s27, v19
.LBB25_95:                              ;   in Loop: Header=BB25_65 Depth=1
	s_or_b64 exec, exec, s[8:9]
.LBB25_96:                              ;   in Loop: Header=BB25_65 Depth=1
	s_or_b64 exec, exec, s[4:5]
	v_mul_f32_e32 v3, v36, v3
	v_mul_f32_e32 v3, v3, v7
	v_div_scale_f32 v7, s[4:5], v12, v12, v3
	v_rcp_f32_e32 v13, v7
	v_div_scale_f32 v19, vcc, v3, v12, v3
	v_fma_f32 v20, -v7, v13, 1.0
	v_fmac_f32_e32 v13, v20, v13
	v_mul_f32_e32 v20, v19, v13
	v_fma_f32 v21, -v7, v20, v19
	v_fmac_f32_e32 v20, v21, v13
	v_fma_f32 v7, -v7, v20, v19
	v_div_fmas_f32 v7, v7, v13, v20
	v_div_fixup_f32 v3, v7, v12, v3
	v_min_f32_e32 v3, 0x43600000, v3
	v_max_f32_e32 v3, 0xc3600000, v3
	v_and_b32_e32 v7, 0x7fffffff, v3
	v_cmp_gt_u32_e32 vcc, s23, v7
	s_and_saveexec_b64 s[4:5], vcc
	s_cbranch_execz .LBB25_102
; %bb.97:                               ;   in Loop: Header=BB25_65 Depth=1
	v_cmp_lt_u32_e32 vcc, s24, v7
	s_mov_b64 s[6:7], 0
                                        ; implicit-def: $vgpr7
	s_and_saveexec_b64 s[8:9], vcc
	s_xor_b64 s[8:9], exec, s[8:9]
	s_cbranch_execnz .LBB25_172
; %bb.98:                               ;   in Loop: Header=BB25_65 Depth=1
	s_or_saveexec_b64 s[8:9], s[8:9]
                                        ; implicit-def: $sgpr10
	s_xor_b64 exec, exec, s[8:9]
	s_cbranch_execnz .LBB25_173
.LBB25_99:                              ;   in Loop: Header=BB25_65 Depth=1
	s_or_b64 exec, exec, s[8:9]
	v_mov_b32_e32 v2, s10
	s_and_saveexec_b64 s[8:9], s[6:7]
.LBB25_100:                             ;   in Loop: Header=BB25_65 Depth=1
	v_lshrrev_b32_e32 v2, 24, v3
	v_and_or_b32 v2, v2, s27, v7
.LBB25_101:                             ;   in Loop: Header=BB25_65 Depth=1
	s_or_b64 exec, exec, s[8:9]
.LBB25_102:                             ;   in Loop: Header=BB25_65 Depth=1
	s_or_b64 exec, exec, s[4:5]
	v_mul_f32_e32 v3, v36, v4
	v_mul_f32_e32 v3, v3, v8
	v_div_scale_f32 v4, s[4:5], v12, v12, v3
	v_rcp_f32_e32 v7, v4
	v_div_scale_f32 v8, vcc, v3, v12, v3
	v_fma_f32 v13, -v4, v7, 1.0
	v_fmac_f32_e32 v7, v13, v7
	v_mul_f32_e32 v13, v8, v7
	v_fma_f32 v19, -v4, v13, v8
	v_fmac_f32_e32 v13, v19, v7
	v_fma_f32 v4, -v4, v13, v8
	v_div_fmas_f32 v4, v4, v7, v13
	v_div_fixup_f32 v3, v4, v12, v3
	v_min_f32_e32 v3, 0x43600000, v3
	v_max_f32_e32 v7, 0xc3600000, v3
	v_and_b32_e32 v8, 0x7fffffff, v7
	v_cmp_gt_u32_e32 vcc, s23, v8
	v_mov_b32_e32 v3, 0x80
	v_mov_b32_e32 v4, 0x80
	s_and_saveexec_b64 s[4:5], vcc
	s_cbranch_execz .LBB25_108
; %bb.103:                              ;   in Loop: Header=BB25_65 Depth=1
	v_cmp_lt_u32_e32 vcc, s24, v8
	s_mov_b64 s[6:7], 0
                                        ; implicit-def: $vgpr8
	s_and_saveexec_b64 s[8:9], vcc
	s_xor_b64 s[8:9], exec, s[8:9]
	s_cbranch_execnz .LBB25_174
; %bb.104:                              ;   in Loop: Header=BB25_65 Depth=1
	s_or_saveexec_b64 s[8:9], s[8:9]
                                        ; implicit-def: $sgpr10
	s_xor_b64 exec, exec, s[8:9]
	s_cbranch_execnz .LBB25_175
.LBB25_105:                             ;   in Loop: Header=BB25_65 Depth=1
	s_or_b64 exec, exec, s[8:9]
	v_mov_b32_e32 v4, s10
	s_and_saveexec_b64 s[8:9], s[6:7]
.LBB25_106:                             ;   in Loop: Header=BB25_65 Depth=1
	v_lshrrev_b32_e32 v4, 24, v7
	v_and_or_b32 v4, v4, s27, v8
.LBB25_107:                             ;   in Loop: Header=BB25_65 Depth=1
	s_or_b64 exec, exec, s[8:9]
.LBB25_108:                             ;   in Loop: Header=BB25_65 Depth=1
	s_or_b64 exec, exec, s[4:5]
	v_mul_f32_e32 v5, v36, v5
	v_mul_f32_e32 v5, v5, v9
	v_div_scale_f32 v7, s[4:5], v12, v12, v5
	v_rcp_f32_e32 v8, v7
	v_div_scale_f32 v9, vcc, v5, v12, v5
	v_fma_f32 v13, -v7, v8, 1.0
	v_fmac_f32_e32 v8, v13, v8
	v_mul_f32_e32 v13, v9, v8
	v_fma_f32 v19, -v7, v13, v9
	v_fmac_f32_e32 v13, v19, v8
	v_fma_f32 v7, -v7, v13, v9
	v_div_fmas_f32 v7, v7, v8, v13
	v_div_fixup_f32 v5, v7, v12, v5
	v_min_f32_e32 v5, 0x43600000, v5
	v_max_f32_e32 v5, 0xc3600000, v5
	v_and_b32_e32 v7, 0x7fffffff, v5
	v_cmp_gt_u32_e32 vcc, s23, v7
	s_and_saveexec_b64 s[4:5], vcc
	s_cbranch_execz .LBB25_114
; %bb.109:                              ;   in Loop: Header=BB25_65 Depth=1
	v_cmp_lt_u32_e32 vcc, s24, v7
	s_mov_b64 s[6:7], 0
                                        ; implicit-def: $vgpr7
	s_and_saveexec_b64 s[8:9], vcc
	s_xor_b64 s[8:9], exec, s[8:9]
	s_cbranch_execnz .LBB25_176
; %bb.110:                              ;   in Loop: Header=BB25_65 Depth=1
	s_or_saveexec_b64 s[8:9], s[8:9]
                                        ; implicit-def: $sgpr10
	s_xor_b64 exec, exec, s[8:9]
	s_cbranch_execnz .LBB25_177
.LBB25_111:                             ;   in Loop: Header=BB25_65 Depth=1
	s_or_b64 exec, exec, s[8:9]
	v_mov_b32_e32 v3, s10
	s_and_saveexec_b64 s[8:9], s[6:7]
.LBB25_112:                             ;   in Loop: Header=BB25_65 Depth=1
	v_lshrrev_b32_e32 v3, 24, v5
	v_and_or_b32 v3, v3, s27, v7
.LBB25_113:                             ;   in Loop: Header=BB25_65 Depth=1
	s_or_b64 exec, exec, s[8:9]
.LBB25_114:                             ;   in Loop: Header=BB25_65 Depth=1
	s_or_b64 exec, exec, s[4:5]
	v_lshlrev_b64 v[8:9], 2, v[10:11]
	v_mov_b32_e32 v5, s18
	v_add_co_u32_e32 v8, vcc, s13, v8
	v_lshlrev_b32_e32 v4, 16, v4
	v_lshlrev_b32_e32 v2, 8, v2
	v_addc_co_u32_e32 v9, vcc, v5, v9, vcc
	v_perm_b32 v3, v3, v4, s28
	v_and_b32_e32 v2, 0xff00, v2
	v_and_b32_e32 v4, 0xff, v6
	v_add_u32_e32 v12, s22, v0
	v_or3_b32 v2, v3, v2, v4
	v_cmp_gt_u32_e32 vcc, s12, v12
	s_mov_b64 s[6:7], -1
	global_store_dword v[8:9], v2, off
	s_and_saveexec_b64 s[4:5], vcc
	s_cbranch_execz .LBB25_63
; %bb.115:                              ;   in Loop: Header=BB25_65 Depth=1
	v_mov_b32_e32 v13, v1
	v_bfe_u32 v11, v12, 5, 25
	v_lshlrev_b64 v[6:7], 4, v[12:13]
	v_mad_u64_u32 v[20:21], s[6:7], v14, v11, 0
	v_mov_b32_e32 v3, s44
	v_add_co_u32_e32 v2, vcc, s33, v6
	v_mov_b32_e32 v22, v21
	v_addc_co_u32_e32 v3, vcc, v3, v7, vcc
	v_mad_u64_u32 v[22:23], s[6:7], v15, v11, v[22:23]
	v_mov_b32_e32 v8, s15
	v_add_co_u32_e32 v6, vcc, s14, v6
	v_mov_b32_e32 v21, v22
	v_addc_co_u32_e32 v7, vcc, v8, v7, vcc
	v_lshlrev_b64 v[20:21], 2, v[20:21]
	global_load_dwordx4 v[2:5], v[2:3], off
	v_mov_b32_e32 v11, s20
	v_add_co_u32_e32 v20, vcc, s19, v20
	global_load_dwordx4 v[6:9], v[6:7], off
	v_addc_co_u32_e32 v21, vcc, v11, v21, vcc
	global_load_dword v11, v[20:21], off
	s_waitcnt vmcnt(2)
	v_mul_f32_e32 v2, v36, v2
	s_waitcnt vmcnt(1)
	v_mul_f32_e32 v6, v2, v6
	v_mov_b32_e32 v2, 0x80
	s_waitcnt vmcnt(0)
	v_div_scale_f32 v19, s[6:7], v11, v11, v6
	v_rcp_f32_e32 v20, v19
	v_div_scale_f32 v21, vcc, v6, v11, v6
	v_fma_f32 v22, -v19, v20, 1.0
	v_fmac_f32_e32 v20, v22, v20
	v_mul_f32_e32 v22, v21, v20
	v_fma_f32 v23, -v19, v22, v21
	v_fmac_f32_e32 v22, v23, v20
	v_fma_f32 v19, -v19, v22, v21
	v_div_fmas_f32 v19, v19, v20, v22
	v_div_fixup_f32 v6, v19, v11, v6
	v_min_f32_e32 v6, 0x43600000, v6
	v_max_f32_e32 v19, 0xc3600000, v6
	v_and_b32_e32 v20, 0x7fffffff, v19
	v_cmp_gt_u32_e32 vcc, s23, v20
	v_mov_b32_e32 v6, 0x80
	s_and_saveexec_b64 s[6:7], vcc
	s_cbranch_execz .LBB25_121
; %bb.116:                              ;   in Loop: Header=BB25_65 Depth=1
	v_cmp_lt_u32_e32 vcc, s24, v20
	s_mov_b64 s[8:9], 0
                                        ; implicit-def: $vgpr20
	s_and_saveexec_b64 s[10:11], vcc
	s_xor_b64 s[10:11], exec, s[10:11]
	s_cbranch_execnz .LBB25_178
; %bb.117:                              ;   in Loop: Header=BB25_65 Depth=1
	s_or_saveexec_b64 s[10:11], s[10:11]
                                        ; implicit-def: $sgpr16
	s_xor_b64 exec, exec, s[10:11]
	s_cbranch_execnz .LBB25_179
.LBB25_118:                             ;   in Loop: Header=BB25_65 Depth=1
	s_or_b64 exec, exec, s[10:11]
	v_mov_b32_e32 v6, s16
	s_and_saveexec_b64 s[10:11], s[8:9]
.LBB25_119:                             ;   in Loop: Header=BB25_65 Depth=1
	v_lshrrev_b32_e32 v6, 24, v19
	v_and_or_b32 v6, v6, s27, v20
.LBB25_120:                             ;   in Loop: Header=BB25_65 Depth=1
	s_or_b64 exec, exec, s[10:11]
.LBB25_121:                             ;   in Loop: Header=BB25_65 Depth=1
	s_or_b64 exec, exec, s[6:7]
	v_mul_f32_e32 v3, v36, v3
	v_mul_f32_e32 v3, v3, v7
	v_div_scale_f32 v7, s[6:7], v11, v11, v3
	v_rcp_f32_e32 v19, v7
	v_div_scale_f32 v20, vcc, v3, v11, v3
	v_fma_f32 v21, -v7, v19, 1.0
	v_fmac_f32_e32 v19, v21, v19
	v_mul_f32_e32 v21, v20, v19
	v_fma_f32 v22, -v7, v21, v20
	v_fmac_f32_e32 v21, v22, v19
	v_fma_f32 v7, -v7, v21, v20
	v_div_fmas_f32 v7, v7, v19, v21
	v_div_fixup_f32 v3, v7, v11, v3
	v_min_f32_e32 v3, 0x43600000, v3
	v_max_f32_e32 v3, 0xc3600000, v3
	v_and_b32_e32 v7, 0x7fffffff, v3
	v_cmp_gt_u32_e32 vcc, s23, v7
	s_and_saveexec_b64 s[6:7], vcc
	s_cbranch_execz .LBB25_127
; %bb.122:                              ;   in Loop: Header=BB25_65 Depth=1
	v_cmp_lt_u32_e32 vcc, s24, v7
	s_mov_b64 s[8:9], 0
                                        ; implicit-def: $vgpr7
	s_and_saveexec_b64 s[10:11], vcc
	s_xor_b64 s[10:11], exec, s[10:11]
	s_cbranch_execnz .LBB25_180
; %bb.123:                              ;   in Loop: Header=BB25_65 Depth=1
	s_or_saveexec_b64 s[10:11], s[10:11]
                                        ; implicit-def: $sgpr16
	s_xor_b64 exec, exec, s[10:11]
	s_cbranch_execnz .LBB25_181
.LBB25_124:                             ;   in Loop: Header=BB25_65 Depth=1
	s_or_b64 exec, exec, s[10:11]
	v_mov_b32_e32 v2, s16
	s_and_saveexec_b64 s[10:11], s[8:9]
.LBB25_125:                             ;   in Loop: Header=BB25_65 Depth=1
	v_lshrrev_b32_e32 v2, 24, v3
	v_and_or_b32 v2, v2, s27, v7
.LBB25_126:                             ;   in Loop: Header=BB25_65 Depth=1
	s_or_b64 exec, exec, s[10:11]
.LBB25_127:                             ;   in Loop: Header=BB25_65 Depth=1
	s_or_b64 exec, exec, s[6:7]
	v_mul_f32_e32 v3, v36, v4
	v_mul_f32_e32 v3, v3, v8
	v_div_scale_f32 v4, s[6:7], v11, v11, v3
	v_rcp_f32_e32 v7, v4
	v_div_scale_f32 v8, vcc, v3, v11, v3
	v_fma_f32 v19, -v4, v7, 1.0
	v_fmac_f32_e32 v7, v19, v7
	v_mul_f32_e32 v19, v8, v7
	v_fma_f32 v20, -v4, v19, v8
	v_fmac_f32_e32 v19, v20, v7
	v_fma_f32 v4, -v4, v19, v8
	v_div_fmas_f32 v4, v4, v7, v19
	v_div_fixup_f32 v3, v4, v11, v3
	v_min_f32_e32 v3, 0x43600000, v3
	v_max_f32_e32 v7, 0xc3600000, v3
	v_and_b32_e32 v8, 0x7fffffff, v7
	v_cmp_gt_u32_e32 vcc, s23, v8
	v_mov_b32_e32 v3, 0x80
	v_mov_b32_e32 v4, 0x80
	s_and_saveexec_b64 s[6:7], vcc
	s_cbranch_execz .LBB25_133
; %bb.128:                              ;   in Loop: Header=BB25_65 Depth=1
	v_cmp_lt_u32_e32 vcc, s24, v8
	s_mov_b64 s[8:9], 0
                                        ; implicit-def: $vgpr8
	s_and_saveexec_b64 s[10:11], vcc
	s_xor_b64 s[10:11], exec, s[10:11]
	s_cbranch_execnz .LBB25_182
; %bb.129:                              ;   in Loop: Header=BB25_65 Depth=1
	s_or_saveexec_b64 s[10:11], s[10:11]
                                        ; implicit-def: $sgpr16
	s_xor_b64 exec, exec, s[10:11]
	s_cbranch_execnz .LBB25_183
.LBB25_130:                             ;   in Loop: Header=BB25_65 Depth=1
	s_or_b64 exec, exec, s[10:11]
	v_mov_b32_e32 v4, s16
	s_and_saveexec_b64 s[10:11], s[8:9]
.LBB25_131:                             ;   in Loop: Header=BB25_65 Depth=1
	v_lshrrev_b32_e32 v4, 24, v7
	v_and_or_b32 v4, v4, s27, v8
.LBB25_132:                             ;   in Loop: Header=BB25_65 Depth=1
	s_or_b64 exec, exec, s[10:11]
.LBB25_133:                             ;   in Loop: Header=BB25_65 Depth=1
	s_or_b64 exec, exec, s[6:7]
	v_mul_f32_e32 v5, v36, v5
	v_mul_f32_e32 v5, v5, v9
	v_div_scale_f32 v7, s[6:7], v11, v11, v5
	v_rcp_f32_e32 v8, v7
	v_div_scale_f32 v9, vcc, v5, v11, v5
	v_fma_f32 v19, -v7, v8, 1.0
	v_fmac_f32_e32 v8, v19, v8
	v_mul_f32_e32 v19, v9, v8
	v_fma_f32 v20, -v7, v19, v9
	v_fmac_f32_e32 v19, v20, v8
	v_fma_f32 v7, -v7, v19, v9
	v_div_fmas_f32 v7, v7, v8, v19
	v_div_fixup_f32 v5, v7, v11, v5
	v_min_f32_e32 v5, 0x43600000, v5
	v_max_f32_e32 v5, 0xc3600000, v5
	v_and_b32_e32 v7, 0x7fffffff, v5
	v_cmp_gt_u32_e32 vcc, s23, v7
	s_and_saveexec_b64 s[6:7], vcc
	s_cbranch_execz .LBB25_139
; %bb.134:                              ;   in Loop: Header=BB25_65 Depth=1
	v_cmp_lt_u32_e32 vcc, s24, v7
	s_mov_b64 s[8:9], 0
                                        ; implicit-def: $vgpr7
	s_and_saveexec_b64 s[10:11], vcc
	s_xor_b64 s[10:11], exec, s[10:11]
	s_cbranch_execnz .LBB25_184
; %bb.135:                              ;   in Loop: Header=BB25_65 Depth=1
	s_or_saveexec_b64 s[10:11], s[10:11]
                                        ; implicit-def: $sgpr16
	s_xor_b64 exec, exec, s[10:11]
	s_cbranch_execnz .LBB25_185
.LBB25_136:                             ;   in Loop: Header=BB25_65 Depth=1
	s_or_b64 exec, exec, s[10:11]
	v_mov_b32_e32 v3, s16
	s_and_saveexec_b64 s[10:11], s[8:9]
.LBB25_137:                             ;   in Loop: Header=BB25_65 Depth=1
	v_lshrrev_b32_e32 v3, 24, v5
	v_and_or_b32 v3, v3, s27, v7
.LBB25_138:                             ;   in Loop: Header=BB25_65 Depth=1
	s_or_b64 exec, exec, s[10:11]
.LBB25_139:                             ;   in Loop: Header=BB25_65 Depth=1
	s_or_b64 exec, exec, s[6:7]
	v_lshlrev_b64 v[8:9], 2, v[12:13]
	v_mov_b32_e32 v5, s18
	v_add_co_u32_e32 v8, vcc, s13, v8
	v_lshlrev_b32_e32 v4, 16, v4
	v_lshlrev_b32_e32 v2, 8, v2
	v_addc_co_u32_e32 v9, vcc, v5, v9, vcc
	v_perm_b32 v3, v3, v4, s28
	v_and_b32_e32 v2, 0xff00, v2
	v_and_b32_e32 v4, 0xff, v6
	v_add_u32_e32 v0, s21, v0
	v_or3_b32 v2, v3, v2, v4
	v_cmp_gt_u32_e32 vcc, s12, v0
	s_mov_b64 s[8:9], -1
	global_store_dword v[8:9], v2, off
	s_and_saveexec_b64 s[6:7], vcc
	s_cbranch_execz .LBB25_62
; %bb.140:                              ;   in Loop: Header=BB25_65 Depth=1
	v_bfe_u32 v11, v0, 5, 25
	v_lshlrev_b64 v[6:7], 4, v[0:1]
	v_mad_u64_u32 v[12:13], s[8:9], v14, v11, 0
	v_mov_b32_e32 v3, s44
	v_add_co_u32_e32 v2, vcc, s33, v6
	v_mov_b32_e32 v20, v13
	v_addc_co_u32_e32 v3, vcc, v3, v7, vcc
	v_mad_u64_u32 v[20:21], s[8:9], v15, v11, v[20:21]
	v_mov_b32_e32 v8, s15
	v_add_co_u32_e32 v6, vcc, s14, v6
	v_mov_b32_e32 v13, v20
	v_addc_co_u32_e32 v7, vcc, v8, v7, vcc
	v_lshlrev_b64 v[12:13], 2, v[12:13]
	global_load_dwordx4 v[2:5], v[2:3], off
	v_mov_b32_e32 v11, s20
	v_add_co_u32_e32 v12, vcc, s19, v12
	global_load_dwordx4 v[6:9], v[6:7], off
	v_addc_co_u32_e32 v13, vcc, v11, v13, vcc
	global_load_dword v11, v[12:13], off
	s_waitcnt vmcnt(2)
	v_mul_f32_e32 v2, v36, v2
	s_waitcnt vmcnt(1)
	v_mul_f32_e32 v6, v2, v6
	v_mov_b32_e32 v2, 0x80
	s_waitcnt vmcnt(0)
	v_div_scale_f32 v12, s[8:9], v11, v11, v6
	v_rcp_f32_e32 v13, v12
	v_div_scale_f32 v19, vcc, v6, v11, v6
	v_fma_f32 v20, -v12, v13, 1.0
	v_fmac_f32_e32 v13, v20, v13
	v_mul_f32_e32 v20, v19, v13
	v_fma_f32 v21, -v12, v20, v19
	v_fmac_f32_e32 v20, v21, v13
	v_fma_f32 v12, -v12, v20, v19
	v_div_fmas_f32 v12, v12, v13, v20
	v_div_fixup_f32 v6, v12, v11, v6
	v_min_f32_e32 v6, 0x43600000, v6
	v_max_f32_e32 v12, 0xc3600000, v6
	v_and_b32_e32 v13, 0x7fffffff, v12
	v_cmp_gt_u32_e32 vcc, s23, v13
	v_mov_b32_e32 v6, 0x80
	s_and_saveexec_b64 s[8:9], vcc
	s_cbranch_execz .LBB25_146
; %bb.141:                              ;   in Loop: Header=BB25_65 Depth=1
	v_cmp_lt_u32_e32 vcc, s24, v13
	s_mov_b64 s[10:11], 0
                                        ; implicit-def: $vgpr13
	s_and_saveexec_b64 s[16:17], vcc
	s_xor_b64 s[16:17], exec, s[16:17]
	s_cbranch_execnz .LBB25_186
; %bb.142:                              ;   in Loop: Header=BB25_65 Depth=1
	s_or_saveexec_b64 s[16:17], s[16:17]
                                        ; implicit-def: $sgpr29
	s_xor_b64 exec, exec, s[16:17]
	s_cbranch_execnz .LBB25_187
.LBB25_143:                             ;   in Loop: Header=BB25_65 Depth=1
	s_or_b64 exec, exec, s[16:17]
	v_mov_b32_e32 v6, s29
	s_and_saveexec_b64 s[16:17], s[10:11]
.LBB25_144:                             ;   in Loop: Header=BB25_65 Depth=1
	v_lshrrev_b32_e32 v6, 24, v12
	v_and_or_b32 v6, v6, s27, v13
.LBB25_145:                             ;   in Loop: Header=BB25_65 Depth=1
	s_or_b64 exec, exec, s[16:17]
.LBB25_146:                             ;   in Loop: Header=BB25_65 Depth=1
	s_or_b64 exec, exec, s[8:9]
	v_mul_f32_e32 v3, v36, v3
	v_mul_f32_e32 v3, v3, v7
	v_div_scale_f32 v7, s[8:9], v11, v11, v3
	v_rcp_f32_e32 v12, v7
	v_div_scale_f32 v13, vcc, v3, v11, v3
	v_fma_f32 v19, -v7, v12, 1.0
	v_fmac_f32_e32 v12, v19, v12
	v_mul_f32_e32 v19, v13, v12
	v_fma_f32 v20, -v7, v19, v13
	v_fmac_f32_e32 v19, v20, v12
	v_fma_f32 v7, -v7, v19, v13
	v_div_fmas_f32 v7, v7, v12, v19
	v_div_fixup_f32 v3, v7, v11, v3
	v_min_f32_e32 v3, 0x43600000, v3
	v_max_f32_e32 v3, 0xc3600000, v3
	v_and_b32_e32 v7, 0x7fffffff, v3
	v_cmp_gt_u32_e32 vcc, s23, v7
	s_and_saveexec_b64 s[8:9], vcc
	s_cbranch_execz .LBB25_152
; %bb.147:                              ;   in Loop: Header=BB25_65 Depth=1
	v_cmp_lt_u32_e32 vcc, s24, v7
	s_mov_b64 s[10:11], 0
                                        ; implicit-def: $vgpr7
	s_and_saveexec_b64 s[16:17], vcc
	s_xor_b64 s[16:17], exec, s[16:17]
	s_cbranch_execnz .LBB25_188
; %bb.148:                              ;   in Loop: Header=BB25_65 Depth=1
	s_or_saveexec_b64 s[16:17], s[16:17]
                                        ; implicit-def: $sgpr29
	s_xor_b64 exec, exec, s[16:17]
	s_cbranch_execnz .LBB25_189
.LBB25_149:                             ;   in Loop: Header=BB25_65 Depth=1
	s_or_b64 exec, exec, s[16:17]
	v_mov_b32_e32 v2, s29
	s_and_saveexec_b64 s[16:17], s[10:11]
.LBB25_150:                             ;   in Loop: Header=BB25_65 Depth=1
	v_lshrrev_b32_e32 v2, 24, v3
	v_and_or_b32 v2, v2, s27, v7
.LBB25_151:                             ;   in Loop: Header=BB25_65 Depth=1
	s_or_b64 exec, exec, s[16:17]
.LBB25_152:                             ;   in Loop: Header=BB25_65 Depth=1
	s_or_b64 exec, exec, s[8:9]
	v_mul_f32_e32 v3, v36, v4
	v_mul_f32_e32 v3, v3, v8
	v_div_scale_f32 v4, s[8:9], v11, v11, v3
	v_rcp_f32_e32 v7, v4
	v_div_scale_f32 v8, vcc, v3, v11, v3
	v_fma_f32 v12, -v4, v7, 1.0
	v_fmac_f32_e32 v7, v12, v7
	v_mul_f32_e32 v12, v8, v7
	v_fma_f32 v13, -v4, v12, v8
	v_fmac_f32_e32 v12, v13, v7
	v_fma_f32 v4, -v4, v12, v8
	v_div_fmas_f32 v4, v4, v7, v12
	v_div_fixup_f32 v3, v4, v11, v3
	v_min_f32_e32 v3, 0x43600000, v3
	v_max_f32_e32 v7, 0xc3600000, v3
	v_and_b32_e32 v8, 0x7fffffff, v7
	v_cmp_gt_u32_e32 vcc, s23, v8
	v_mov_b32_e32 v3, 0x80
	v_mov_b32_e32 v4, 0x80
	s_and_saveexec_b64 s[8:9], vcc
	s_cbranch_execz .LBB25_158
; %bb.153:                              ;   in Loop: Header=BB25_65 Depth=1
	v_cmp_lt_u32_e32 vcc, s24, v8
	s_mov_b64 s[10:11], 0
                                        ; implicit-def: $vgpr8
	s_and_saveexec_b64 s[16:17], vcc
	s_xor_b64 s[16:17], exec, s[16:17]
	s_cbranch_execnz .LBB25_190
; %bb.154:                              ;   in Loop: Header=BB25_65 Depth=1
	s_or_saveexec_b64 s[16:17], s[16:17]
                                        ; implicit-def: $sgpr29
	s_xor_b64 exec, exec, s[16:17]
	s_cbranch_execnz .LBB25_191
.LBB25_155:                             ;   in Loop: Header=BB25_65 Depth=1
	s_or_b64 exec, exec, s[16:17]
	v_mov_b32_e32 v4, s29
	s_and_saveexec_b64 s[16:17], s[10:11]
.LBB25_156:                             ;   in Loop: Header=BB25_65 Depth=1
	v_lshrrev_b32_e32 v4, 24, v7
	v_and_or_b32 v4, v4, s27, v8
.LBB25_157:                             ;   in Loop: Header=BB25_65 Depth=1
	s_or_b64 exec, exec, s[16:17]
.LBB25_158:                             ;   in Loop: Header=BB25_65 Depth=1
	s_or_b64 exec, exec, s[8:9]
	v_mul_f32_e32 v5, v36, v5
	v_mul_f32_e32 v5, v5, v9
	v_div_scale_f32 v7, s[8:9], v11, v11, v5
	v_rcp_f32_e32 v8, v7
	v_div_scale_f32 v9, vcc, v5, v11, v5
	v_fma_f32 v12, -v7, v8, 1.0
	v_fmac_f32_e32 v8, v12, v8
	v_mul_f32_e32 v12, v9, v8
	v_fma_f32 v13, -v7, v12, v9
	v_fmac_f32_e32 v12, v13, v8
	v_fma_f32 v7, -v7, v12, v9
	v_div_fmas_f32 v7, v7, v8, v12
	v_div_fixup_f32 v5, v7, v11, v5
	v_min_f32_e32 v5, 0x43600000, v5
	v_max_f32_e32 v5, 0xc3600000, v5
	v_and_b32_e32 v7, 0x7fffffff, v5
	v_cmp_gt_u32_e32 vcc, s23, v7
	s_and_saveexec_b64 s[8:9], vcc
	s_cbranch_execz .LBB25_61
; %bb.159:                              ;   in Loop: Header=BB25_65 Depth=1
	v_cmp_lt_u32_e32 vcc, s24, v7
	s_mov_b64 s[10:11], 0
                                        ; implicit-def: $vgpr7
	s_and_saveexec_b64 s[16:17], vcc
	s_xor_b64 s[16:17], exec, s[16:17]
	s_cbranch_execnz .LBB25_192
; %bb.160:                              ;   in Loop: Header=BB25_65 Depth=1
	s_or_saveexec_b64 s[16:17], s[16:17]
                                        ; implicit-def: $sgpr29
	s_xor_b64 exec, exec, s[16:17]
	s_cbranch_execnz .LBB25_193
.LBB25_161:                             ;   in Loop: Header=BB25_65 Depth=1
	s_or_b64 exec, exec, s[16:17]
	v_mov_b32_e32 v3, s29
	s_and_saveexec_b64 s[16:17], s[10:11]
	s_cbranch_execz .LBB25_60
	s_branch .LBB25_194
.LBB25_162:                             ;   in Loop: Header=BB25_65 Depth=1
	v_bfe_u32 v6, v11, 20, 1
	v_add3_u32 v6, v11, v6, s25
	s_mov_b64 s[4:5], exec
	v_lshrrev_b32_e32 v12, 20, v6
	s_or_saveexec_b64 s[6:7], s[6:7]
                                        ; implicit-def: $sgpr8
	s_xor_b64 exec, exec, s[6:7]
	s_cbranch_execz .LBB25_68
.LBB25_163:                             ;   in Loop: Header=BB25_65 Depth=1
	v_add_f32_e64 v6, |v11|, s26
	v_and_b32_e32 v12, 0xff, v6
	v_cmp_ne_u32_e32 vcc, 0, v12
	s_andn2_b64 s[4:5], s[4:5], exec
	s_and_b64 s[10:11], vcc, exec
	s_mov_b32 s8, 0
	s_or_b64 s[4:5], s[4:5], s[10:11]
	s_or_b64 exec, exec, s[6:7]
	v_mov_b32_e32 v6, s8
	s_and_saveexec_b64 s[6:7], s[4:5]
	s_cbranch_execnz .LBB25_69
	s_branch .LBB25_70
.LBB25_164:                             ;   in Loop: Header=BB25_65 Depth=1
	v_bfe_u32 v2, v3, 20, 1
	v_add3_u32 v2, v3, v2, s25
	s_mov_b64 s[4:5], exec
	v_lshrrev_b32_e32 v7, 20, v2
	s_or_saveexec_b64 s[6:7], s[6:7]
                                        ; implicit-def: $sgpr8
	s_xor_b64 exec, exec, s[6:7]
	s_cbranch_execz .LBB25_74
.LBB25_165:                             ;   in Loop: Header=BB25_65 Depth=1
	v_add_f32_e64 v2, |v3|, s26
	v_and_b32_e32 v7, 0xff, v2
	v_cmp_ne_u32_e32 vcc, 0, v7
	s_andn2_b64 s[4:5], s[4:5], exec
	s_and_b64 s[10:11], vcc, exec
	s_mov_b32 s8, 0
	s_or_b64 s[4:5], s[4:5], s[10:11]
	s_or_b64 exec, exec, s[6:7]
	v_mov_b32_e32 v2, s8
	s_and_saveexec_b64 s[6:7], s[4:5]
	s_cbranch_execnz .LBB25_75
	s_branch .LBB25_76
.LBB25_166:                             ;   in Loop: Header=BB25_65 Depth=1
	v_bfe_u32 v4, v7, 20, 1
	v_add3_u32 v4, v7, v4, s25
	s_mov_b64 s[4:5], exec
	v_lshrrev_b32_e32 v8, 20, v4
	s_or_saveexec_b64 s[6:7], s[6:7]
                                        ; implicit-def: $sgpr8
	s_xor_b64 exec, exec, s[6:7]
	s_cbranch_execz .LBB25_80
.LBB25_167:                             ;   in Loop: Header=BB25_65 Depth=1
	v_add_f32_e64 v4, |v7|, s26
	v_and_b32_e32 v8, 0xff, v4
	v_cmp_ne_u32_e32 vcc, 0, v8
	s_andn2_b64 s[4:5], s[4:5], exec
	s_and_b64 s[10:11], vcc, exec
	s_mov_b32 s8, 0
	s_or_b64 s[4:5], s[4:5], s[10:11]
	s_or_b64 exec, exec, s[6:7]
	v_mov_b32_e32 v4, s8
	s_and_saveexec_b64 s[6:7], s[4:5]
	s_cbranch_execnz .LBB25_81
	s_branch .LBB25_82
.LBB25_168:                             ;   in Loop: Header=BB25_65 Depth=1
	v_bfe_u32 v3, v5, 20, 1
	v_add3_u32 v3, v5, v3, s25
	s_mov_b64 s[4:5], exec
	v_lshrrev_b32_e32 v7, 20, v3
	s_or_saveexec_b64 s[6:7], s[6:7]
                                        ; implicit-def: $sgpr8
	s_xor_b64 exec, exec, s[6:7]
	s_cbranch_execz .LBB25_86
.LBB25_169:                             ;   in Loop: Header=BB25_65 Depth=1
	v_add_f32_e64 v3, |v5|, s26
	v_and_b32_e32 v7, 0xff, v3
	v_cmp_ne_u32_e32 vcc, 0, v7
	s_andn2_b64 s[4:5], s[4:5], exec
	s_and_b64 s[10:11], vcc, exec
	s_mov_b32 s8, 0
	s_or_b64 s[4:5], s[4:5], s[10:11]
	s_or_b64 exec, exec, s[6:7]
	v_mov_b32_e32 v3, s8
	s_and_saveexec_b64 s[6:7], s[4:5]
	s_cbranch_execnz .LBB25_87
	s_branch .LBB25_88
.LBB25_170:                             ;   in Loop: Header=BB25_65 Depth=1
	v_bfe_u32 v6, v13, 20, 1
	v_add3_u32 v6, v13, v6, s25
	s_mov_b64 s[6:7], exec
	v_lshrrev_b32_e32 v19, 20, v6
	s_or_saveexec_b64 s[8:9], s[8:9]
                                        ; implicit-def: $sgpr10
	s_xor_b64 exec, exec, s[8:9]
	s_cbranch_execz .LBB25_93
.LBB25_171:                             ;   in Loop: Header=BB25_65 Depth=1
	v_add_f32_e64 v6, |v13|, s26
	v_and_b32_e32 v19, 0xff, v6
	v_cmp_ne_u32_e32 vcc, 0, v19
	s_andn2_b64 s[6:7], s[6:7], exec
	s_and_b64 s[16:17], vcc, exec
	s_mov_b32 s10, 0
	s_or_b64 s[6:7], s[6:7], s[16:17]
	s_or_b64 exec, exec, s[8:9]
	v_mov_b32_e32 v6, s10
	s_and_saveexec_b64 s[8:9], s[6:7]
	s_cbranch_execnz .LBB25_94
	s_branch .LBB25_95
.LBB25_172:                             ;   in Loop: Header=BB25_65 Depth=1
	v_bfe_u32 v2, v3, 20, 1
	v_add3_u32 v2, v3, v2, s25
	s_mov_b64 s[6:7], exec
	v_lshrrev_b32_e32 v7, 20, v2
	s_or_saveexec_b64 s[8:9], s[8:9]
                                        ; implicit-def: $sgpr10
	s_xor_b64 exec, exec, s[8:9]
	s_cbranch_execz .LBB25_99
.LBB25_173:                             ;   in Loop: Header=BB25_65 Depth=1
	v_add_f32_e64 v2, |v3|, s26
	v_and_b32_e32 v7, 0xff, v2
	v_cmp_ne_u32_e32 vcc, 0, v7
	s_andn2_b64 s[6:7], s[6:7], exec
	s_and_b64 s[16:17], vcc, exec
	s_mov_b32 s10, 0
	s_or_b64 s[6:7], s[6:7], s[16:17]
	s_or_b64 exec, exec, s[8:9]
	v_mov_b32_e32 v2, s10
	s_and_saveexec_b64 s[8:9], s[6:7]
	s_cbranch_execnz .LBB25_100
	s_branch .LBB25_101
.LBB25_174:                             ;   in Loop: Header=BB25_65 Depth=1
	v_bfe_u32 v4, v7, 20, 1
	v_add3_u32 v4, v7, v4, s25
	s_mov_b64 s[6:7], exec
	v_lshrrev_b32_e32 v8, 20, v4
	s_or_saveexec_b64 s[8:9], s[8:9]
                                        ; implicit-def: $sgpr10
	s_xor_b64 exec, exec, s[8:9]
	s_cbranch_execz .LBB25_105
.LBB25_175:                             ;   in Loop: Header=BB25_65 Depth=1
	v_add_f32_e64 v4, |v7|, s26
	v_and_b32_e32 v8, 0xff, v4
	v_cmp_ne_u32_e32 vcc, 0, v8
	s_andn2_b64 s[6:7], s[6:7], exec
	s_and_b64 s[16:17], vcc, exec
	s_mov_b32 s10, 0
	s_or_b64 s[6:7], s[6:7], s[16:17]
	s_or_b64 exec, exec, s[8:9]
	v_mov_b32_e32 v4, s10
	s_and_saveexec_b64 s[8:9], s[6:7]
	s_cbranch_execnz .LBB25_106
	s_branch .LBB25_107
.LBB25_176:                             ;   in Loop: Header=BB25_65 Depth=1
	v_bfe_u32 v3, v5, 20, 1
	v_add3_u32 v3, v5, v3, s25
	s_mov_b64 s[6:7], exec
	v_lshrrev_b32_e32 v7, 20, v3
	s_or_saveexec_b64 s[8:9], s[8:9]
                                        ; implicit-def: $sgpr10
	s_xor_b64 exec, exec, s[8:9]
	s_cbranch_execz .LBB25_111
.LBB25_177:                             ;   in Loop: Header=BB25_65 Depth=1
	v_add_f32_e64 v3, |v5|, s26
	v_and_b32_e32 v7, 0xff, v3
	v_cmp_ne_u32_e32 vcc, 0, v7
	s_andn2_b64 s[6:7], s[6:7], exec
	s_and_b64 s[16:17], vcc, exec
	s_mov_b32 s10, 0
	s_or_b64 s[6:7], s[6:7], s[16:17]
	s_or_b64 exec, exec, s[8:9]
	v_mov_b32_e32 v3, s10
	s_and_saveexec_b64 s[8:9], s[6:7]
	s_cbranch_execnz .LBB25_112
	s_branch .LBB25_113
.LBB25_178:                             ;   in Loop: Header=BB25_65 Depth=1
	v_bfe_u32 v6, v19, 20, 1
	v_add3_u32 v6, v19, v6, s25
	s_mov_b64 s[8:9], exec
	v_lshrrev_b32_e32 v20, 20, v6
	s_or_saveexec_b64 s[10:11], s[10:11]
                                        ; implicit-def: $sgpr16
	s_xor_b64 exec, exec, s[10:11]
	s_cbranch_execz .LBB25_118
.LBB25_179:                             ;   in Loop: Header=BB25_65 Depth=1
	v_add_f32_e64 v6, |v19|, s26
	v_and_b32_e32 v20, 0xff, v6
	v_cmp_ne_u32_e32 vcc, 0, v20
	s_andn2_b64 s[8:9], s[8:9], exec
	s_and_b64 s[30:31], vcc, exec
	s_mov_b32 s16, 0
	s_or_b64 s[8:9], s[8:9], s[30:31]
	s_or_b64 exec, exec, s[10:11]
	v_mov_b32_e32 v6, s16
	s_and_saveexec_b64 s[10:11], s[8:9]
	s_cbranch_execnz .LBB25_119
	s_branch .LBB25_120
.LBB25_180:                             ;   in Loop: Header=BB25_65 Depth=1
	v_bfe_u32 v2, v3, 20, 1
	v_add3_u32 v2, v3, v2, s25
	s_mov_b64 s[8:9], exec
	v_lshrrev_b32_e32 v7, 20, v2
	s_or_saveexec_b64 s[10:11], s[10:11]
                                        ; implicit-def: $sgpr16
	s_xor_b64 exec, exec, s[10:11]
	s_cbranch_execz .LBB25_124
.LBB25_181:                             ;   in Loop: Header=BB25_65 Depth=1
	v_add_f32_e64 v2, |v3|, s26
	v_and_b32_e32 v7, 0xff, v2
	v_cmp_ne_u32_e32 vcc, 0, v7
	s_andn2_b64 s[8:9], s[8:9], exec
	s_and_b64 s[30:31], vcc, exec
	s_mov_b32 s16, 0
	s_or_b64 s[8:9], s[8:9], s[30:31]
	s_or_b64 exec, exec, s[10:11]
	v_mov_b32_e32 v2, s16
	s_and_saveexec_b64 s[10:11], s[8:9]
	s_cbranch_execnz .LBB25_125
	s_branch .LBB25_126
.LBB25_182:                             ;   in Loop: Header=BB25_65 Depth=1
	v_bfe_u32 v4, v7, 20, 1
	v_add3_u32 v4, v7, v4, s25
	s_mov_b64 s[8:9], exec
	v_lshrrev_b32_e32 v8, 20, v4
	s_or_saveexec_b64 s[10:11], s[10:11]
                                        ; implicit-def: $sgpr16
	s_xor_b64 exec, exec, s[10:11]
	s_cbranch_execz .LBB25_130
.LBB25_183:                             ;   in Loop: Header=BB25_65 Depth=1
	v_add_f32_e64 v4, |v7|, s26
	v_and_b32_e32 v8, 0xff, v4
	v_cmp_ne_u32_e32 vcc, 0, v8
	s_andn2_b64 s[8:9], s[8:9], exec
	s_and_b64 s[30:31], vcc, exec
	s_mov_b32 s16, 0
	s_or_b64 s[8:9], s[8:9], s[30:31]
	s_or_b64 exec, exec, s[10:11]
	v_mov_b32_e32 v4, s16
	s_and_saveexec_b64 s[10:11], s[8:9]
	s_cbranch_execnz .LBB25_131
	s_branch .LBB25_132
.LBB25_184:                             ;   in Loop: Header=BB25_65 Depth=1
	v_bfe_u32 v3, v5, 20, 1
	v_add3_u32 v3, v5, v3, s25
	s_mov_b64 s[8:9], exec
	v_lshrrev_b32_e32 v7, 20, v3
	s_or_saveexec_b64 s[10:11], s[10:11]
                                        ; implicit-def: $sgpr16
	s_xor_b64 exec, exec, s[10:11]
	s_cbranch_execz .LBB25_136
.LBB25_185:                             ;   in Loop: Header=BB25_65 Depth=1
	v_add_f32_e64 v3, |v5|, s26
	v_and_b32_e32 v7, 0xff, v3
	v_cmp_ne_u32_e32 vcc, 0, v7
	s_andn2_b64 s[8:9], s[8:9], exec
	s_and_b64 s[30:31], vcc, exec
	s_mov_b32 s16, 0
	s_or_b64 s[8:9], s[8:9], s[30:31]
	s_or_b64 exec, exec, s[10:11]
	v_mov_b32_e32 v3, s16
	s_and_saveexec_b64 s[10:11], s[8:9]
	s_cbranch_execnz .LBB25_137
	s_branch .LBB25_138
.LBB25_186:                             ;   in Loop: Header=BB25_65 Depth=1
	v_bfe_u32 v6, v12, 20, 1
	v_add3_u32 v6, v12, v6, s25
	s_mov_b64 s[10:11], exec
	v_lshrrev_b32_e32 v13, 20, v6
	s_or_saveexec_b64 s[16:17], s[16:17]
                                        ; implicit-def: $sgpr29
	s_xor_b64 exec, exec, s[16:17]
	s_cbranch_execz .LBB25_143
.LBB25_187:                             ;   in Loop: Header=BB25_65 Depth=1
	v_add_f32_e64 v6, |v12|, s26
	v_and_b32_e32 v13, 0xff, v6
	v_cmp_ne_u32_e32 vcc, 0, v13
	s_andn2_b64 s[10:11], s[10:11], exec
	s_and_b64 s[30:31], vcc, exec
	s_mov_b32 s29, 0
	s_or_b64 s[10:11], s[10:11], s[30:31]
	s_or_b64 exec, exec, s[16:17]
	v_mov_b32_e32 v6, s29
	s_and_saveexec_b64 s[16:17], s[10:11]
	s_cbranch_execnz .LBB25_144
	s_branch .LBB25_145
.LBB25_188:                             ;   in Loop: Header=BB25_65 Depth=1
	v_bfe_u32 v2, v3, 20, 1
	v_add3_u32 v2, v3, v2, s25
	s_mov_b64 s[10:11], exec
	v_lshrrev_b32_e32 v7, 20, v2
	s_or_saveexec_b64 s[16:17], s[16:17]
                                        ; implicit-def: $sgpr29
	s_xor_b64 exec, exec, s[16:17]
	s_cbranch_execz .LBB25_149
.LBB25_189:                             ;   in Loop: Header=BB25_65 Depth=1
	v_add_f32_e64 v2, |v3|, s26
	v_and_b32_e32 v7, 0xff, v2
	v_cmp_ne_u32_e32 vcc, 0, v7
	s_andn2_b64 s[10:11], s[10:11], exec
	s_and_b64 s[30:31], vcc, exec
	s_mov_b32 s29, 0
	s_or_b64 s[10:11], s[10:11], s[30:31]
	s_or_b64 exec, exec, s[16:17]
	v_mov_b32_e32 v2, s29
	s_and_saveexec_b64 s[16:17], s[10:11]
	s_cbranch_execnz .LBB25_150
	s_branch .LBB25_151
.LBB25_190:                             ;   in Loop: Header=BB25_65 Depth=1
	v_bfe_u32 v4, v7, 20, 1
	v_add3_u32 v4, v7, v4, s25
	s_mov_b64 s[10:11], exec
	v_lshrrev_b32_e32 v8, 20, v4
	s_or_saveexec_b64 s[16:17], s[16:17]
                                        ; implicit-def: $sgpr29
	s_xor_b64 exec, exec, s[16:17]
	s_cbranch_execz .LBB25_155
.LBB25_191:                             ;   in Loop: Header=BB25_65 Depth=1
	v_add_f32_e64 v4, |v7|, s26
	v_and_b32_e32 v8, 0xff, v4
	v_cmp_ne_u32_e32 vcc, 0, v8
	s_andn2_b64 s[10:11], s[10:11], exec
	s_and_b64 s[30:31], vcc, exec
	s_mov_b32 s29, 0
	s_or_b64 s[10:11], s[10:11], s[30:31]
	s_or_b64 exec, exec, s[16:17]
	v_mov_b32_e32 v4, s29
	s_and_saveexec_b64 s[16:17], s[10:11]
	s_cbranch_execnz .LBB25_156
	s_branch .LBB25_157
.LBB25_192:                             ;   in Loop: Header=BB25_65 Depth=1
	v_bfe_u32 v3, v5, 20, 1
	v_add3_u32 v3, v5, v3, s25
	s_mov_b64 s[10:11], exec
	v_lshrrev_b32_e32 v7, 20, v3
	s_or_saveexec_b64 s[16:17], s[16:17]
                                        ; implicit-def: $sgpr29
	s_xor_b64 exec, exec, s[16:17]
	s_cbranch_execz .LBB25_161
.LBB25_193:                             ;   in Loop: Header=BB25_65 Depth=1
	v_add_f32_e64 v3, |v5|, s26
	v_and_b32_e32 v7, 0xff, v3
	v_cmp_ne_u32_e32 vcc, 0, v7
	s_andn2_b64 s[10:11], s[10:11], exec
	s_and_b64 s[30:31], vcc, exec
	s_mov_b32 s29, 0
	s_or_b64 s[10:11], s[10:11], s[30:31]
	s_or_b64 exec, exec, s[16:17]
	v_mov_b32_e32 v3, s29
	s_and_saveexec_b64 s[16:17], s[10:11]
	s_cbranch_execz .LBB25_60
.LBB25_194:                             ;   in Loop: Header=BB25_65 Depth=1
	v_lshrrev_b32_e32 v3, 24, v5
	v_and_or_b32 v3, v3, s27, v7
	s_branch .LBB25_60
.LBB25_195:
	s_endpgm
.LBB25_196:
                                        ; implicit-def: $vgpr4_vgpr5
	s_andn2_b64 vcc, exec, s[26:27]
	s_cbranch_vccz .LBB25_53
	s_branch .LBB25_54
.LBB25_197:
                                        ; implicit-def: $vgpr2_vgpr3
	s_andn2_b64 vcc, exec, s[22:23]
	s_cbranch_vccz .LBB25_58
	s_branch .LBB25_59
	.section	.rodata,"a",@progbits
	.p2align	6, 0x0
	.amdhsa_kernel _ZN4vllm31rms_norm_per_block_quant_kernelIfN3c1015Float8_e4m3fnuzELb0ELb1ELi128EEEvPT0_PfPKT_S8_PKffiiPS6_l
		.amdhsa_group_segment_fixed_size 4164
		.amdhsa_private_segment_fixed_size 0
		.amdhsa_kernarg_size 328
		.amdhsa_user_sgpr_count 6
		.amdhsa_user_sgpr_private_segment_buffer 1
		.amdhsa_user_sgpr_dispatch_ptr 0
		.amdhsa_user_sgpr_queue_ptr 0
		.amdhsa_user_sgpr_kernarg_segment_ptr 1
		.amdhsa_user_sgpr_dispatch_id 0
		.amdhsa_user_sgpr_flat_scratch_init 0
		.amdhsa_user_sgpr_kernarg_preload_length 0
		.amdhsa_user_sgpr_kernarg_preload_offset 0
		.amdhsa_user_sgpr_private_segment_size 0
		.amdhsa_uses_dynamic_stack 0
		.amdhsa_system_sgpr_private_segment_wavefront_offset 0
		.amdhsa_system_sgpr_workgroup_id_x 1
		.amdhsa_system_sgpr_workgroup_id_y 0
		.amdhsa_system_sgpr_workgroup_id_z 0
		.amdhsa_system_sgpr_workgroup_info 0
		.amdhsa_system_vgpr_workitem_id 0
		.amdhsa_next_free_vgpr 40
		.amdhsa_next_free_sgpr 47
		.amdhsa_accum_offset 40
		.amdhsa_reserve_vcc 1
		.amdhsa_reserve_flat_scratch 0
		.amdhsa_float_round_mode_32 0
		.amdhsa_float_round_mode_16_64 0
		.amdhsa_float_denorm_mode_32 3
		.amdhsa_float_denorm_mode_16_64 3
		.amdhsa_dx10_clamp 1
		.amdhsa_ieee_mode 1
		.amdhsa_fp16_overflow 0
		.amdhsa_tg_split 0
		.amdhsa_exception_fp_ieee_invalid_op 0
		.amdhsa_exception_fp_denorm_src 0
		.amdhsa_exception_fp_ieee_div_zero 0
		.amdhsa_exception_fp_ieee_overflow 0
		.amdhsa_exception_fp_ieee_underflow 0
		.amdhsa_exception_fp_ieee_inexact 0
		.amdhsa_exception_int_div_zero 0
	.end_amdhsa_kernel
	.section	.text._ZN4vllm31rms_norm_per_block_quant_kernelIfN3c1015Float8_e4m3fnuzELb0ELb1ELi128EEEvPT0_PfPKT_S8_PKffiiPS6_l,"axG",@progbits,_ZN4vllm31rms_norm_per_block_quant_kernelIfN3c1015Float8_e4m3fnuzELb0ELb1ELi128EEEvPT0_PfPKT_S8_PKffiiPS6_l,comdat
.Lfunc_end25:
	.size	_ZN4vllm31rms_norm_per_block_quant_kernelIfN3c1015Float8_e4m3fnuzELb0ELb1ELi128EEEvPT0_PfPKT_S8_PKffiiPS6_l, .Lfunc_end25-_ZN4vllm31rms_norm_per_block_quant_kernelIfN3c1015Float8_e4m3fnuzELb0ELb1ELi128EEEvPT0_PfPKT_S8_PKffiiPS6_l
                                        ; -- End function
	.section	.AMDGPU.csdata,"",@progbits
; Kernel info:
; codeLenInByte = 10684
; NumSgprs: 51
; NumVgprs: 40
; NumAgprs: 0
; TotalNumVgprs: 40
; ScratchSize: 0
; MemoryBound: 0
; FloatMode: 240
; IeeeMode: 1
; LDSByteSize: 4164 bytes/workgroup (compile time only)
; SGPRBlocks: 6
; VGPRBlocks: 4
; NumSGPRsForWavesPerEU: 51
; NumVGPRsForWavesPerEU: 40
; AccumOffset: 40
; Occupancy: 8
; WaveLimiterHint : 0
; COMPUTE_PGM_RSRC2:SCRATCH_EN: 0
; COMPUTE_PGM_RSRC2:USER_SGPR: 6
; COMPUTE_PGM_RSRC2:TRAP_HANDLER: 0
; COMPUTE_PGM_RSRC2:TGID_X_EN: 1
; COMPUTE_PGM_RSRC2:TGID_Y_EN: 0
; COMPUTE_PGM_RSRC2:TGID_Z_EN: 0
; COMPUTE_PGM_RSRC2:TIDIG_COMP_CNT: 0
; COMPUTE_PGM_RSRC3_GFX90A:ACCUM_OFFSET: 9
; COMPUTE_PGM_RSRC3_GFX90A:TG_SPLIT: 0
	.section	.text._ZN4vllm31rms_norm_per_block_quant_kernelIfaLb0ELb1ELi128EEEvPT0_PfPKT_S6_PKffiiPS4_l,"axG",@progbits,_ZN4vllm31rms_norm_per_block_quant_kernelIfaLb0ELb1ELi128EEEvPT0_PfPKT_S6_PKffiiPS4_l,comdat
	.protected	_ZN4vllm31rms_norm_per_block_quant_kernelIfaLb0ELb1ELi128EEEvPT0_PfPKT_S6_PKffiiPS4_l ; -- Begin function _ZN4vllm31rms_norm_per_block_quant_kernelIfaLb0ELb1ELi128EEEvPT0_PfPKT_S6_PKffiiPS4_l
	.globl	_ZN4vllm31rms_norm_per_block_quant_kernelIfaLb0ELb1ELi128EEEvPT0_PfPKT_S6_PKffiiPS4_l
	.p2align	8
	.type	_ZN4vllm31rms_norm_per_block_quant_kernelIfaLb0ELb1ELi128EEEvPT0_PfPKT_S6_PKffiiPS4_l,@function
_ZN4vllm31rms_norm_per_block_quant_kernelIfaLb0ELb1ELi128EEEvPT0_PfPKT_S6_PKffiiPS4_l: ; @_ZN4vllm31rms_norm_per_block_quant_kernelIfaLb0ELb1ELi128EEEvPT0_PfPKT_S6_PKffiiPS4_l
; %bb.0:
	s_load_dwordx4 s[16:19], s[4:5], 0x28
	s_load_dwordx8 s[8:15], s[4:5], 0x0
	s_load_dword s46, s[4:5], 0x48
	s_mov_b32 s7, 0
	v_mov_b32_e32 v1, 0
	s_waitcnt lgkmcnt(0)
	s_ashr_i32 s0, s18, 31
	s_mul_hi_u32 s1, s18, s6
	s_mul_i32 s0, s0, s6
	s_add_i32 s1, s1, s0
	s_mul_i32 s0, s18, s6
	s_lshl_b64 s[0:1], s[0:1], 2
	s_add_u32 s33, s12, s0
	s_addc_u32 s44, s13, s1
	s_ashr_i32 s12, s17, 2
	s_add_u32 s18, s4, 0x48
	s_mov_b32 s20, s17
	v_cmp_gt_u32_e64 s[0:1], s12, v0
	s_addc_u32 s19, s5, 0
	s_and_saveexec_b64 s[2:3], s[0:1]
	s_cbranch_execz .LBB26_10
; %bb.1:
	s_cmp_lt_u32 s6, s46
	s_cselect_b32 s13, 12, 18
	s_add_u32 s22, s18, s13
	s_addc_u32 s23, s19, 0
	v_mov_b32_e32 v3, 0
	global_load_ushort v8, v3, s[22:23]
	s_mov_b64 s[22:23], 0
	v_mov_b32_e32 v9, s44
	v_mov_b32_e32 v2, v0
                                        ; implicit-def: $sgpr24_sgpr25
	s_waitcnt vmcnt(0)
	v_add_u32_e32 v1, v8, v8
	v_mul_lo_u32 v10, v8, 3
	v_lshlrev_b32_e32 v11, 1, v8
	v_add_u32_e32 v12, v1, v8
	v_mov_b32_e32 v1, v3
	s_branch .LBB26_5
.LBB26_2:                               ;   in Loop: Header=BB26_5 Depth=1
	s_or_b64 exec, exec, s[30:31]
	s_orn2_b64 s[30:31], s[34:35], exec
.LBB26_3:                               ;   in Loop: Header=BB26_5 Depth=1
	s_or_b64 exec, exec, s[28:29]
	s_andn2_b64 s[24:25], s[24:25], exec
	s_and_b64 s[28:29], s[30:31], exec
	s_or_b64 s[24:25], s[24:25], s[28:29]
.LBB26_4:                               ;   in Loop: Header=BB26_5 Depth=1
	s_or_b64 exec, exec, s[26:27]
	s_and_b64 s[26:27], exec, s[24:25]
	s_or_b64 s[22:23], s[26:27], s[22:23]
	s_andn2_b64 exec, exec, s[22:23]
	s_cbranch_execz .LBB26_9
.LBB26_5:                               ; =>This Inner Loop Header: Depth=1
	v_lshlrev_b64 v[4:5], 4, v[2:3]
	v_add_co_u32_e32 v4, vcc, s33, v4
	v_addc_co_u32_e32 v5, vcc, v9, v5, vcc
	global_load_dwordx4 v[14:17], v[4:5], off
	v_add_u32_e32 v4, v2, v8
	v_cmp_gt_u32_e32 vcc, s12, v4
	s_or_b64 s[24:25], s[24:25], exec
	s_waitcnt vmcnt(0)
	v_fmac_f32_e32 v1, v14, v14
	v_fmac_f32_e32 v1, v15, v15
	;; [unrolled: 1-line block ×4, first 2 shown]
	s_and_saveexec_b64 s[26:27], vcc
	s_cbranch_execz .LBB26_4
; %bb.6:                                ;   in Loop: Header=BB26_5 Depth=1
	v_mov_b32_e32 v5, v3
	v_lshlrev_b64 v[6:7], 4, v[4:5]
	v_add_co_u32_e32 v6, vcc, s33, v6
	v_addc_co_u32_e32 v7, vcc, v9, v7, vcc
	global_load_dwordx4 v[14:17], v[6:7], off
	v_add_u32_e32 v6, v11, v2
	v_cmp_gt_u32_e32 vcc, s12, v6
	s_mov_b64 s[30:31], -1
	s_waitcnt vmcnt(0)
	v_fmac_f32_e32 v1, v14, v14
	v_fmac_f32_e32 v1, v15, v15
	;; [unrolled: 1-line block ×4, first 2 shown]
	s_and_saveexec_b64 s[28:29], vcc
	s_cbranch_execz .LBB26_3
; %bb.7:                                ;   in Loop: Header=BB26_5 Depth=1
	v_mov_b32_e32 v7, v3
	v_lshlrev_b64 v[6:7], 4, v[6:7]
	v_add_co_u32_e32 v6, vcc, s33, v6
	v_addc_co_u32_e32 v7, vcc, v9, v7, vcc
	global_load_dwordx4 v[14:17], v[6:7], off
	v_add_u32_e32 v2, v10, v2
	v_cmp_gt_u32_e32 vcc, s12, v2
	s_mov_b64 s[34:35], -1
	s_waitcnt vmcnt(0)
	v_fmac_f32_e32 v1, v14, v14
	v_fmac_f32_e32 v1, v15, v15
	;; [unrolled: 1-line block ×4, first 2 shown]
	s_and_saveexec_b64 s[30:31], vcc
	s_xor_b64 s[30:31], exec, s[30:31]
	s_cbranch_execz .LBB26_2
; %bb.8:                                ;   in Loop: Header=BB26_5 Depth=1
	v_lshlrev_b64 v[6:7], 4, v[2:3]
	v_add_co_u32_e32 v6, vcc, s33, v6
	v_addc_co_u32_e32 v7, vcc, v9, v7, vcc
	global_load_dwordx4 v[14:17], v[6:7], off
	v_add_u32_e32 v2, v12, v4
	v_cmp_le_u32_e32 vcc, s12, v2
	s_orn2_b64 s[34:35], vcc, exec
	s_waitcnt vmcnt(0)
	v_fmac_f32_e32 v1, v14, v14
	v_fmac_f32_e32 v1, v15, v15
	;; [unrolled: 1-line block ×4, first 2 shown]
	s_branch .LBB26_2
.LBB26_9:
	s_or_b64 exec, exec, s[22:23]
.LBB26_10:
	s_or_b64 exec, exec, s[2:3]
	v_mbcnt_lo_u32_b32 v2, -1, 0
	v_mbcnt_hi_u32_b32 v2, -1, v2
	v_and_b32_e32 v3, 63, v2
	v_cmp_ne_u32_e32 vcc, 63, v3
	s_load_dword s2, s[18:19], 0xc
	v_addc_co_u32_e32 v4, vcc, 0, v2, vcc
	v_lshlrev_b32_e32 v4, 2, v4
	ds_bpermute_b32 v4, v4, v1
	s_waitcnt lgkmcnt(0)
	s_and_b32 s13, s2, 0xffff
	v_and_b32_e32 v5, 0x3c0, v0
	v_sub_u32_e64 v5, s13, v5 clamp
	v_add_u32_e32 v6, 1, v2
	v_add_f32_e32 v4, v1, v4
	v_cmp_lt_u32_e32 vcc, v6, v5
	v_cndmask_b32_e32 v1, v1, v4, vcc
	v_cmp_gt_u32_e32 vcc, 62, v3
	v_cndmask_b32_e64 v4, 0, 1, vcc
	v_lshlrev_b32_e32 v4, 1, v4
	v_add_lshl_u32 v4, v4, v2, 2
	ds_bpermute_b32 v4, v4, v1
	v_add_u32_e32 v6, 2, v2
	v_cmp_lt_u32_e32 vcc, v6, v5
	v_add_u32_e32 v6, 4, v2
	s_waitcnt lgkmcnt(0)
	v_add_f32_e32 v4, v1, v4
	v_cndmask_b32_e32 v1, v1, v4, vcc
	v_cmp_gt_u32_e32 vcc, 60, v3
	v_cndmask_b32_e64 v4, 0, 1, vcc
	v_lshlrev_b32_e32 v4, 2, v4
	v_add_lshl_u32 v4, v4, v2, 2
	ds_bpermute_b32 v4, v4, v1
	v_cmp_lt_u32_e32 vcc, v6, v5
	v_add_u32_e32 v6, 8, v2
	s_waitcnt lgkmcnt(0)
	v_add_f32_e32 v4, v1, v4
	v_cndmask_b32_e32 v1, v1, v4, vcc
	v_cmp_gt_u32_e32 vcc, 56, v3
	v_cndmask_b32_e64 v4, 0, 1, vcc
	v_lshlrev_b32_e32 v4, 3, v4
	v_add_lshl_u32 v4, v4, v2, 2
	ds_bpermute_b32 v4, v4, v1
	;; [unrolled: 10-line block ×3, first 2 shown]
	v_cmp_lt_u32_e32 vcc, v6, v5
	s_waitcnt lgkmcnt(0)
	v_add_f32_e32 v4, v1, v4
	v_cndmask_b32_e32 v1, v1, v4, vcc
	v_cmp_gt_u32_e32 vcc, 32, v3
	v_cndmask_b32_e64 v3, 0, 1, vcc
	v_lshlrev_b32_e32 v3, 5, v3
	v_add_lshl_u32 v3, v3, v2, 2
	ds_bpermute_b32 v3, v3, v1
	v_add_u32_e32 v4, 32, v2
	v_cmp_lt_u32_e32 vcc, v4, v5
	s_waitcnt lgkmcnt(0)
	v_add_f32_e32 v3, v1, v3
	v_cndmask_b32_e32 v1, v1, v3, vcc
	v_cmp_eq_u32_e32 vcc, 0, v2
	s_and_saveexec_b64 s[2:3], vcc
	s_cbranch_execz .LBB26_12
; %bb.11:
	v_lshrrev_b32_e32 v3, 4, v0
	v_and_b32_e32 v3, 60, v3
	ds_write_b32 v3, v1 offset:4096
.LBB26_12:
	s_or_b64 exec, exec, s[2:3]
	v_cmp_gt_u32_e32 vcc, 16, v0
	s_waitcnt lgkmcnt(0)
	s_barrier
	s_and_saveexec_b64 s[22:23], vcc
	s_cbranch_execz .LBB26_14
; %bb.13:
	v_lshlrev_b32_e32 v1, 2, v2
	ds_read_b32 v1, v1 offset:4096
	v_and_b32_e32 v3, 15, v2
	v_cmp_ne_u32_e32 vcc, 15, v3
	v_addc_co_u32_e32 v4, vcc, 0, v2, vcc
	v_lshlrev_b32_e32 v4, 2, v4
	s_waitcnt lgkmcnt(0)
	ds_bpermute_b32 v4, v4, v1
	s_add_i32 s13, s13, 63
	s_lshr_b32 s13, s13, 6
	v_add_u32_e32 v5, 1, v3
	v_cmp_gt_u32_e64 s[2:3], 14, v3
	v_cmp_gt_u32_e32 vcc, s13, v5
	v_cndmask_b32_e64 v5, 0, 1, s[2:3]
	s_waitcnt lgkmcnt(0)
	v_add_f32_e32 v4, v1, v4
	v_lshlrev_b32_e32 v5, 1, v5
	v_cndmask_b32_e32 v4, v1, v4, vcc
	v_add_lshl_u32 v5, v5, v2, 2
	ds_bpermute_b32 v5, v5, v4
	v_add_u32_e32 v6, 2, v3
	v_cmp_gt_u32_e64 s[2:3], s13, v6
	v_add_u32_e32 v6, 4, v3
	s_waitcnt lgkmcnt(0)
	v_add_f32_e32 v5, v4, v5
	v_cndmask_b32_e64 v4, v4, v5, s[2:3]
	v_cmp_gt_u32_e64 s[2:3], 12, v3
	v_cndmask_b32_e64 v5, 0, 1, s[2:3]
	v_lshlrev_b32_e32 v5, 2, v5
	v_add_lshl_u32 v5, v5, v2, 2
	ds_bpermute_b32 v5, v5, v4
	v_cmp_gt_u32_e64 s[2:3], s13, v6
	s_waitcnt lgkmcnt(0)
	v_add_f32_e32 v5, v4, v5
	v_cndmask_b32_e64 v4, v4, v5, s[2:3]
	v_cmp_gt_u32_e64 s[2:3], 8, v3
	v_cndmask_b32_e64 v5, 0, 1, s[2:3]
	v_lshlrev_b32_e32 v5, 3, v5
	v_add_lshl_u32 v2, v5, v2, 2
	ds_bpermute_b32 v2, v2, v4
	v_add_u32_e32 v3, 8, v3
	v_cmp_gt_u32_e64 s[2:3], s13, v3
	s_waitcnt lgkmcnt(0)
	v_add_f32_e32 v2, v4, v2
	v_cndmask_b32_e64 v2, v4, v2, s[2:3]
	v_cndmask_b32_e32 v1, v1, v2, vcc
.LBB26_14:
	s_or_b64 exec, exec, s[22:23]
	v_cmp_eq_u32_e32 vcc, 0, v0
	s_and_saveexec_b64 s[2:3], vcc
	s_cbranch_execz .LBB26_16
; %bb.15:
	v_cvt_f32_i32_e32 v2, s17
	s_mov_b32 s13, 0x800000
	v_div_scale_f32 v3, s[22:23], v2, v2, v1
	v_rcp_f32_e32 v4, v3
	v_div_scale_f32 v5, vcc, v1, v2, v1
	v_fma_f32 v6, -v3, v4, 1.0
	v_fmac_f32_e32 v4, v6, v4
	v_mul_f32_e32 v6, v5, v4
	v_fma_f32 v7, -v3, v6, v5
	v_fmac_f32_e32 v6, v7, v4
	v_fma_f32 v3, -v3, v6, v5
	v_div_fmas_f32 v3, v3, v4, v6
	v_div_fixup_f32 v1, v3, v2, v1
	v_add_f32_e32 v1, s16, v1
	v_mul_f32_e32 v2, 0x4b800000, v1
	v_cmp_gt_f32_e32 vcc, s13, v1
	v_cndmask_b32_e32 v1, v1, v2, vcc
	v_rsq_f32_e32 v1, v1
	v_mul_f32_e32 v2, 0x45800000, v1
	v_cndmask_b32_e32 v1, v1, v2, vcc
	v_mov_b32_e32 v2, 0
	ds_write_b32 v2, v1 offset:4160
.LBB26_16:
	s_or_b64 exec, exec, s[2:3]
	s_ashr_i32 s21, s17, 31
	s_lshr_b32 s2, s21, 25
	s_add_i32 s3, s17, s2
	s_ashr_i32 s2, s3, 7
	s_cmp_lt_u32 s6, s46
	s_cselect_b32 s13, 12, 18
	s_add_u32 s18, s18, s13
	v_mov_b32_e32 v7, 0
	s_addc_u32 s19, s19, 0
	s_waitcnt lgkmcnt(0)
	s_barrier
	global_load_ushort v1, v7, s[18:19]
	s_abs_i32 s13, s2
	v_cvt_f32_u32_e32 v2, s13
	s_sub_i32 s16, 0, s13
	s_ashr_i32 s3, s3, 31
	v_mov_b32_e32 v3, s12
	v_rcp_iflag_f32_e32 v2, v2
	v_mul_f32_e32 v2, 0x4f7ffffe, v2
	v_cvt_u32_f32_e32 v2, v2
	v_readfirstlane_b32 s18, v2
	s_mul_i32 s16, s16, s18
	s_mul_hi_u32 s16, s18, s16
	s_add_i32 s18, s18, s16
	ds_read_b32 v2, v7 offset:4160
	s_waitcnt vmcnt(0)
	v_readfirstlane_b32 s45, v1
	s_mul_hi_u32 s16, s45, s18
	s_mul_i32 s18, s16, s13
	s_sub_i32 s18, s45, s18
	s_add_i32 s19, s16, 1
	s_sub_i32 s22, s18, s13
	s_cmp_ge_u32 s18, s13
	s_cselect_b32 s16, s19, s16
	s_cselect_b32 s18, s22, s18
	s_add_i32 s19, s16, 1
	s_cmp_ge_u32 s18, s13
	s_cselect_b32 s13, s19, s16
	s_xor_b32 s13, s13, s3
	s_sub_i32 s18, s13, s3
	s_abs_i32 s3, s18
	v_cvt_f32_u32_e32 v1, s3
	s_sub_i32 s16, 0, s3
	s_ashr_i32 s19, s18, 31
	s_ashr_i32 s13, s12, 31
	v_rcp_iflag_f32_e32 v1, v1
	v_mov_b32_e32 v12, s13
	v_mul_f32_e32 v1, 0x4f7ffffe, v1
	v_cvt_u32_f32_e32 v1, v1
	v_mul_lo_u32 v4, s16, v1
	v_mul_hi_u32 v4, v1, v4
	v_add_u32_e32 v1, v1, v4
	v_mul_hi_u32 v1, v0, v1
	v_mul_lo_u32 v4, v1, s3
	v_sub_u32_e32 v4, v0, v4
	v_add_u32_e32 v5, 1, v1
	v_cmp_le_u32_e32 vcc, s3, v4
	v_cndmask_b32_e32 v1, v1, v5, vcc
	v_subrev_u32_e32 v5, s3, v4
	v_cndmask_b32_e32 v4, v4, v5, vcc
	v_add_u32_e32 v5, 1, v1
	v_cmp_le_u32_e32 vcc, s3, v4
	v_cndmask_b32_e32 v1, v1, v5, vcc
	v_xor_b32_e32 v1, s19, v1
	v_subrev_u32_e32 v4, s19, v1
	v_mul_lo_u32 v1, v4, s18
	v_ashrrev_i32_e32 v5, 31, v4
	v_sub_u32_e32 v6, v0, v1
	v_lshlrev_b64 v[10:11], 5, v[4:5]
	v_add_co_u32_e32 v8, vcc, v10, v6
	v_addc_co_u32_e32 v9, vcc, 0, v11, vcc
	v_add_co_u32_e32 v10, vcc, 32, v10
	v_addc_co_u32_e32 v11, vcc, 0, v11, vcc
	v_cmp_gt_i64_e32 vcc, s[12:13], v[10:11]
	v_cndmask_b32_e32 v10, v3, v10, vcc
	v_cndmask_b32_e32 v11, v12, v11, vcc
	v_ashrrev_i32_e32 v13, 31, v10
	v_mov_b32_e32 v12, v10
	v_cmp_lt_i64_e32 vcc, v[8:9], v[12:13]
	s_and_saveexec_b64 s[22:23], vcc
	s_cbranch_execz .LBB26_26
; %bb.17:
	v_lshlrev_b64 v[14:15], 9, v[4:5]
	v_lshlrev_b64 v[16:17], 4, v[6:7]
	v_add_co_u32_e32 v14, vcc, v14, v16
	v_addc_co_u32_e32 v1, vcc, v15, v17, vcc
	s_lshl_b64 s[24:25], s[18:19], 6
	s_mul_hi_i32 s3, s18, 3
	s_mul_i32 s13, s18, 3
	s_lshl_b64 s[26:27], s[18:19], 1
	s_lshl_b64 s[30:31], s[18:19], 4
	s_mov_b64 s[28:29], 0
	v_mov_b32_e32 v7, 0
	v_mov_b32_e32 v3, s44
	;; [unrolled: 1-line block ×4, first 2 shown]
	v_pk_mov_b32 v[16:17], v[8:9], v[8:9] op_sel:[0,1]
                                        ; implicit-def: $sgpr34_sgpr35
	s_branch .LBB26_21
.LBB26_18:                              ;   in Loop: Header=BB26_21 Depth=1
	s_or_b64 exec, exec, s[40:41]
	s_orn2_b64 s[40:41], s[42:43], exec
.LBB26_19:                              ;   in Loop: Header=BB26_21 Depth=1
	s_or_b64 exec, exec, s[38:39]
	s_andn2_b64 s[34:35], s[34:35], exec
	s_and_b64 s[38:39], s[40:41], exec
	s_or_b64 s[34:35], s[34:35], s[38:39]
.LBB26_20:                              ;   in Loop: Header=BB26_21 Depth=1
	s_or_b64 exec, exec, s[36:37]
	s_and_b64 s[36:37], exec, s[34:35]
	s_or_b64 s[28:29], s[36:37], s[28:29]
	s_andn2_b64 exec, exec, s[28:29]
	s_cbranch_execz .LBB26_25
.LBB26_21:                              ; =>This Inner Loop Header: Depth=1
	v_add_co_u32_e32 v20, vcc, s33, v14
	v_addc_co_u32_e32 v21, vcc, v3, v1, vcc
	v_add_co_u32_e32 v22, vcc, s14, v14
	global_load_dwordx4 v[26:29], v[20:21], off
	v_addc_co_u32_e32 v23, vcc, v15, v1, vcc
	global_load_dwordx4 v[30:33], v[22:23], off
	v_add_co_u32_e32 v18, vcc, s18, v16
	v_addc_co_u32_e32 v19, vcc, v17, v24, vcc
	v_cmp_lt_i64_e32 vcc, v[18:19], v[12:13]
	s_or_b64 s[34:35], s[34:35], exec
	s_waitcnt vmcnt(1) lgkmcnt(0)
	v_mul_f32_e32 v25, v2, v26
	v_mul_f32_e32 v26, v2, v27
	;; [unrolled: 1-line block ×4, first 2 shown]
	s_waitcnt vmcnt(0)
	v_mul_f32_e32 v25, v25, v30
	v_mul_f32_e32 v26, v26, v31
	;; [unrolled: 1-line block ×4, first 2 shown]
	v_max3_f32 v7, v7, |v25|, |v26|
	v_max3_f32 v7, v7, |v27|, |v28|
	s_and_saveexec_b64 s[36:37], vcc
	s_cbranch_execz .LBB26_20
; %bb.22:                               ;   in Loop: Header=BB26_21 Depth=1
	v_mov_b32_e32 v25, s31
	v_add_co_u32_e32 v20, vcc, s30, v20
	v_addc_co_u32_e32 v21, vcc, v21, v25, vcc
	v_add_co_u32_e32 v22, vcc, s30, v22
	global_load_dwordx4 v[26:29], v[20:21], off
	v_addc_co_u32_e32 v23, vcc, v23, v25, vcc
	global_load_dwordx4 v[30:33], v[22:23], off
	v_mov_b32_e32 v25, s27
	v_add_co_u32_e32 v34, vcc, s26, v16
	v_addc_co_u32_e32 v35, vcc, v25, v17, vcc
	v_cmp_lt_i64_e32 vcc, v[34:35], v[12:13]
	s_mov_b64 s[40:41], -1
	s_waitcnt vmcnt(1)
	v_mul_f32_e32 v25, v2, v26
	v_mul_f32_e32 v26, v2, v27
	;; [unrolled: 1-line block ×4, first 2 shown]
	s_waitcnt vmcnt(0)
	v_mul_f32_e32 v25, v25, v30
	v_mul_f32_e32 v26, v26, v31
	;; [unrolled: 1-line block ×4, first 2 shown]
	v_max3_f32 v7, v7, |v25|, |v26|
	v_max3_f32 v7, v7, |v27|, |v28|
	s_and_saveexec_b64 s[38:39], vcc
	s_cbranch_execz .LBB26_19
; %bb.23:                               ;   in Loop: Header=BB26_21 Depth=1
	v_mov_b32_e32 v25, s31
	v_add_co_u32_e32 v20, vcc, s30, v20
	v_addc_co_u32_e32 v21, vcc, v21, v25, vcc
	v_add_co_u32_e32 v22, vcc, s30, v22
	global_load_dwordx4 v[26:29], v[20:21], off
	v_addc_co_u32_e32 v23, vcc, v23, v25, vcc
	global_load_dwordx4 v[30:33], v[22:23], off
	v_mov_b32_e32 v25, s3
	v_add_co_u32_e32 v16, vcc, s13, v16
	v_addc_co_u32_e32 v17, vcc, v25, v17, vcc
	v_cmp_lt_i64_e32 vcc, v[16:17], v[12:13]
	s_mov_b64 s[42:43], -1
	s_waitcnt vmcnt(1)
	v_mul_f32_e32 v16, v2, v26
	v_mul_f32_e32 v17, v2, v27
	;; [unrolled: 1-line block ×4, first 2 shown]
	s_waitcnt vmcnt(0)
	v_mul_f32_e32 v16, v16, v30
	v_mul_f32_e32 v17, v17, v31
	;; [unrolled: 1-line block ×4, first 2 shown]
	v_max3_f32 v7, v7, |v16|, |v17|
	v_max3_f32 v7, v7, |v25|, |v26|
                                        ; implicit-def: $vgpr16_vgpr17
	s_and_saveexec_b64 s[40:41], vcc
	s_xor_b64 s[40:41], exec, s[40:41]
	s_cbranch_execz .LBB26_18
; %bb.24:                               ;   in Loop: Header=BB26_21 Depth=1
	v_mov_b32_e32 v25, s31
	v_add_co_u32_e32 v16, vcc, s30, v20
	v_addc_co_u32_e32 v17, vcc, v21, v25, vcc
	global_load_dwordx4 v[26:29], v[16:17], off
	v_add_co_u32_e32 v16, vcc, s30, v22
	v_addc_co_u32_e32 v17, vcc, v23, v25, vcc
	global_load_dwordx4 v[20:23], v[16:17], off
	s_add_u32 s16, s18, s18
	s_addc_u32 s42, s19, s19
	v_mov_b32_e32 v16, s25
	v_add_co_u32_e32 v14, vcc, s24, v14
	s_add_u32 s16, s16, s18
	v_addc_co_u32_e32 v1, vcc, v1, v16, vcc
	s_addc_u32 s42, s42, s19
	v_mov_b32_e32 v17, s42
	v_add_co_u32_e32 v16, vcc, s16, v18
	v_addc_co_u32_e32 v17, vcc, v17, v19, vcc
	v_cmp_ge_i64_e32 vcc, v[16:17], v[12:13]
	s_orn2_b64 s[42:43], vcc, exec
	s_waitcnt vmcnt(1)
	v_mul_f32_e32 v18, v2, v26
	v_mul_f32_e32 v19, v2, v27
	v_mul_f32_e32 v25, v2, v28
	v_mul_f32_e32 v26, v2, v29
	s_waitcnt vmcnt(0)
	v_mul_f32_e32 v18, v18, v20
	v_mul_f32_e32 v19, v19, v21
	;; [unrolled: 1-line block ×4, first 2 shown]
	v_max3_f32 v7, v7, |v18|, |v19|
	v_max3_f32 v7, v7, |v20|, |v21|
	s_branch .LBB26_18
.LBB26_25:
	s_or_b64 exec, exec, s[28:29]
.LBB26_26:
	s_or_b64 exec, exec, s[22:23]
	s_lshr_b32 s13, s45, 6
	v_cvt_f32_u32_e32 v3, s13
	s_sub_i32 s22, 0, s13
	s_add_i32 s3, s2, s13
	s_add_i32 s3, s3, -1
	v_rcp_iflag_f32_e32 v3, v3
	s_ashr_i32 s16, s3, 31
	s_abs_i32 s3, s3
	v_lshlrev_b32_e32 v1, 2, v0
	v_mul_f32_e32 v3, 0x4f7ffffe, v3
	v_cvt_u32_f32_e32 v3, v3
	ds_write_b32 v1, v7
	s_waitcnt lgkmcnt(0)
	s_barrier
	v_readfirstlane_b32 s23, v3
	s_mul_i32 s22, s22, s23
	s_mul_hi_u32 s22, s23, s22
	s_add_i32 s23, s23, s22
	s_mul_hi_u32 s22, s3, s23
	s_mul_i32 s23, s22, s13
	s_sub_i32 s3, s3, s23
	s_add_i32 s23, s22, 1
	s_sub_i32 s24, s3, s13
	s_cmp_ge_u32 s3, s13
	s_cselect_b32 s22, s23, s22
	s_cselect_b32 s3, s24, s3
	s_add_i32 s23, s22, 1
	s_cmp_ge_u32 s3, s13
	s_cselect_b32 s3, s23, s22
	s_xor_b32 s3, s3, s16
	s_sub_i32 s22, s3, s16
	s_ashr_i32 s23, s22, 31
	v_cmp_lt_i64_e64 s[24:25], s[22:23], 1
	s_and_b64 vcc, exec, s[24:25]
	s_cbranch_vccnz .LBB26_48
; %bb.27:
	v_and_b32_e32 v14, 63, v0
	v_add_co_u32_e32 v16, vcc, 32, v14
	v_addc_co_u32_e64 v17, s[24:25], 0, 0, vcc
	v_add_co_u32_e32 v18, vcc, 16, v14
	v_addc_co_u32_e64 v19, s[24:25], 0, 0, vcc
	v_add_co_u32_e32 v20, vcc, 8, v14
	v_lshrrev_b32_e32 v12, 6, v0
	v_addc_co_u32_e64 v21, s[24:25], 0, 0, vcc
	v_add_co_u32_e32 v22, vcc, 4, v14
	v_addc_co_u32_e64 v23, s[24:25], 0, 0, vcc
	v_add_co_u32_e32 v24, vcc, 2, v14
	v_mul_lo_u32 v3, s18, v12
	v_addc_co_u32_e64 v25, s[24:25], 0, 0, vcc
	v_add_co_u32_e32 v26, vcc, 1, v14
	v_lshlrev_b32_e32 v3, 2, v3
	v_lshlrev_b32_e32 v7, 2, v14
	s_movk_i32 s16, 0x100
	v_mov_b32_e32 v13, 0
	v_addc_co_u32_e64 v27, s[24:25], 0, 0, vcc
	v_add3_u32 v3, v3, v7, s16
	s_mul_i32 s16, s18, s13
	s_ashr_i32 s3, s2, 31
	v_mov_b32_e32 v15, v13
	s_lshl_b32 s16, s16, 2
	s_mov_b64 s[24:25], 0
	v_mov_b32_e32 v7, s13
	s_mov_b64 s[26:27], src_shared_base
	s_branch .LBB26_30
.LBB26_28:                              ;   in Loop: Header=BB26_30 Depth=1
	s_or_b64 exec, exec, s[30:31]
	v_mov_b32_e32 v29, s27
	flat_load_dword v28, v[28:29] glc
	s_waitcnt vmcnt(0)
.LBB26_29:                              ;   in Loop: Header=BB26_30 Depth=1
	s_or_b64 exec, exec, s[28:29]
	s_add_u32 s24, s24, 1
	s_addc_u32 s25, s25, 0
	s_cmp_eq_u64 s[24:25], s[22:23]
	v_add_u32_e32 v3, s16, v3
	s_cbranch_scc1 .LBB26_48
.LBB26_30:                              ; =>This Loop Header: Depth=1
                                        ;     Child Loop BB26_33 Depth 2
	v_mad_u64_u32 v[32:33], s[28:29], s24, v7, v[12:13]
	s_mul_i32 s26, s25, s13
	v_add_u32_e32 v33, s26, v33
	v_cmp_gt_i64_e32 vcc, s[2:3], v[32:33]
	s_and_saveexec_b64 s[28:29], vcc
	s_cbranch_execz .LBB26_29
; %bb.31:                               ;   in Loop: Header=BB26_30 Depth=1
	v_pk_mov_b32 v[34:35], s[18:19], s[18:19] op_sel:[0,1]
	v_mul_lo_u32 v31, v33, s18
	v_mul_lo_u32 v38, v32, s19
	v_mad_u64_u32 v[34:35], s[30:31], v32, s18, v[34:35]
	v_add3_u32 v35, v31, v35, v38
	v_mov_b32_e32 v30, s21
	v_cmp_gt_i64_e32 vcc, s[20:21], v[34:35]
	s_waitcnt lgkmcnt(0)
	v_mad_u64_u32 v[28:29], s[30:31], v32, s18, v[14:15]
	v_cndmask_b32_e32 v35, v30, v35, vcc
	v_mov_b32_e32 v30, s17
	v_add3_u32 v29, v31, v29, v38
	v_cndmask_b32_e32 v34, v30, v34, vcc
	v_add_co_u32_e32 v36, vcc, 64, v28
	v_addc_co_u32_e32 v37, vcc, 0, v29, vcc
	v_cmp_lt_i64_e32 vcc, v[36:37], v[34:35]
	v_lshlrev_b32_e32 v30, 2, v28
	s_and_saveexec_b64 s[30:31], vcc
	s_cbranch_execz .LBB26_34
; %bb.32:                               ;   in Loop: Header=BB26_30 Depth=1
	ds_read_b32 v33, v30
	s_mov_b64 s[34:35], 0
	v_mov_b32_e32 v29, v3
.LBB26_33:                              ;   Parent Loop BB26_30 Depth=1
                                        ; =>  This Inner Loop Header: Depth=2
	ds_read_b32 v39, v29
	v_add_co_u32_e32 v36, vcc, 64, v36
	v_addc_co_u32_e32 v37, vcc, 0, v37, vcc
	s_waitcnt lgkmcnt(1)
	v_max_f32_e32 v33, v33, v33
	v_cmp_ge_i64_e32 vcc, v[36:37], v[34:35]
	s_waitcnt lgkmcnt(0)
	v_max_f32_e32 v39, v39, v39
	v_add_u32_e32 v29, 0x100, v29
	s_or_b64 s[34:35], vcc, s[34:35]
	v_max_f32_e32 v33, v33, v39
	ds_write_b32 v30, v33
	s_andn2_b64 exec, exec, s[34:35]
	s_cbranch_execnz .LBB26_33
.LBB26_34:                              ;   in Loop: Header=BB26_30 Depth=1
	s_or_b64 exec, exec, s[30:31]
	v_mad_u64_u32 v[32:33], s[30:31], v32, s18, 0
	v_add3_u32 v29, v33, v38, v31
	v_sub_co_u32_e32 v32, vcc, v34, v32
	v_subb_co_u32_e32 v33, vcc, v35, v29, vcc
	v_cmp_gt_i64_e32 vcc, 64, v[32:33]
	v_cndmask_b32_e32 v33, 0, v33, vcc
	v_cndmask_b32_e32 v32, 64, v32, vcc
	v_cmp_lt_i64_e32 vcc, v[16:17], v[32:33]
	s_and_saveexec_b64 s[30:31], vcc
	s_cbranch_execnz .LBB26_46
; %bb.35:                               ;   in Loop: Header=BB26_30 Depth=1
	s_or_b64 exec, exec, s[30:31]
	v_cmp_lt_i64_e32 vcc, v[18:19], v[32:33]
	s_and_saveexec_b64 s[30:31], vcc
	s_cbranch_execnz .LBB26_47
.LBB26_36:                              ;   in Loop: Header=BB26_30 Depth=1
	s_or_b64 exec, exec, s[30:31]
	v_cmp_lt_i64_e32 vcc, v[20:21], v[32:33]
	s_and_saveexec_b64 s[30:31], vcc
	s_cbranch_execz .LBB26_38
.LBB26_37:                              ;   in Loop: Header=BB26_30 Depth=1
	v_mov_b32_e32 v31, s27
	v_add_u32_e32 v34, 32, v30
	v_mov_b32_e32 v35, s27
	flat_load_dword v29, v[30:31] glc
	s_waitcnt vmcnt(0)
	flat_load_dword v36, v[34:35] glc
	s_waitcnt vmcnt(0) lgkmcnt(0)
	v_max_f32_e32 v29, v29, v29
	v_max_f32_e32 v34, v36, v36
	;; [unrolled: 1-line block ×3, first 2 shown]
	flat_store_dword v[30:31], v29
	s_waitcnt vmcnt(0)
.LBB26_38:                              ;   in Loop: Header=BB26_30 Depth=1
	s_or_b64 exec, exec, s[30:31]
	v_cmp_ge_i64_e32 vcc, v[22:23], v[32:33]
	s_and_saveexec_b64 s[30:31], vcc
	s_xor_b64 s[30:31], exec, s[30:31]
; %bb.39:                               ;   in Loop: Header=BB26_30 Depth=1
                                        ; implicit-def: $vgpr30
; %bb.40:                               ;   in Loop: Header=BB26_30 Depth=1
	s_andn2_saveexec_b64 s[30:31], s[30:31]
	s_cbranch_execz .LBB26_42
; %bb.41:                               ;   in Loop: Header=BB26_30 Depth=1
	v_mov_b32_e32 v31, s27
	v_add_u32_e32 v34, 16, v30
	v_mov_b32_e32 v35, s27
	flat_load_dword v29, v[30:31] glc
	s_waitcnt vmcnt(0)
	flat_load_dword v36, v[34:35] glc
	s_waitcnt vmcnt(0) lgkmcnt(0)
	v_max_f32_e32 v29, v29, v29
	v_max_f32_e32 v34, v36, v36
	;; [unrolled: 1-line block ×3, first 2 shown]
	flat_store_dword v[30:31], v29
	s_waitcnt vmcnt(0)
.LBB26_42:                              ;   in Loop: Header=BB26_30 Depth=1
	s_or_b64 exec, exec, s[30:31]
	v_cmp_lt_i64_e32 vcc, v[24:25], v[32:33]
	v_lshlrev_b32_e32 v28, 2, v28
	s_and_saveexec_b64 s[30:31], vcc
	s_cbranch_execz .LBB26_44
; %bb.43:                               ;   in Loop: Header=BB26_30 Depth=1
	v_mov_b32_e32 v29, s27
	v_add_u32_e32 v30, 8, v28
	v_mov_b32_e32 v31, s27
	flat_load_dword v34, v[28:29] glc
	s_waitcnt vmcnt(0)
	flat_load_dword v35, v[30:31] glc
	s_waitcnt vmcnt(0) lgkmcnt(0)
	v_max_f32_e32 v30, v34, v34
	v_max_f32_e32 v31, v35, v35
	v_max_f32_e32 v30, v30, v31
	flat_store_dword v[28:29], v30
	s_waitcnt vmcnt(0)
.LBB26_44:                              ;   in Loop: Header=BB26_30 Depth=1
	s_or_b64 exec, exec, s[30:31]
	v_cmp_lt_i64_e32 vcc, v[26:27], v[32:33]
	s_and_saveexec_b64 s[30:31], vcc
	s_cbranch_execz .LBB26_28
; %bb.45:                               ;   in Loop: Header=BB26_30 Depth=1
	v_mov_b32_e32 v29, s27
	v_add_u32_e32 v30, 4, v28
	v_mov_b32_e32 v31, s27
	flat_load_dword v32, v[28:29] glc
	s_waitcnt vmcnt(0)
	flat_load_dword v33, v[30:31] glc
	s_waitcnt vmcnt(0) lgkmcnt(0)
	v_max_f32_e32 v30, v32, v32
	v_max_f32_e32 v31, v33, v33
	;; [unrolled: 1-line block ×3, first 2 shown]
	flat_store_dword v[28:29], v30
	s_waitcnt vmcnt(0)
	s_branch .LBB26_28
.LBB26_46:                              ;   in Loop: Header=BB26_30 Depth=1
	v_mov_b32_e32 v31, s27
	v_add_u32_e32 v34, 0x80, v30
	v_mov_b32_e32 v35, s27
	flat_load_dword v29, v[30:31] glc
	s_waitcnt vmcnt(0)
	flat_load_dword v36, v[34:35] glc
	s_waitcnt vmcnt(0) lgkmcnt(0)
	v_max_f32_e32 v29, v29, v29
	v_max_f32_e32 v34, v36, v36
	;; [unrolled: 1-line block ×3, first 2 shown]
	flat_store_dword v[30:31], v29
	s_waitcnt vmcnt(0)
	s_or_b64 exec, exec, s[30:31]
	v_cmp_lt_i64_e32 vcc, v[18:19], v[32:33]
	s_and_saveexec_b64 s[30:31], vcc
	s_cbranch_execz .LBB26_36
.LBB26_47:                              ;   in Loop: Header=BB26_30 Depth=1
	v_mov_b32_e32 v31, s27
	v_add_u32_e32 v34, 64, v30
	v_mov_b32_e32 v35, s27
	flat_load_dword v29, v[30:31] glc
	s_waitcnt vmcnt(0)
	flat_load_dword v36, v[34:35] glc
	s_waitcnt vmcnt(0) lgkmcnt(0)
	v_max_f32_e32 v29, v29, v29
	v_max_f32_e32 v34, v36, v36
	;; [unrolled: 1-line block ×3, first 2 shown]
	flat_store_dword v[30:31], v29
	s_waitcnt vmcnt(0)
	s_or_b64 exec, exec, s[30:31]
	v_cmp_lt_i64_e32 vcc, v[20:21], v[32:33]
	s_and_saveexec_b64 s[30:31], vcc
	s_cbranch_execnz .LBB26_37
	s_branch .LBB26_38
.LBB26_48:
	s_load_dwordx2 s[18:19], s[4:5], 0x40
	v_cmp_eq_u32_e32 vcc, 0, v6
	v_cmp_lt_i64_e64 s[2:3], v[8:9], v[10:11]
	s_and_b64 s[2:3], vcc, s[2:3]
	s_waitcnt lgkmcnt(0)
	s_barrier
	s_and_saveexec_b64 s[22:23], s[2:3]
	s_cbranch_execz .LBB26_55
; %bb.49:
	s_load_dwordx2 s[2:3], s[4:5], 0x20
	ds_read_b32 v1, v1
	s_waitcnt lgkmcnt(0)
	s_cmp_eq_u64 s[2:3], 0
	s_cbranch_scc1 .LBB26_51
; %bb.50:
	s_load_dword s2, s[2:3], 0x0
	v_max_f32_e32 v1, v1, v1
	s_waitcnt lgkmcnt(0)
	v_max_f32_e64 v3, s2, s2
	v_min_f32_e32 v1, v1, v3
.LBB26_51:
	s_add_u32 s3, s18, s46
	s_addc_u32 s4, s19, 0
	s_add_u32 s24, s3, -1
	s_addc_u32 s25, s4, -1
	s_or_b64 s[4:5], s[24:25], s[18:19]
	s_mov_b32 s2, 0
	s_mov_b32 s3, s5
	s_cmp_lg_u64 s[2:3], 0
	s_mov_b64 s[26:27], -1
	s_cbranch_scc0 .LBB26_68
; %bb.52:
	s_ashr_i32 s2, s19, 31
	s_add_u32 s4, s18, s2
	s_mov_b32 s3, s2
	s_addc_u32 s5, s19, s2
	s_xor_b64 s[28:29], s[4:5], s[2:3]
	v_cvt_f32_u32_e32 v3, s28
	v_cvt_f32_u32_e32 v6, s29
	s_sub_u32 s2, 0, s28
	s_subb_u32 s3, 0, s29
	v_madmk_f32 v3, v6, 0x4f800000, v3
	v_rcp_f32_e32 v3, v3
	v_mul_f32_e32 v3, 0x5f7ffffc, v3
	v_mul_f32_e32 v6, 0x2f800000, v3
	v_trunc_f32_e32 v6, v6
	v_madmk_f32 v3, v6, 0xcf800000, v3
	v_cvt_u32_f32_e32 v6, v6
	v_cvt_u32_f32_e32 v3, v3
	v_readfirstlane_b32 s4, v6
	v_readfirstlane_b32 s5, v3
	s_mul_i32 s13, s2, s4
	s_mul_hi_u32 s20, s2, s5
	s_mul_i32 s16, s3, s5
	s_add_i32 s13, s20, s13
	s_add_i32 s13, s13, s16
	s_mul_i32 s30, s2, s5
	s_mul_hi_u32 s16, s5, s13
	s_mul_i32 s20, s5, s13
	s_mul_hi_u32 s5, s5, s30
	s_add_u32 s5, s5, s20
	s_addc_u32 s16, 0, s16
	s_mul_hi_u32 s31, s4, s30
	s_mul_i32 s30, s4, s30
	s_add_u32 s5, s5, s30
	s_mul_hi_u32 s20, s4, s13
	s_addc_u32 s5, s16, s31
	s_addc_u32 s16, s20, 0
	s_mul_i32 s13, s4, s13
	s_add_u32 s5, s5, s13
	s_addc_u32 s13, 0, s16
	v_add_co_u32_e32 v3, vcc, s5, v3
	s_cmp_lg_u64 vcc, 0
	s_addc_u32 s4, s4, s13
	v_readfirstlane_b32 s13, v3
	s_mul_i32 s5, s2, s4
	s_mul_hi_u32 s16, s2, s13
	s_add_i32 s5, s16, s5
	s_mul_i32 s3, s3, s13
	s_add_i32 s5, s5, s3
	s_mul_i32 s2, s2, s13
	s_mul_hi_u32 s16, s4, s2
	s_mul_i32 s20, s4, s2
	s_mul_i32 s31, s13, s5
	s_mul_hi_u32 s2, s13, s2
	s_mul_hi_u32 s30, s13, s5
	s_add_u32 s2, s2, s31
	s_addc_u32 s13, 0, s30
	s_add_u32 s2, s2, s20
	s_mul_hi_u32 s3, s4, s5
	s_addc_u32 s2, s13, s16
	s_addc_u32 s3, s3, 0
	s_mul_i32 s5, s4, s5
	s_add_u32 s2, s2, s5
	s_addc_u32 s3, 0, s3
	v_add_co_u32_e32 v3, vcc, s2, v3
	s_cmp_lg_u64 vcc, 0
	s_addc_u32 s4, s4, s3
	s_ashr_i32 s30, s25, 31
	s_add_u32 s2, s24, s30
	s_mov_b32 s31, s30
	s_addc_u32 s3, s25, s30
	s_xor_b64 s[34:35], s[2:3], s[30:31]
	v_readfirstlane_b32 s5, v3
	s_mul_i32 s3, s34, s4
	s_mul_hi_u32 s13, s34, s5
	s_mul_hi_u32 s2, s34, s4
	s_add_u32 s3, s13, s3
	s_addc_u32 s2, 0, s2
	s_mul_hi_u32 s16, s35, s5
	s_mul_i32 s5, s35, s5
	s_add_u32 s3, s3, s5
	s_mul_hi_u32 s13, s35, s4
	s_addc_u32 s2, s2, s16
	s_addc_u32 s3, s13, 0
	s_mul_i32 s4, s35, s4
	s_add_u32 s2, s2, s4
	s_addc_u32 s3, 0, s3
	s_mul_i32 s3, s28, s3
	s_mul_hi_u32 s4, s28, s2
	s_add_i32 s3, s4, s3
	s_mul_i32 s4, s29, s2
	s_mul_i32 s2, s28, s2
	s_add_i32 s13, s3, s4
	v_mov_b32_e32 v3, s2
	s_sub_i32 s3, s35, s13
	v_sub_co_u32_e32 v3, vcc, s34, v3
	s_cmp_lg_u64 vcc, 0
	s_subb_u32 s16, s3, s29
	v_subrev_co_u32_e64 v6, s[2:3], s28, v3
	s_cmp_lg_u64 s[2:3], 0
	s_subb_u32 s20, s16, 0
	s_cmp_ge_u32 s20, s29
	s_cselect_b32 s31, -1, 0
	v_cmp_le_u32_e64 s[4:5], s28, v6
	s_cmp_eq_u32 s20, s29
	v_cndmask_b32_e64 v7, 0, -1, s[4:5]
	v_mov_b32_e32 v8, s31
	s_cselect_b64 s[4:5], -1, 0
	s_cmp_lg_u64 s[2:3], 0
	v_cndmask_b32_e64 v7, v8, v7, s[4:5]
	s_subb_u32 s4, s16, s29
	v_subrev_co_u32_e64 v8, s[2:3], s28, v6
	s_cmp_lg_u64 s[2:3], 0
	s_subb_u32 s4, s4, 0
	v_cmp_ne_u32_e64 s[2:3], 0, v7
	v_cndmask_b32_e64 v6, v6, v8, s[2:3]
	v_mov_b32_e32 v7, s20
	v_mov_b32_e32 v8, s4
	s_cmp_lg_u64 vcc, 0
	v_cndmask_b32_e64 v7, v7, v8, s[2:3]
	s_subb_u32 s2, s35, s13
	s_cmp_ge_u32 s2, s29
	s_cselect_b32 s3, -1, 0
	v_cmp_le_u32_e32 vcc, s28, v3
	s_cmp_eq_u32 s2, s29
	v_cndmask_b32_e64 v8, 0, -1, vcc
	v_mov_b32_e32 v9, s3
	s_cselect_b64 vcc, -1, 0
	v_cndmask_b32_e32 v8, v9, v8, vcc
	v_cmp_ne_u32_e32 vcc, 0, v8
	v_mov_b32_e32 v9, s2
	v_cndmask_b32_e32 v3, v3, v6, vcc
	v_cndmask_b32_e32 v7, v9, v7, vcc
	v_xor_b32_e32 v3, s30, v3
	v_xor_b32_e32 v7, s30, v7
	v_mov_b32_e32 v8, s30
	v_subrev_co_u32_e32 v6, vcc, s30, v3
	v_subb_co_u32_e32 v7, vcc, v7, v8, vcc
	s_cbranch_execnz .LBB26_54
.LBB26_53:
	v_cvt_f32_u32_e32 v3, s18
	s_sub_i32 s2, 0, s18
	v_mov_b32_e32 v7, 0
	v_rcp_iflag_f32_e32 v3, v3
	v_mul_f32_e32 v3, 0x4f7ffffe, v3
	v_cvt_u32_f32_e32 v3, v3
	v_mul_lo_u32 v6, s2, v3
	v_mul_hi_u32 v6, v3, v6
	v_add_u32_e32 v3, v3, v6
	v_mul_hi_u32 v3, s24, v3
	v_mul_lo_u32 v3, v3, s18
	v_sub_u32_e32 v3, s24, v3
	v_subrev_u32_e32 v6, s18, v3
	v_cmp_le_u32_e32 vcc, s18, v3
	v_cndmask_b32_e32 v3, v3, v6, vcc
	v_subrev_u32_e32 v6, s18, v3
	v_cmp_le_u32_e32 vcc, s18, v3
	v_cndmask_b32_e32 v6, v3, v6, vcc
.LBB26_54:
	s_mov_b32 s4, 0x42fe0000
	v_div_scale_f32 v3, s[2:3], s4, s4, v1
	v_rcp_f32_e32 v8, v3
	v_div_scale_f32 v9, vcc, v1, s4, v1
	v_fma_f32 v10, -v3, v8, 1.0
	v_fmac_f32_e32 v8, v10, v8
	v_mul_f32_e32 v10, v9, v8
	v_fma_f32 v11, -v3, v10, v9
	v_fmac_f32_e32 v10, v11, v8
	v_fma_f32 v3, -v3, v10, v9
	v_div_fmas_f32 v3, v3, v8, v10
	v_div_fixup_f32 v1, v3, s4, v1
	v_mov_b32_e32 v3, s25
	v_sub_co_u32_e32 v6, vcc, s24, v6
	v_subb_co_u32_e32 v3, vcc, v3, v7, vcc
	v_mul_lo_u32 v3, v3, v4
	v_mul_lo_u32 v7, v6, v5
	v_mad_u64_u32 v[4:5], s[2:3], v6, v4, 0
	s_lshl_b64 s[2:3], s[6:7], 2
	v_add3_u32 v5, v5, v7, v3
	s_add_u32 s2, s2, s10
	v_lshlrev_b64 v[4:5], 2, v[4:5]
	s_addc_u32 s3, s3, s11
	v_mov_b32_e32 v3, s3
	v_add_co_u32_e32 v4, vcc, s2, v4
	v_max_f32_e32 v1, 0x34000000, v1
	v_addc_co_u32_e32 v5, vcc, v3, v5, vcc
	global_store_dword v[4:5], v1, off
.LBB26_55:
	s_or_b64 exec, exec, s[22:23]
	s_barrier
	s_and_saveexec_b64 s[2:3], s[0:1]
	s_cbranch_execz .LBB26_67
; %bb.56:
	s_add_u32 s1, s18, s46
	s_addc_u32 s2, s19, 0
	s_add_u32 s4, s1, -1
	s_addc_u32 s5, s2, -1
	s_or_b64 s[2:3], s[4:5], s[18:19]
	s_mov_b32 s0, 0
	s_mov_b32 s1, s3
	s_cmp_lg_u64 s[0:1], 0
	s_mov_b64 s[22:23], -1
	s_cbranch_scc0 .LBB26_69
; %bb.57:
	s_ashr_i32 s0, s19, 31
	s_add_u32 s2, s18, s0
	s_mov_b32 s1, s0
	s_addc_u32 s3, s19, s0
	s_xor_b64 s[24:25], s[2:3], s[0:1]
	v_cvt_f32_u32_e32 v1, s24
	v_cvt_f32_u32_e32 v3, s25
	s_sub_u32 s0, 0, s24
	s_subb_u32 s1, 0, s25
	v_madmk_f32 v1, v3, 0x4f800000, v1
	v_rcp_f32_e32 v1, v1
	v_mul_f32_e32 v1, 0x5f7ffffc, v1
	v_mul_f32_e32 v3, 0x2f800000, v1
	v_trunc_f32_e32 v3, v3
	v_madmk_f32 v1, v3, 0xcf800000, v1
	v_cvt_u32_f32_e32 v3, v3
	v_cvt_u32_f32_e32 v1, v1
	v_readfirstlane_b32 s2, v3
	v_readfirstlane_b32 s3, v1
	s_mul_i32 s13, s0, s2
	s_mul_hi_u32 s19, s0, s3
	s_mul_i32 s16, s1, s3
	s_add_i32 s13, s19, s13
	s_add_i32 s13, s13, s16
	s_mul_i32 s20, s0, s3
	s_mul_hi_u32 s16, s3, s13
	s_mul_i32 s19, s3, s13
	s_mul_hi_u32 s3, s3, s20
	s_add_u32 s3, s3, s19
	s_addc_u32 s16, 0, s16
	s_mul_hi_u32 s26, s2, s20
	s_mul_i32 s20, s2, s20
	s_add_u32 s3, s3, s20
	s_mul_hi_u32 s19, s2, s13
	s_addc_u32 s3, s16, s26
	s_addc_u32 s16, s19, 0
	s_mul_i32 s13, s2, s13
	s_add_u32 s3, s3, s13
	s_addc_u32 s13, 0, s16
	v_add_co_u32_e32 v1, vcc, s3, v1
	s_cmp_lg_u64 vcc, 0
	s_addc_u32 s2, s2, s13
	v_readfirstlane_b32 s13, v1
	s_mul_i32 s3, s0, s2
	s_mul_hi_u32 s16, s0, s13
	s_add_i32 s3, s16, s3
	s_mul_i32 s1, s1, s13
	s_add_i32 s3, s3, s1
	s_mul_i32 s0, s0, s13
	s_mul_hi_u32 s16, s2, s0
	s_mul_i32 s19, s2, s0
	s_mul_i32 s26, s13, s3
	s_mul_hi_u32 s0, s13, s0
	s_mul_hi_u32 s20, s13, s3
	s_add_u32 s0, s0, s26
	s_addc_u32 s13, 0, s20
	s_add_u32 s0, s0, s19
	s_mul_hi_u32 s1, s2, s3
	s_addc_u32 s0, s13, s16
	s_addc_u32 s1, s1, 0
	s_mul_i32 s3, s2, s3
	s_add_u32 s0, s0, s3
	s_addc_u32 s1, 0, s1
	v_add_co_u32_e32 v1, vcc, s0, v1
	s_cmp_lg_u64 vcc, 0
	s_addc_u32 s2, s2, s1
	s_ashr_i32 s26, s5, 31
	s_add_u32 s0, s4, s26
	s_mov_b32 s27, s26
	s_addc_u32 s1, s5, s26
	s_xor_b64 s[28:29], s[0:1], s[26:27]
	v_readfirstlane_b32 s3, v1
	s_mul_i32 s1, s28, s2
	s_mul_hi_u32 s13, s28, s3
	s_mul_hi_u32 s0, s28, s2
	s_add_u32 s1, s13, s1
	s_addc_u32 s0, 0, s0
	s_mul_hi_u32 s16, s29, s3
	s_mul_i32 s3, s29, s3
	s_add_u32 s1, s1, s3
	s_mul_hi_u32 s13, s29, s2
	s_addc_u32 s0, s0, s16
	s_addc_u32 s1, s13, 0
	s_mul_i32 s2, s29, s2
	s_add_u32 s0, s0, s2
	s_addc_u32 s1, 0, s1
	s_mul_i32 s1, s24, s1
	s_mul_hi_u32 s2, s24, s0
	s_add_i32 s1, s2, s1
	s_mul_i32 s2, s25, s0
	s_mul_i32 s0, s24, s0
	s_add_i32 s13, s1, s2
	v_mov_b32_e32 v1, s0
	s_sub_i32 s1, s29, s13
	v_sub_co_u32_e32 v1, vcc, s28, v1
	s_cmp_lg_u64 vcc, 0
	s_subb_u32 s16, s1, s25
	v_subrev_co_u32_e64 v3, s[0:1], s24, v1
	s_cmp_lg_u64 s[0:1], 0
	s_subb_u32 s19, s16, 0
	s_cmp_ge_u32 s19, s25
	s_cselect_b32 s20, -1, 0
	v_cmp_le_u32_e64 s[2:3], s24, v3
	s_cmp_eq_u32 s19, s25
	v_cndmask_b32_e64 v4, 0, -1, s[2:3]
	v_mov_b32_e32 v5, s20
	s_cselect_b64 s[2:3], -1, 0
	s_cmp_lg_u64 s[0:1], 0
	v_cndmask_b32_e64 v4, v5, v4, s[2:3]
	s_subb_u32 s2, s16, s25
	v_subrev_co_u32_e64 v5, s[0:1], s24, v3
	s_cmp_lg_u64 s[0:1], 0
	s_subb_u32 s2, s2, 0
	v_cmp_ne_u32_e64 s[0:1], 0, v4
	v_cndmask_b32_e64 v3, v3, v5, s[0:1]
	v_mov_b32_e32 v4, s19
	v_mov_b32_e32 v5, s2
	s_cmp_lg_u64 vcc, 0
	v_cndmask_b32_e64 v4, v4, v5, s[0:1]
	s_subb_u32 s0, s29, s13
	s_cmp_ge_u32 s0, s25
	s_cselect_b32 s1, -1, 0
	v_cmp_le_u32_e32 vcc, s24, v1
	s_cmp_eq_u32 s0, s25
	v_cndmask_b32_e64 v5, 0, -1, vcc
	v_mov_b32_e32 v6, s1
	s_cselect_b64 vcc, -1, 0
	v_cndmask_b32_e32 v5, v6, v5, vcc
	v_cmp_ne_u32_e32 vcc, 0, v5
	v_mov_b32_e32 v6, s0
	v_cndmask_b32_e32 v1, v1, v3, vcc
	v_cndmask_b32_e32 v4, v6, v4, vcc
	v_xor_b32_e32 v1, s26, v1
	v_xor_b32_e32 v3, s26, v4
	v_mov_b32_e32 v5, s26
	v_subrev_co_u32_e32 v4, vcc, s26, v1
	v_subb_co_u32_e32 v5, vcc, v3, v5, vcc
	s_cbranch_execnz .LBB26_59
.LBB26_58:
	v_cvt_f32_u32_e32 v1, s18
	s_sub_i32 s0, 0, s18
	v_mov_b32_e32 v5, 0
	v_rcp_iflag_f32_e32 v1, v1
	v_mul_f32_e32 v1, 0x4f7ffffe, v1
	v_cvt_u32_f32_e32 v1, v1
	v_mul_lo_u32 v3, s0, v1
	v_mul_hi_u32 v3, v1, v3
	v_add_u32_e32 v1, v1, v3
	v_mul_hi_u32 v1, s4, v1
	v_mul_lo_u32 v1, v1, s18
	v_sub_u32_e32 v1, s4, v1
	v_subrev_u32_e32 v3, s18, v1
	v_cmp_le_u32_e32 vcc, s18, v1
	v_cndmask_b32_e32 v1, v1, v3, vcc
	v_subrev_u32_e32 v3, s18, v1
	v_cmp_le_u32_e32 vcc, s18, v1
	v_cndmask_b32_e32 v4, v1, v3, vcc
.LBB26_59:
	s_mul_i32 s0, s21, s6
	s_mul_hi_u32 s1, s17, s6
	s_add_i32 s1, s1, s0
	s_mul_i32 s0, s17, s6
	s_add_u32 s13, s8, s0
	s_addc_u32 s18, s9, s1
	s_lshl_b64 s[0:1], s[6:7], 2
	s_add_u32 s19, s10, s0
	s_addc_u32 s20, s11, s1
	v_mov_b32_e32 v1, s5
	v_sub_co_u32_e32 v8, vcc, s4, v4
	v_subb_co_u32_e32 v9, vcc, v1, v5, vcc
	v_mov_b32_e32 v3, v2
	s_mul_i32 s21, s45, 3
	s_lshl_b32 s22, s45, 1
	s_mov_b64 s[2:3], 0
	v_mov_b32_e32 v1, 0
	v_mov_b32_e32 v10, s44
	;; [unrolled: 1-line block ×4, first 2 shown]
	s_mov_b32 s23, 0x42fe0000
	v_mov_b32_e32 v13, 0x42fe0000
	s_mov_b32 s24, 0xc3000000
	v_mov_b32_e32 v14, 0xc3000000
	v_mov_b32_e32 v15, s18
	;; [unrolled: 1-line block ×3, first 2 shown]
                                        ; implicit-def: $sgpr4_sgpr5
	s_branch .LBB26_63
.LBB26_60:                              ;   in Loop: Header=BB26_63 Depth=1
	s_or_b64 exec, exec, s[10:11]
	s_orn2_b64 s[10:11], s[16:17], exec
.LBB26_61:                              ;   in Loop: Header=BB26_63 Depth=1
	s_or_b64 exec, exec, s[8:9]
	s_andn2_b64 s[0:1], s[4:5], exec
	s_and_b64 s[4:5], s[10:11], exec
	s_or_b64 s[4:5], s[0:1], s[4:5]
.LBB26_62:                              ;   in Loop: Header=BB26_63 Depth=1
	s_or_b64 exec, exec, s[6:7]
	s_and_b64 s[0:1], exec, s[4:5]
	s_or_b64 s[2:3], s[0:1], s[2:3]
	s_andn2_b64 exec, exec, s[2:3]
	s_cbranch_execz .LBB26_67
.LBB26_63:                              ; =>This Inner Loop Header: Depth=1
	v_lshlrev_b64 v[4:5], 4, v[0:1]
	v_add_co_u32_e32 v6, vcc, s33, v4
	v_addc_co_u32_e32 v7, vcc, v10, v5, vcc
	v_add_co_u32_e32 v4, vcc, s14, v4
	global_load_dwordx4 v[18:21], v[6:7], off
	v_addc_co_u32_e32 v5, vcc, v11, v5, vcc
	v_bfe_u32 v7, v0, 5, 25
	global_load_dwordx4 v[22:25], v[4:5], off
	v_mad_u64_u32 v[4:5], s[0:1], v8, v7, 0
	v_mov_b32_e32 v6, v5
	v_mad_u64_u32 v[6:7], s[0:1], v9, v7, v[6:7]
	v_mov_b32_e32 v5, v6
	v_lshlrev_b64 v[4:5], 2, v[4:5]
	v_add_co_u32_e32 v4, vcc, s19, v4
	v_addc_co_u32_e32 v5, vcc, v12, v5, vcc
	global_load_dword v5, v[4:5], off
	v_lshlrev_b64 v[6:7], 2, v[0:1]
	v_add_co_u32_e32 v6, vcc, s13, v6
	v_addc_co_u32_e32 v7, vcc, v15, v7, vcc
	v_add_u32_e32 v4, s45, v0
	v_cmp_gt_u32_e64 s[0:1], s12, v4
	s_or_b64 s[4:5], s[4:5], exec
	s_waitcnt vmcnt(2)
	v_mul_f32_e32 v17, v2, v18
	v_mul_f32_e32 v26, v2, v19
	v_pk_mul_f32 v[18:19], v[2:3], v[20:21]
	s_waitcnt vmcnt(1)
	v_mul_f32_e32 v17, v17, v22
	v_pk_mul_f32 v[18:19], v[18:19], v[24:25]
	v_mul_f32_e32 v21, v26, v23
	s_waitcnt vmcnt(0)
	v_div_scale_f32 v20, s[6:7], v5, v5, 1.0
	v_rcp_f32_e32 v22, v20
	v_div_scale_f32 v23, vcc, 1.0, v5, 1.0
	v_fma_f32 v24, -v20, v22, 1.0
	v_fmac_f32_e32 v22, v24, v22
	v_mul_f32_e32 v24, v23, v22
	v_fma_f32 v25, -v20, v24, v23
	v_fmac_f32_e32 v24, v25, v22
	v_fma_f32 v20, -v20, v24, v23
	v_div_fmas_f32 v20, v20, v22, v24
	v_div_fixup_f32 v20, v20, v5, 1.0
	v_mul_f32_e32 v5, v17, v20
	v_mul_f32_e32 v17, v21, v20
	v_rndne_f32_e32 v5, v5
	v_pk_mul_f32 v[18:19], v[18:19], v[20:21] op_sel_hi:[1,0]
	v_rndne_f32_e32 v17, v17
	v_cmp_nlt_f32_e32 vcc, s23, v5
	v_rndne_f32_e32 v19, v19
	v_cndmask_b32_e32 v20, v13, v5, vcc
	v_cmp_nlt_f32_e32 vcc, s23, v17
	v_rndne_f32_e32 v18, v18
	v_cndmask_b32_e32 v21, v13, v17, vcc
	v_cmp_nlt_f32_e32 vcc, s23, v19
	v_cndmask_b32_e32 v22, v13, v19, vcc
	v_cmp_nlt_f32_e32 vcc, s23, v18
	v_cndmask_b32_e32 v23, v13, v18, vcc
	v_cmp_ngt_f32_e32 vcc, s24, v5
	v_cndmask_b32_e32 v5, v14, v20, vcc
	v_cmp_ngt_f32_e32 vcc, s24, v17
	;; [unrolled: 2-line block ×4, first 2 shown]
	v_cvt_i32_f32_e32 v18, v18
	v_cndmask_b32_e32 v19, v14, v22, vcc
	v_cvt_i32_f32_e32 v17, v17
	v_cvt_i32_f32_e32 v5, v5
	v_cvt_i32_f32_e32 v19, v19
	v_and_b32_e32 v18, 0xff, v18
	v_lshlrev_b32_e32 v18, 16, v18
	v_lshlrev_b32_sdwa v17, v16, v17 dst_sel:DWORD dst_unused:UNUSED_PAD src0_sel:DWORD src1_sel:BYTE_0
	v_and_b32_e32 v5, 0xff, v5
	v_lshl_or_b32 v18, v19, 24, v18
	v_or3_b32 v5, v18, v17, v5
	global_store_dword v[6:7], v5, off
	s_and_saveexec_b64 s[6:7], s[0:1]
	s_cbranch_execz .LBB26_62
; %bb.64:                               ;   in Loop: Header=BB26_63 Depth=1
	v_mov_b32_e32 v5, v1
	v_lshlrev_b64 v[6:7], 4, v[4:5]
	v_add_co_u32_e32 v18, vcc, s33, v6
	v_addc_co_u32_e32 v19, vcc, v10, v7, vcc
	v_add_co_u32_e32 v6, vcc, s14, v6
	v_addc_co_u32_e32 v7, vcc, v11, v7, vcc
	v_bfe_u32 v17, v4, 5, 25
	global_load_dwordx4 v[22:25], v[6:7], off
	v_mad_u64_u32 v[6:7], s[0:1], v8, v17, 0
	v_mov_b32_e32 v26, v7
	v_mad_u64_u32 v[26:27], s[0:1], v9, v17, v[26:27]
	v_mov_b32_e32 v7, v26
	v_lshlrev_b64 v[6:7], 2, v[6:7]
	v_add_co_u32_e32 v6, vcc, s19, v6
	v_addc_co_u32_e32 v7, vcc, v12, v7, vcc
	global_load_dwordx4 v[18:21], v[18:19], off
	v_lshlrev_b64 v[26:27], 2, v[4:5]
	global_load_dword v7, v[6:7], off
	v_add_co_u32_e32 v26, vcc, s13, v26
	v_addc_co_u32_e32 v27, vcc, v15, v27, vcc
	v_add_u32_e32 v6, s22, v0
	v_cmp_gt_u32_e64 s[0:1], s12, v6
	s_mov_b64 s[10:11], -1
	s_waitcnt vmcnt(1)
	v_mul_f32_e32 v5, v2, v18
	v_mul_f32_e32 v17, v2, v19
	v_pk_mul_f32 v[18:19], v[2:3], v[20:21]
	s_waitcnt vmcnt(0)
	v_div_scale_f32 v20, s[8:9], v7, v7, 1.0
	v_rcp_f32_e32 v21, v20
	v_mul_f32_e32 v17, v17, v23
	v_mul_f32_e32 v5, v5, v22
	v_div_scale_f32 v22, vcc, 1.0, v7, 1.0
	v_fma_f32 v23, -v20, v21, 1.0
	v_fmac_f32_e32 v21, v23, v21
	v_mul_f32_e32 v23, v22, v21
	v_pk_mul_f32 v[18:19], v[18:19], v[24:25]
	v_fma_f32 v24, -v20, v23, v22
	v_fmac_f32_e32 v23, v24, v21
	v_fma_f32 v20, -v20, v23, v22
	v_div_fmas_f32 v20, v20, v21, v23
	v_div_fixup_f32 v20, v20, v7, 1.0
	v_mul_f32_e32 v5, v5, v20
	v_mul_f32_e32 v7, v17, v20
	v_rndne_f32_e32 v5, v5
	v_pk_mul_f32 v[18:19], v[18:19], v[20:21] op_sel_hi:[1,0]
	v_rndne_f32_e32 v7, v7
	v_cmp_nlt_f32_e32 vcc, s23, v5
	v_rndne_f32_e32 v17, v18
	v_rndne_f32_e32 v18, v19
	v_cndmask_b32_e32 v19, v13, v5, vcc
	v_cmp_nlt_f32_e32 vcc, s23, v7
	v_cndmask_b32_e32 v20, v13, v7, vcc
	v_cmp_nlt_f32_e32 vcc, s23, v18
	;; [unrolled: 2-line block ×3, first 2 shown]
	v_cndmask_b32_e32 v22, v13, v17, vcc
	v_cmp_ngt_f32_e32 vcc, s24, v5
	v_cndmask_b32_e32 v5, v14, v19, vcc
	v_cmp_ngt_f32_e32 vcc, s24, v7
	;; [unrolled: 2-line block ×4, first 2 shown]
	v_cvt_i32_f32_e32 v17, v17
	v_cndmask_b32_e32 v18, v14, v21, vcc
	v_cvt_i32_f32_e32 v7, v7
	v_cvt_i32_f32_e32 v5, v5
	v_cvt_i32_f32_e32 v18, v18
	v_and_b32_e32 v17, 0xff, v17
	v_lshlrev_b32_e32 v17, 16, v17
	v_lshlrev_b32_sdwa v7, v16, v7 dst_sel:DWORD dst_unused:UNUSED_PAD src0_sel:DWORD src1_sel:BYTE_0
	v_and_b32_e32 v5, 0xff, v5
	v_lshl_or_b32 v17, v18, 24, v17
	v_or3_b32 v5, v17, v7, v5
	global_store_dword v[26:27], v5, off
	s_and_saveexec_b64 s[8:9], s[0:1]
	s_cbranch_execz .LBB26_61
; %bb.65:                               ;   in Loop: Header=BB26_63 Depth=1
	v_mov_b32_e32 v7, v1
	v_lshlrev_b64 v[22:23], 4, v[6:7]
	v_mov_b32_e32 v5, s44
	v_add_co_u32_e32 v18, vcc, s33, v22
	v_addc_co_u32_e32 v19, vcc, v5, v23, vcc
	v_mov_b32_e32 v5, s15
	v_add_co_u32_e32 v22, vcc, s14, v22
	v_addc_co_u32_e32 v23, vcc, v5, v23, vcc
	v_bfe_u32 v5, v6, 5, 25
	v_mad_u64_u32 v[26:27], s[0:1], v8, v5, 0
	v_mov_b32_e32 v28, v27
	v_mad_u64_u32 v[28:29], s[0:1], v9, v5, v[28:29]
	v_mov_b32_e32 v27, v28
	v_lshlrev_b64 v[26:27], 2, v[26:27]
	v_mov_b32_e32 v5, s20
	v_add_co_u32_e32 v26, vcc, s19, v26
	v_addc_co_u32_e32 v27, vcc, v5, v27, vcc
	global_load_dwordx4 v[18:21], v[18:19], off
	v_lshlrev_b64 v[6:7], 2, v[6:7]
	global_load_dword v5, v[26:27], off
	v_mov_b32_e32 v17, s18
	global_load_dwordx4 v[22:25], v[22:23], off
	v_add_co_u32_e32 v6, vcc, s13, v6
	v_addc_co_u32_e32 v7, vcc, v17, v7, vcc
	v_add_u32_e32 v0, s21, v0
	v_cmp_gt_u32_e64 s[0:1], s12, v0
	s_mov_b64 s[16:17], -1
	s_waitcnt vmcnt(2)
	v_mul_f32_e32 v17, v2, v18
	v_mul_f32_e32 v26, v2, v19
	v_pk_mul_f32 v[18:19], v[2:3], v[20:21]
	s_waitcnt vmcnt(1)
	v_div_scale_f32 v20, s[10:11], v5, v5, 1.0
	s_waitcnt vmcnt(0)
	v_mul_f32_e32 v17, v17, v22
	v_rcp_f32_e32 v22, v20
	v_pk_mul_f32 v[18:19], v[18:19], v[24:25]
	v_mul_f32_e32 v21, v26, v23
	v_div_scale_f32 v23, vcc, 1.0, v5, 1.0
	v_fma_f32 v24, -v20, v22, 1.0
	v_fmac_f32_e32 v22, v24, v22
	v_mul_f32_e32 v24, v23, v22
	v_fma_f32 v25, -v20, v24, v23
	v_fmac_f32_e32 v24, v25, v22
	v_fma_f32 v20, -v20, v24, v23
	v_div_fmas_f32 v20, v20, v22, v24
	v_div_fixup_f32 v20, v20, v5, 1.0
	v_mul_f32_e32 v5, v17, v20
	v_mul_f32_e32 v17, v21, v20
	v_rndne_f32_e32 v5, v5
	v_pk_mul_f32 v[18:19], v[18:19], v[20:21] op_sel_hi:[1,0]
	v_rndne_f32_e32 v17, v17
	v_cmp_nlt_f32_e32 vcc, s23, v5
	v_rndne_f32_e32 v19, v19
	v_cndmask_b32_e32 v20, v13, v5, vcc
	v_cmp_nlt_f32_e32 vcc, s23, v17
	v_rndne_f32_e32 v18, v18
	v_cndmask_b32_e32 v21, v13, v17, vcc
	v_cmp_nlt_f32_e32 vcc, s23, v19
	v_cndmask_b32_e32 v22, v13, v19, vcc
	v_cmp_nlt_f32_e32 vcc, s23, v18
	v_cndmask_b32_e32 v23, v13, v18, vcc
	v_cmp_ngt_f32_e32 vcc, s24, v5
	v_cndmask_b32_e32 v5, v14, v20, vcc
	v_cmp_ngt_f32_e32 vcc, s24, v17
	;; [unrolled: 2-line block ×4, first 2 shown]
	v_cvt_i32_f32_e32 v18, v18
	v_cndmask_b32_e32 v19, v14, v22, vcc
	v_cvt_i32_f32_e32 v17, v17
	v_cvt_i32_f32_e32 v5, v5
	;; [unrolled: 1-line block ×3, first 2 shown]
	v_and_b32_e32 v18, 0xff, v18
	v_lshlrev_b32_e32 v18, 16, v18
	v_lshlrev_b32_sdwa v17, v16, v17 dst_sel:DWORD dst_unused:UNUSED_PAD src0_sel:DWORD src1_sel:BYTE_0
	v_and_b32_e32 v5, 0xff, v5
	v_lshl_or_b32 v18, v19, 24, v18
	v_or3_b32 v5, v18, v17, v5
	global_store_dword v[6:7], v5, off
	s_and_saveexec_b64 s[10:11], s[0:1]
	s_cbranch_execz .LBB26_60
; %bb.66:                               ;   in Loop: Header=BB26_63 Depth=1
	v_lshlrev_b64 v[6:7], 4, v[0:1]
	v_mov_b32_e32 v5, s44
	v_add_co_u32_e32 v18, vcc, s33, v6
	v_addc_co_u32_e32 v19, vcc, v5, v7, vcc
	v_mov_b32_e32 v5, s15
	v_add_co_u32_e32 v6, vcc, s14, v6
	v_addc_co_u32_e32 v7, vcc, v5, v7, vcc
	v_bfe_u32 v5, v0, 5, 25
	global_load_dwordx4 v[22:25], v[6:7], off
	v_mad_u64_u32 v[6:7], s[0:1], v8, v5, 0
	v_mov_b32_e32 v26, v7
	v_mad_u64_u32 v[26:27], s[0:1], v9, v5, v[26:27]
	v_mov_b32_e32 v7, v26
	v_lshlrev_b64 v[6:7], 2, v[6:7]
	v_mov_b32_e32 v5, s20
	v_add_co_u32_e32 v6, vcc, s19, v6
	global_load_dwordx4 v[18:21], v[18:19], off
	v_addc_co_u32_e32 v7, vcc, v5, v7, vcc
	global_load_dword v17, v[6:7], off
	v_lshlrev_b64 v[6:7], 2, v[0:1]
	s_add_i32 s0, s45, s45
	v_mov_b32_e32 v0, s18
	v_add_co_u32_e32 v6, vcc, s13, v6
	s_add_i32 s0, s0, s45
	v_addc_co_u32_e32 v7, vcc, v0, v7, vcc
	v_add_u32_e32 v0, s0, v4
	v_cmp_le_u32_e64 s[0:1], s12, v0
	s_waitcnt vmcnt(1)
	v_mul_f32_e32 v18, v2, v18
	v_pk_mul_f32 v[4:5], v[2:3], v[20:21]
	v_mul_f32_e32 v20, v18, v22
	s_waitcnt vmcnt(0)
	v_div_scale_f32 v18, s[16:17], v17, v17, 1.0
	v_rcp_f32_e32 v21, v18
	v_mul_f32_e32 v19, v2, v19
	v_mul_f32_e32 v19, v19, v23
	v_div_scale_f32 v22, vcc, 1.0, v17, 1.0
	v_fma_f32 v23, -v18, v21, 1.0
	v_fmac_f32_e32 v21, v23, v21
	v_mul_f32_e32 v23, v22, v21
	v_pk_mul_f32 v[4:5], v[4:5], v[24:25]
	v_fma_f32 v24, -v18, v23, v22
	v_fmac_f32_e32 v23, v24, v21
	v_fma_f32 v18, -v18, v23, v22
	v_div_fmas_f32 v18, v18, v21, v23
	v_div_fixup_f32 v18, v18, v17, 1.0
	v_mul_f32_e32 v17, v20, v18
	v_mul_f32_e32 v19, v19, v18
	v_rndne_f32_e32 v17, v17
	v_pk_mul_f32 v[4:5], v[4:5], v[18:19] op_sel_hi:[1,0]
	v_rndne_f32_e32 v18, v19
	v_cmp_nlt_f32_e32 vcc, s23, v17
	v_rndne_f32_e32 v5, v5
	v_cndmask_b32_e32 v19, v13, v17, vcc
	v_cmp_nlt_f32_e32 vcc, s23, v18
	v_rndne_f32_e32 v4, v4
	v_cndmask_b32_e32 v20, v13, v18, vcc
	v_cmp_nlt_f32_e32 vcc, s23, v5
	v_cndmask_b32_e32 v21, v13, v5, vcc
	v_cmp_nlt_f32_e32 vcc, s23, v4
	v_cndmask_b32_e32 v22, v13, v4, vcc
	v_cmp_ngt_f32_e32 vcc, s24, v17
	v_cndmask_b32_e32 v17, v14, v19, vcc
	v_cmp_ngt_f32_e32 vcc, s24, v18
	;; [unrolled: 2-line block ×4, first 2 shown]
	v_cvt_i32_f32_e32 v4, v4
	v_cndmask_b32_e32 v5, v14, v21, vcc
	v_cvt_i32_f32_e32 v18, v18
	v_cvt_i32_f32_e32 v17, v17
	;; [unrolled: 1-line block ×3, first 2 shown]
	v_and_b32_e32 v4, 0xff, v4
	v_lshlrev_b32_e32 v4, 16, v4
	v_lshlrev_b32_sdwa v18, v16, v18 dst_sel:DWORD dst_unused:UNUSED_PAD src0_sel:DWORD src1_sel:BYTE_0
	v_and_b32_e32 v17, 0xff, v17
	v_lshl_or_b32 v4, v5, 24, v4
	v_or3_b32 v4, v4, v18, v17
	s_orn2_b64 s[16:17], s[0:1], exec
	global_store_dword v[6:7], v4, off
	s_branch .LBB26_60
.LBB26_67:
	s_endpgm
.LBB26_68:
                                        ; implicit-def: $vgpr6_vgpr7
	s_andn2_b64 vcc, exec, s[26:27]
	s_cbranch_vccz .LBB26_53
	s_branch .LBB26_54
.LBB26_69:
                                        ; implicit-def: $vgpr4_vgpr5
	s_andn2_b64 vcc, exec, s[22:23]
	s_cbranch_vccz .LBB26_58
	s_branch .LBB26_59
	.section	.rodata,"a",@progbits
	.p2align	6, 0x0
	.amdhsa_kernel _ZN4vllm31rms_norm_per_block_quant_kernelIfaLb0ELb1ELi128EEEvPT0_PfPKT_S6_PKffiiPS4_l
		.amdhsa_group_segment_fixed_size 4164
		.amdhsa_private_segment_fixed_size 0
		.amdhsa_kernarg_size 328
		.amdhsa_user_sgpr_count 6
		.amdhsa_user_sgpr_private_segment_buffer 1
		.amdhsa_user_sgpr_dispatch_ptr 0
		.amdhsa_user_sgpr_queue_ptr 0
		.amdhsa_user_sgpr_kernarg_segment_ptr 1
		.amdhsa_user_sgpr_dispatch_id 0
		.amdhsa_user_sgpr_flat_scratch_init 0
		.amdhsa_user_sgpr_kernarg_preload_length 0
		.amdhsa_user_sgpr_kernarg_preload_offset 0
		.amdhsa_user_sgpr_private_segment_size 0
		.amdhsa_uses_dynamic_stack 0
		.amdhsa_system_sgpr_private_segment_wavefront_offset 0
		.amdhsa_system_sgpr_workgroup_id_x 1
		.amdhsa_system_sgpr_workgroup_id_y 0
		.amdhsa_system_sgpr_workgroup_id_z 0
		.amdhsa_system_sgpr_workgroup_info 0
		.amdhsa_system_vgpr_workitem_id 0
		.amdhsa_next_free_vgpr 40
		.amdhsa_next_free_sgpr 47
		.amdhsa_accum_offset 40
		.amdhsa_reserve_vcc 1
		.amdhsa_reserve_flat_scratch 0
		.amdhsa_float_round_mode_32 0
		.amdhsa_float_round_mode_16_64 0
		.amdhsa_float_denorm_mode_32 3
		.amdhsa_float_denorm_mode_16_64 3
		.amdhsa_dx10_clamp 1
		.amdhsa_ieee_mode 1
		.amdhsa_fp16_overflow 0
		.amdhsa_tg_split 0
		.amdhsa_exception_fp_ieee_invalid_op 0
		.amdhsa_exception_fp_denorm_src 0
		.amdhsa_exception_fp_ieee_div_zero 0
		.amdhsa_exception_fp_ieee_overflow 0
		.amdhsa_exception_fp_ieee_underflow 0
		.amdhsa_exception_fp_ieee_inexact 0
		.amdhsa_exception_int_div_zero 0
	.end_amdhsa_kernel
	.section	.text._ZN4vllm31rms_norm_per_block_quant_kernelIfaLb0ELb1ELi128EEEvPT0_PfPKT_S6_PKffiiPS4_l,"axG",@progbits,_ZN4vllm31rms_norm_per_block_quant_kernelIfaLb0ELb1ELi128EEEvPT0_PfPKT_S6_PKffiiPS4_l,comdat
.Lfunc_end26:
	.size	_ZN4vllm31rms_norm_per_block_quant_kernelIfaLb0ELb1ELi128EEEvPT0_PfPKT_S6_PKffiiPS4_l, .Lfunc_end26-_ZN4vllm31rms_norm_per_block_quant_kernelIfaLb0ELb1ELi128EEEvPT0_PfPKT_S6_PKffiiPS4_l
                                        ; -- End function
	.section	.AMDGPU.csdata,"",@progbits
; Kernel info:
; codeLenInByte = 7076
; NumSgprs: 51
; NumVgprs: 40
; NumAgprs: 0
; TotalNumVgprs: 40
; ScratchSize: 0
; MemoryBound: 0
; FloatMode: 240
; IeeeMode: 1
; LDSByteSize: 4164 bytes/workgroup (compile time only)
; SGPRBlocks: 6
; VGPRBlocks: 4
; NumSGPRsForWavesPerEU: 51
; NumVGPRsForWavesPerEU: 40
; AccumOffset: 40
; Occupancy: 8
; WaveLimiterHint : 0
; COMPUTE_PGM_RSRC2:SCRATCH_EN: 0
; COMPUTE_PGM_RSRC2:USER_SGPR: 6
; COMPUTE_PGM_RSRC2:TRAP_HANDLER: 0
; COMPUTE_PGM_RSRC2:TGID_X_EN: 1
; COMPUTE_PGM_RSRC2:TGID_Y_EN: 0
; COMPUTE_PGM_RSRC2:TGID_Z_EN: 0
; COMPUTE_PGM_RSRC2:TIDIG_COMP_CNT: 0
; COMPUTE_PGM_RSRC3_GFX90A:ACCUM_OFFSET: 9
; COMPUTE_PGM_RSRC3_GFX90A:TG_SPLIT: 0
	.section	.text._ZN4vllm31rms_norm_per_block_quant_kernelIfN3c1013Float8_e4m3fnELb0ELb0ELi128EEEvPT0_PfPKT_S8_PKffiiPS6_l,"axG",@progbits,_ZN4vllm31rms_norm_per_block_quant_kernelIfN3c1013Float8_e4m3fnELb0ELb0ELi128EEEvPT0_PfPKT_S8_PKffiiPS6_l,comdat
	.protected	_ZN4vllm31rms_norm_per_block_quant_kernelIfN3c1013Float8_e4m3fnELb0ELb0ELi128EEEvPT0_PfPKT_S8_PKffiiPS6_l ; -- Begin function _ZN4vllm31rms_norm_per_block_quant_kernelIfN3c1013Float8_e4m3fnELb0ELb0ELi128EEEvPT0_PfPKT_S8_PKffiiPS6_l
	.globl	_ZN4vllm31rms_norm_per_block_quant_kernelIfN3c1013Float8_e4m3fnELb0ELb0ELi128EEEvPT0_PfPKT_S8_PKffiiPS6_l
	.p2align	8
	.type	_ZN4vllm31rms_norm_per_block_quant_kernelIfN3c1013Float8_e4m3fnELb0ELb0ELi128EEEvPT0_PfPKT_S8_PKffiiPS6_l,@function
_ZN4vllm31rms_norm_per_block_quant_kernelIfN3c1013Float8_e4m3fnELb0ELb0ELi128EEEvPT0_PfPKT_S8_PKffiiPS6_l: ; @_ZN4vllm31rms_norm_per_block_quant_kernelIfN3c1013Float8_e4m3fnELb0ELb0ELi128EEEvPT0_PfPKT_S8_PKffiiPS6_l
; %bb.0:
	s_load_dwordx4 s[16:19], s[4:5], 0x28
	s_load_dwordx8 s[8:15], s[4:5], 0x0
	v_mov_b32_e32 v1, 0
	s_waitcnt lgkmcnt(0)
	s_ashr_i32 s0, s18, 31
	s_mul_hi_u32 s1, s18, s6
	s_mul_i32 s0, s0, s6
	s_add_i32 s1, s1, s0
	s_mul_i32 s0, s18, s6
	s_lshl_b64 s[0:1], s[0:1], 2
	s_add_u32 s33, s12, s0
	s_addc_u32 s44, s13, s1
	s_ashr_i32 s12, s17, 2
	s_add_u32 s2, s4, 0x48
	s_mov_b32 s20, s17
	v_cmp_gt_u32_e64 s[0:1], s12, v0
	s_addc_u32 s3, s5, 0
	s_and_saveexec_b64 s[18:19], s[0:1]
	s_cbranch_execz .LBB27_10
; %bb.1:
	s_load_dword s7, s[2:3], 0x0
	v_mov_b32_e32 v3, 0
	v_mov_b32_e32 v9, s44
	;; [unrolled: 1-line block ×3, first 2 shown]
                                        ; implicit-def: $sgpr24_sgpr25
	s_waitcnt lgkmcnt(0)
	s_cmp_lt_u32 s6, s7
	s_cselect_b32 s7, 12, 18
	s_add_u32 s22, s2, s7
	s_addc_u32 s23, s3, 0
	global_load_ushort v8, v3, s[22:23]
	s_mov_b64 s[22:23], 0
	s_waitcnt vmcnt(0)
	v_add_u32_e32 v1, v8, v8
	v_mul_lo_u32 v10, v8, 3
	v_lshlrev_b32_e32 v11, 1, v8
	v_add_u32_e32 v12, v1, v8
	v_mov_b32_e32 v1, v3
	s_branch .LBB27_5
.LBB27_2:                               ;   in Loop: Header=BB27_5 Depth=1
	s_or_b64 exec, exec, s[30:31]
	s_orn2_b64 s[30:31], s[34:35], exec
.LBB27_3:                               ;   in Loop: Header=BB27_5 Depth=1
	s_or_b64 exec, exec, s[28:29]
	s_andn2_b64 s[24:25], s[24:25], exec
	s_and_b64 s[28:29], s[30:31], exec
	s_or_b64 s[24:25], s[24:25], s[28:29]
.LBB27_4:                               ;   in Loop: Header=BB27_5 Depth=1
	s_or_b64 exec, exec, s[26:27]
	s_and_b64 s[26:27], exec, s[24:25]
	s_or_b64 s[22:23], s[26:27], s[22:23]
	s_andn2_b64 exec, exec, s[22:23]
	s_cbranch_execz .LBB27_9
.LBB27_5:                               ; =>This Inner Loop Header: Depth=1
	v_lshlrev_b64 v[4:5], 4, v[2:3]
	v_add_co_u32_e32 v4, vcc, s33, v4
	v_addc_co_u32_e32 v5, vcc, v9, v5, vcc
	global_load_dwordx4 v[14:17], v[4:5], off
	v_add_u32_e32 v4, v2, v8
	v_cmp_gt_u32_e32 vcc, s12, v4
	s_or_b64 s[24:25], s[24:25], exec
	s_waitcnt vmcnt(0)
	v_fmac_f32_e32 v1, v14, v14
	v_fmac_f32_e32 v1, v15, v15
	;; [unrolled: 1-line block ×4, first 2 shown]
	s_and_saveexec_b64 s[26:27], vcc
	s_cbranch_execz .LBB27_4
; %bb.6:                                ;   in Loop: Header=BB27_5 Depth=1
	v_mov_b32_e32 v5, v3
	v_lshlrev_b64 v[6:7], 4, v[4:5]
	v_add_co_u32_e32 v6, vcc, s33, v6
	v_addc_co_u32_e32 v7, vcc, v9, v7, vcc
	global_load_dwordx4 v[14:17], v[6:7], off
	v_add_u32_e32 v6, v11, v2
	v_cmp_gt_u32_e32 vcc, s12, v6
	s_mov_b64 s[30:31], -1
	s_waitcnt vmcnt(0)
	v_fmac_f32_e32 v1, v14, v14
	v_fmac_f32_e32 v1, v15, v15
	;; [unrolled: 1-line block ×4, first 2 shown]
	s_and_saveexec_b64 s[28:29], vcc
	s_cbranch_execz .LBB27_3
; %bb.7:                                ;   in Loop: Header=BB27_5 Depth=1
	v_mov_b32_e32 v7, v3
	v_lshlrev_b64 v[6:7], 4, v[6:7]
	v_add_co_u32_e32 v6, vcc, s33, v6
	v_addc_co_u32_e32 v7, vcc, v9, v7, vcc
	global_load_dwordx4 v[14:17], v[6:7], off
	v_add_u32_e32 v2, v10, v2
	v_cmp_gt_u32_e32 vcc, s12, v2
	s_mov_b64 s[34:35], -1
	s_waitcnt vmcnt(0)
	v_fmac_f32_e32 v1, v14, v14
	v_fmac_f32_e32 v1, v15, v15
	;; [unrolled: 1-line block ×4, first 2 shown]
	s_and_saveexec_b64 s[30:31], vcc
	s_xor_b64 s[30:31], exec, s[30:31]
	s_cbranch_execz .LBB27_2
; %bb.8:                                ;   in Loop: Header=BB27_5 Depth=1
	v_lshlrev_b64 v[6:7], 4, v[2:3]
	v_add_co_u32_e32 v6, vcc, s33, v6
	v_addc_co_u32_e32 v7, vcc, v9, v7, vcc
	global_load_dwordx4 v[14:17], v[6:7], off
	v_add_u32_e32 v2, v12, v4
	v_cmp_le_u32_e32 vcc, s12, v2
	s_orn2_b64 s[34:35], vcc, exec
	s_waitcnt vmcnt(0)
	v_fmac_f32_e32 v1, v14, v14
	v_fmac_f32_e32 v1, v15, v15
	;; [unrolled: 1-line block ×4, first 2 shown]
	s_branch .LBB27_2
.LBB27_9:
	s_or_b64 exec, exec, s[22:23]
.LBB27_10:
	s_or_b64 exec, exec, s[18:19]
	v_mbcnt_lo_u32_b32 v2, -1, 0
	v_mbcnt_hi_u32_b32 v2, -1, v2
	v_and_b32_e32 v3, 63, v2
	v_cmp_ne_u32_e32 vcc, 63, v3
	s_load_dword s2, s[2:3], 0xc
	v_addc_co_u32_e32 v4, vcc, 0, v2, vcc
	v_lshlrev_b32_e32 v4, 2, v4
	ds_bpermute_b32 v4, v4, v1
	s_waitcnt lgkmcnt(0)
	s_and_b32 s45, s2, 0xffff
	v_and_b32_e32 v5, 0x3c0, v0
	v_sub_u32_e64 v5, s45, v5 clamp
	v_add_u32_e32 v6, 1, v2
	v_add_f32_e32 v4, v1, v4
	v_cmp_lt_u32_e32 vcc, v6, v5
	v_cndmask_b32_e32 v1, v1, v4, vcc
	v_cmp_gt_u32_e32 vcc, 62, v3
	v_cndmask_b32_e64 v4, 0, 1, vcc
	v_lshlrev_b32_e32 v4, 1, v4
	v_add_lshl_u32 v4, v4, v2, 2
	ds_bpermute_b32 v4, v4, v1
	v_add_u32_e32 v6, 2, v2
	v_cmp_lt_u32_e32 vcc, v6, v5
	v_add_u32_e32 v6, 4, v2
	s_waitcnt lgkmcnt(0)
	v_add_f32_e32 v4, v1, v4
	v_cndmask_b32_e32 v1, v1, v4, vcc
	v_cmp_gt_u32_e32 vcc, 60, v3
	v_cndmask_b32_e64 v4, 0, 1, vcc
	v_lshlrev_b32_e32 v4, 2, v4
	v_add_lshl_u32 v4, v4, v2, 2
	ds_bpermute_b32 v4, v4, v1
	v_cmp_lt_u32_e32 vcc, v6, v5
	v_add_u32_e32 v6, 8, v2
	s_waitcnt lgkmcnt(0)
	v_add_f32_e32 v4, v1, v4
	v_cndmask_b32_e32 v1, v1, v4, vcc
	v_cmp_gt_u32_e32 vcc, 56, v3
	v_cndmask_b32_e64 v4, 0, 1, vcc
	v_lshlrev_b32_e32 v4, 3, v4
	v_add_lshl_u32 v4, v4, v2, 2
	ds_bpermute_b32 v4, v4, v1
	;; [unrolled: 10-line block ×3, first 2 shown]
	v_cmp_lt_u32_e32 vcc, v6, v5
	s_waitcnt lgkmcnt(0)
	v_add_f32_e32 v4, v1, v4
	v_cndmask_b32_e32 v1, v1, v4, vcc
	v_cmp_gt_u32_e32 vcc, 32, v3
	v_cndmask_b32_e64 v3, 0, 1, vcc
	v_lshlrev_b32_e32 v3, 5, v3
	v_add_lshl_u32 v3, v3, v2, 2
	ds_bpermute_b32 v3, v3, v1
	v_add_u32_e32 v4, 32, v2
	v_cmp_lt_u32_e32 vcc, v4, v5
	s_waitcnt lgkmcnt(0)
	v_add_f32_e32 v3, v1, v3
	v_cndmask_b32_e32 v1, v1, v3, vcc
	v_cmp_eq_u32_e32 vcc, 0, v2
	s_and_saveexec_b64 s[2:3], vcc
	s_cbranch_execz .LBB27_12
; %bb.11:
	v_lshrrev_b32_e32 v3, 4, v0
	v_and_b32_e32 v3, 60, v3
	ds_write_b32 v3, v1 offset:4096
.LBB27_12:
	s_or_b64 exec, exec, s[2:3]
	v_cmp_gt_u32_e32 vcc, 16, v0
	s_waitcnt lgkmcnt(0)
	s_barrier
	s_and_saveexec_b64 s[18:19], vcc
	s_cbranch_execz .LBB27_14
; %bb.13:
	v_lshlrev_b32_e32 v1, 2, v2
	ds_read_b32 v1, v1 offset:4096
	v_and_b32_e32 v3, 15, v2
	v_cmp_ne_u32_e32 vcc, 15, v3
	v_addc_co_u32_e32 v4, vcc, 0, v2, vcc
	v_lshlrev_b32_e32 v4, 2, v4
	s_waitcnt lgkmcnt(0)
	ds_bpermute_b32 v4, v4, v1
	s_add_i32 s2, s45, 63
	s_lshr_b32 s7, s2, 6
	v_add_u32_e32 v5, 1, v3
	v_cmp_gt_u32_e64 s[2:3], 14, v3
	v_cmp_gt_u32_e32 vcc, s7, v5
	v_cndmask_b32_e64 v5, 0, 1, s[2:3]
	s_waitcnt lgkmcnt(0)
	v_add_f32_e32 v4, v1, v4
	v_lshlrev_b32_e32 v5, 1, v5
	v_cndmask_b32_e32 v4, v1, v4, vcc
	v_add_lshl_u32 v5, v5, v2, 2
	ds_bpermute_b32 v5, v5, v4
	v_add_u32_e32 v6, 2, v3
	v_cmp_gt_u32_e64 s[2:3], s7, v6
	v_add_u32_e32 v6, 4, v3
	s_waitcnt lgkmcnt(0)
	v_add_f32_e32 v5, v4, v5
	v_cndmask_b32_e64 v4, v4, v5, s[2:3]
	v_cmp_gt_u32_e64 s[2:3], 12, v3
	v_cndmask_b32_e64 v5, 0, 1, s[2:3]
	v_lshlrev_b32_e32 v5, 2, v5
	v_add_lshl_u32 v5, v5, v2, 2
	ds_bpermute_b32 v5, v5, v4
	v_cmp_gt_u32_e64 s[2:3], s7, v6
	s_waitcnt lgkmcnt(0)
	v_add_f32_e32 v5, v4, v5
	v_cndmask_b32_e64 v4, v4, v5, s[2:3]
	v_cmp_gt_u32_e64 s[2:3], 8, v3
	v_cndmask_b32_e64 v5, 0, 1, s[2:3]
	v_lshlrev_b32_e32 v5, 3, v5
	v_add_lshl_u32 v2, v5, v2, 2
	ds_bpermute_b32 v2, v2, v4
	v_add_u32_e32 v3, 8, v3
	v_cmp_gt_u32_e64 s[2:3], s7, v3
	s_waitcnt lgkmcnt(0)
	v_add_f32_e32 v2, v4, v2
	v_cndmask_b32_e64 v2, v4, v2, s[2:3]
	v_cndmask_b32_e32 v1, v1, v2, vcc
.LBB27_14:
	s_or_b64 exec, exec, s[18:19]
	v_cmp_eq_u32_e32 vcc, 0, v0
	s_and_saveexec_b64 s[2:3], vcc
	s_cbranch_execz .LBB27_16
; %bb.15:
	v_cvt_f32_i32_e32 v2, s17
	s_mov_b32 s7, 0x800000
	v_div_scale_f32 v3, s[18:19], v2, v2, v1
	v_rcp_f32_e32 v4, v3
	v_div_scale_f32 v5, vcc, v1, v2, v1
	v_fma_f32 v6, -v3, v4, 1.0
	v_fmac_f32_e32 v4, v6, v4
	v_mul_f32_e32 v6, v5, v4
	v_fma_f32 v7, -v3, v6, v5
	v_fmac_f32_e32 v6, v7, v4
	v_fma_f32 v3, -v3, v6, v5
	v_div_fmas_f32 v3, v3, v4, v6
	v_div_fixup_f32 v1, v3, v2, v1
	v_add_f32_e32 v1, s16, v1
	v_mul_f32_e32 v2, 0x4b800000, v1
	v_cmp_gt_f32_e32 vcc, s7, v1
	v_cndmask_b32_e32 v1, v1, v2, vcc
	v_rsq_f32_e32 v1, v1
	v_mul_f32_e32 v2, 0x45800000, v1
	v_cndmask_b32_e32 v1, v1, v2, vcc
	v_mov_b32_e32 v2, 0
	ds_write_b32 v2, v1 offset:4160
.LBB27_16:
	s_or_b64 exec, exec, s[2:3]
	s_ashr_i32 s21, s17, 31
	s_lshr_b32 s2, s21, 25
	s_add_i32 s2, s17, s2
	s_ashr_i32 s18, s2, 7
	s_abs_i32 s3, s18
	v_cvt_f32_u32_e32 v1, s3
	s_sub_i32 s7, 0, s3
	s_ashr_i32 s2, s2, 31
	v_mov_b32_e32 v5, 0
	v_rcp_iflag_f32_e32 v1, v1
	s_waitcnt lgkmcnt(0)
	s_barrier
	v_mul_f32_e32 v1, 0x4f7ffffe, v1
	v_cvt_u32_f32_e32 v1, v1
	ds_read_b32 v36, v5 offset:4160
	v_readfirstlane_b32 s13, v1
	s_mul_i32 s7, s7, s13
	s_mul_hi_u32 s7, s13, s7
	s_add_i32 s13, s13, s7
	s_mul_hi_u32 s7, s45, s13
	s_mul_i32 s13, s7, s3
	s_sub_i32 s13, s45, s13
	s_add_i32 s16, s7, 1
	s_sub_i32 s19, s13, s3
	s_cmp_ge_u32 s13, s3
	s_cselect_b32 s7, s16, s7
	s_cselect_b32 s13, s19, s13
	s_add_i32 s16, s7, 1
	s_cmp_ge_u32 s13, s3
	s_cselect_b32 s3, s16, s7
	s_xor_b32 s3, s3, s2
	s_sub_i32 s2, s3, s2
	s_abs_i32 s7, s2
	v_cvt_f32_u32_e32 v1, s7
	s_sub_i32 s13, 0, s7
	s_ashr_i32 s3, s2, 31
	v_rcp_iflag_f32_e32 v1, v1
	v_mul_f32_e32 v1, 0x4f7ffffe, v1
	v_cvt_u32_f32_e32 v1, v1
	v_mul_lo_u32 v2, s13, v1
	v_mul_hi_u32 v2, v1, v2
	v_add_u32_e32 v1, v1, v2
	v_mul_hi_u32 v1, v0, v1
	v_mul_lo_u32 v2, v1, s7
	v_sub_u32_e32 v2, v0, v2
	v_add_u32_e32 v3, 1, v1
	v_cmp_le_u32_e32 vcc, s7, v2
	v_cndmask_b32_e32 v1, v1, v3, vcc
	v_subrev_u32_e32 v3, s7, v2
	v_cndmask_b32_e32 v2, v2, v3, vcc
	v_add_u32_e32 v3, 1, v1
	v_cmp_le_u32_e32 vcc, s7, v2
	v_cndmask_b32_e32 v1, v1, v3, vcc
	v_xor_b32_e32 v1, s3, v1
	v_subrev_u32_e32 v2, s3, v1
	v_mul_lo_u32 v1, v2, s2
	v_ashrrev_i32_e32 v3, 31, v2
	v_sub_u32_e32 v4, v0, v1
	v_lshlrev_b64 v[8:9], 5, v[2:3]
	v_add_co_u32_e32 v6, vcc, v8, v4
	v_addc_co_u32_e32 v7, vcc, 0, v9, vcc
	v_add_co_u32_e32 v8, vcc, 32, v8
	v_addc_co_u32_e32 v9, vcc, 0, v9, vcc
	s_ashr_i32 s13, s12, 31
	v_mov_b32_e32 v1, s13
	v_cmp_gt_i64_e32 vcc, s[12:13], v[8:9]
	v_cndmask_b32_e32 v9, v1, v9, vcc
	v_mov_b32_e32 v1, s12
	v_cndmask_b32_e32 v8, v1, v8, vcc
	v_ashrrev_i32_e32 v11, 31, v8
	v_mov_b32_e32 v10, v8
	v_cmp_lt_i64_e32 vcc, v[6:7], v[10:11]
	s_and_saveexec_b64 s[22:23], vcc
	s_cbranch_execz .LBB27_26
; %bb.17:
	v_lshlrev_b64 v[12:13], 9, v[2:3]
	v_lshlrev_b64 v[14:15], 4, v[4:5]
	v_add_co_u32_e32 v12, vcc, v12, v14
	v_addc_co_u32_e32 v1, vcc, v13, v15, vcc
	s_lshl_b64 s[24:25], s[2:3], 6
	s_mul_hi_i32 s7, s2, 3
	s_mul_i32 s13, s2, 3
	s_lshl_b64 s[26:27], s[2:3], 1
	s_lshl_b64 s[30:31], s[2:3], 4
	s_mov_b64 s[28:29], 0
	v_mov_b32_e32 v5, 0
	v_mov_b32_e32 v13, s44
	;; [unrolled: 1-line block ×4, first 2 shown]
	v_pk_mov_b32 v[14:15], v[6:7], v[6:7] op_sel:[0,1]
                                        ; implicit-def: $sgpr34_sgpr35
	s_branch .LBB27_21
.LBB27_18:                              ;   in Loop: Header=BB27_21 Depth=1
	s_or_b64 exec, exec, s[40:41]
	s_orn2_b64 s[40:41], s[42:43], exec
.LBB27_19:                              ;   in Loop: Header=BB27_21 Depth=1
	s_or_b64 exec, exec, s[38:39]
	s_andn2_b64 s[34:35], s[34:35], exec
	s_and_b64 s[38:39], s[40:41], exec
	s_or_b64 s[34:35], s[34:35], s[38:39]
.LBB27_20:                              ;   in Loop: Header=BB27_21 Depth=1
	s_or_b64 exec, exec, s[36:37]
	s_and_b64 s[36:37], exec, s[34:35]
	s_or_b64 s[28:29], s[36:37], s[28:29]
	s_andn2_b64 exec, exec, s[28:29]
	s_cbranch_execz .LBB27_25
.LBB27_21:                              ; =>This Inner Loop Header: Depth=1
	v_add_co_u32_e32 v18, vcc, s33, v12
	v_addc_co_u32_e32 v19, vcc, v13, v1, vcc
	v_add_co_u32_e32 v20, vcc, s14, v12
	global_load_dwordx4 v[24:27], v[18:19], off
	v_addc_co_u32_e32 v21, vcc, v22, v1, vcc
	global_load_dwordx4 v[28:31], v[20:21], off
	v_add_co_u32_e32 v16, vcc, s2, v14
	v_addc_co_u32_e32 v17, vcc, v15, v23, vcc
	v_cmp_lt_i64_e32 vcc, v[16:17], v[10:11]
	s_or_b64 s[34:35], s[34:35], exec
	s_waitcnt vmcnt(1) lgkmcnt(0)
	v_mul_f32_e32 v24, v36, v24
	v_mul_f32_e32 v25, v36, v25
	;; [unrolled: 1-line block ×4, first 2 shown]
	s_waitcnt vmcnt(0)
	v_mul_f32_e32 v24, v24, v28
	v_mul_f32_e32 v25, v25, v29
	;; [unrolled: 1-line block ×4, first 2 shown]
	v_max3_f32 v5, v5, |v24|, |v25|
	v_max3_f32 v5, v5, |v26|, |v27|
	s_and_saveexec_b64 s[36:37], vcc
	s_cbranch_execz .LBB27_20
; %bb.22:                               ;   in Loop: Header=BB27_21 Depth=1
	v_mov_b32_e32 v28, s31
	v_add_co_u32_e32 v18, vcc, s30, v18
	v_addc_co_u32_e32 v19, vcc, v19, v28, vcc
	v_add_co_u32_e32 v20, vcc, s30, v20
	global_load_dwordx4 v[24:27], v[18:19], off
	v_addc_co_u32_e32 v21, vcc, v21, v28, vcc
	global_load_dwordx4 v[28:31], v[20:21], off
	v_mov_b32_e32 v33, s27
	v_add_co_u32_e32 v32, vcc, s26, v14
	v_addc_co_u32_e32 v33, vcc, v33, v15, vcc
	v_cmp_lt_i64_e32 vcc, v[32:33], v[10:11]
	s_mov_b64 s[40:41], -1
	s_waitcnt vmcnt(1)
	v_mul_f32_e32 v24, v36, v24
	v_mul_f32_e32 v25, v36, v25
	;; [unrolled: 1-line block ×4, first 2 shown]
	s_waitcnt vmcnt(0)
	v_mul_f32_e32 v24, v24, v28
	v_mul_f32_e32 v25, v25, v29
	;; [unrolled: 1-line block ×4, first 2 shown]
	v_max3_f32 v5, v5, |v24|, |v25|
	v_max3_f32 v5, v5, |v26|, |v27|
	s_and_saveexec_b64 s[38:39], vcc
	s_cbranch_execz .LBB27_19
; %bb.23:                               ;   in Loop: Header=BB27_21 Depth=1
	v_mov_b32_e32 v28, s31
	v_add_co_u32_e32 v18, vcc, s30, v18
	v_addc_co_u32_e32 v19, vcc, v19, v28, vcc
	v_add_co_u32_e32 v20, vcc, s30, v20
	global_load_dwordx4 v[24:27], v[18:19], off
	v_addc_co_u32_e32 v21, vcc, v21, v28, vcc
	global_load_dwordx4 v[28:31], v[20:21], off
	v_mov_b32_e32 v32, s7
	v_add_co_u32_e32 v14, vcc, s13, v14
	v_addc_co_u32_e32 v15, vcc, v32, v15, vcc
	v_cmp_lt_i64_e32 vcc, v[14:15], v[10:11]
	s_mov_b64 s[42:43], -1
	s_waitcnt vmcnt(1)
	v_mul_f32_e32 v14, v36, v24
	v_mul_f32_e32 v15, v36, v25
	;; [unrolled: 1-line block ×4, first 2 shown]
	s_waitcnt vmcnt(0)
	v_mul_f32_e32 v14, v14, v28
	v_mul_f32_e32 v15, v15, v29
	v_mul_f32_e32 v24, v24, v30
	v_mul_f32_e32 v25, v25, v31
	v_max3_f32 v5, v5, |v14|, |v15|
	v_max3_f32 v5, v5, |v24|, |v25|
                                        ; implicit-def: $vgpr14_vgpr15
	s_and_saveexec_b64 s[40:41], vcc
	s_xor_b64 s[40:41], exec, s[40:41]
	s_cbranch_execz .LBB27_18
; %bb.24:                               ;   in Loop: Header=BB27_21 Depth=1
	v_mov_b32_e32 v28, s31
	v_add_co_u32_e32 v14, vcc, s30, v18
	v_addc_co_u32_e32 v15, vcc, v19, v28, vcc
	global_load_dwordx4 v[24:27], v[14:15], off
	v_add_co_u32_e32 v14, vcc, s30, v20
	v_addc_co_u32_e32 v15, vcc, v21, v28, vcc
	global_load_dwordx4 v[18:21], v[14:15], off
	s_add_u32 s16, s2, s2
	s_addc_u32 s19, s3, s3
	v_mov_b32_e32 v14, s25
	v_add_co_u32_e32 v12, vcc, s24, v12
	s_add_u32 s16, s16, s2
	v_addc_co_u32_e32 v1, vcc, v1, v14, vcc
	s_addc_u32 s19, s19, s3
	v_mov_b32_e32 v15, s19
	v_add_co_u32_e32 v14, vcc, s16, v16
	v_addc_co_u32_e32 v15, vcc, v15, v17, vcc
	v_cmp_ge_i64_e32 vcc, v[14:15], v[10:11]
	s_orn2_b64 s[42:43], vcc, exec
	s_waitcnt vmcnt(1)
	v_mul_f32_e32 v16, v36, v24
	v_mul_f32_e32 v17, v36, v25
	v_mul_f32_e32 v24, v36, v26
	v_mul_f32_e32 v25, v36, v27
	s_waitcnt vmcnt(0)
	v_mul_f32_e32 v16, v16, v18
	v_mul_f32_e32 v17, v17, v19
	;; [unrolled: 1-line block ×4, first 2 shown]
	v_max3_f32 v5, v5, |v16|, |v17|
	v_max3_f32 v5, v5, |v18|, |v19|
	s_branch .LBB27_18
.LBB27_25:
	s_or_b64 exec, exec, s[28:29]
.LBB27_26:
	s_or_b64 exec, exec, s[22:23]
	s_lshr_b32 s7, s45, 6
	v_cvt_f32_u32_e32 v10, s7
	v_lshlrev_b32_e32 v1, 2, v0
	ds_write_b32 v1, v5
	s_sub_i32 s22, 0, s7
	v_rcp_iflag_f32_e32 v5, v10
	s_add_i32 s13, s18, s7
	s_add_i32 s13, s13, -1
	s_ashr_i32 s16, s13, 31
	v_mul_f32_e32 v5, 0x4f7ffffe, v5
	v_cvt_u32_f32_e32 v5, v5
	s_abs_i32 s13, s13
	s_ashr_i32 s19, s18, 31
	s_waitcnt lgkmcnt(0)
	v_readfirstlane_b32 s23, v5
	s_mul_i32 s22, s22, s23
	s_mul_hi_u32 s22, s23, s22
	s_add_i32 s23, s23, s22
	s_mul_hi_u32 s22, s13, s23
	s_mul_i32 s23, s22, s7
	s_sub_i32 s13, s13, s23
	s_add_i32 s23, s22, 1
	s_sub_i32 s24, s13, s7
	s_cmp_ge_u32 s13, s7
	s_cselect_b32 s22, s23, s22
	s_cselect_b32 s13, s24, s13
	s_add_i32 s23, s22, 1
	s_cmp_ge_u32 s13, s7
	s_cselect_b32 s13, s23, s22
	s_xor_b32 s13, s13, s16
	s_sub_i32 s22, s13, s16
	s_ashr_i32 s23, s22, 31
	v_cmp_lt_i64_e64 s[24:25], s[22:23], 1
	s_and_b64 vcc, exec, s[24:25]
	s_barrier
	s_cbranch_vccnz .LBB27_48
; %bb.27:
	v_and_b32_e32 v12, 63, v0
	v_add_co_u32_e32 v14, vcc, 32, v12
	v_addc_co_u32_e64 v15, s[24:25], 0, 0, vcc
	v_add_co_u32_e32 v16, vcc, 16, v12
	v_addc_co_u32_e64 v17, s[24:25], 0, 0, vcc
	v_add_co_u32_e32 v18, vcc, 8, v12
	v_lshrrev_b32_e32 v10, 6, v0
	v_addc_co_u32_e64 v19, s[24:25], 0, 0, vcc
	v_add_co_u32_e32 v20, vcc, 4, v12
	v_addc_co_u32_e64 v21, s[24:25], 0, 0, vcc
	v_add_co_u32_e32 v22, vcc, 2, v12
	v_mul_lo_u32 v5, s2, v10
	v_addc_co_u32_e64 v23, s[24:25], 0, 0, vcc
	v_add_co_u32_e32 v24, vcc, 1, v12
	v_lshlrev_b32_e32 v5, 2, v5
	v_lshlrev_b32_e32 v26, 2, v12
	s_movk_i32 s13, 0x100
	v_mov_b32_e32 v11, 0
	v_addc_co_u32_e64 v25, s[24:25], 0, 0, vcc
	v_add3_u32 v5, v5, v26, s13
	s_mul_i32 s13, s2, s7
	v_mov_b32_e32 v13, v11
	s_lshl_b32 s13, s13, 2
	s_mov_b64 s[24:25], 0
	v_mov_b32_e32 v37, s7
	s_mov_b64 s[26:27], src_shared_base
	s_branch .LBB27_30
.LBB27_28:                              ;   in Loop: Header=BB27_30 Depth=1
	s_or_b64 exec, exec, s[30:31]
	v_mov_b32_e32 v27, s27
	flat_load_dword v26, v[26:27] glc
	s_waitcnt vmcnt(0)
.LBB27_29:                              ;   in Loop: Header=BB27_30 Depth=1
	s_or_b64 exec, exec, s[28:29]
	s_add_u32 s24, s24, 1
	s_addc_u32 s25, s25, 0
	s_cmp_eq_u64 s[24:25], s[22:23]
	v_add_u32_e32 v5, s13, v5
	s_cbranch_scc1 .LBB27_48
.LBB27_30:                              ; =>This Loop Header: Depth=1
                                        ;     Child Loop BB27_33 Depth 2
	v_mad_u64_u32 v[30:31], s[28:29], s24, v37, v[10:11]
	s_mul_i32 s16, s25, s7
	v_add_u32_e32 v31, s16, v31
	v_cmp_gt_i64_e32 vcc, s[18:19], v[30:31]
	s_and_saveexec_b64 s[28:29], vcc
	s_cbranch_execz .LBB27_29
; %bb.31:                               ;   in Loop: Header=BB27_30 Depth=1
	v_pk_mov_b32 v[32:33], s[2:3], s[2:3] op_sel:[0,1]
	v_mul_lo_u32 v29, v31, s2
	v_mul_lo_u32 v38, v30, s3
	v_mad_u64_u32 v[32:33], s[30:31], v30, s2, v[32:33]
	v_add3_u32 v33, v29, v33, v38
	v_mov_b32_e32 v28, s21
	v_cmp_gt_i64_e32 vcc, s[20:21], v[32:33]
	s_waitcnt lgkmcnt(0)
	v_mad_u64_u32 v[26:27], s[30:31], v30, s2, v[12:13]
	v_cndmask_b32_e32 v33, v28, v33, vcc
	v_mov_b32_e32 v28, s17
	v_add3_u32 v27, v29, v27, v38
	v_cndmask_b32_e32 v32, v28, v32, vcc
	v_add_co_u32_e32 v34, vcc, 64, v26
	v_addc_co_u32_e32 v35, vcc, 0, v27, vcc
	v_cmp_lt_i64_e32 vcc, v[34:35], v[32:33]
	v_lshlrev_b32_e32 v28, 2, v26
	s_and_saveexec_b64 s[30:31], vcc
	s_cbranch_execz .LBB27_34
; %bb.32:                               ;   in Loop: Header=BB27_30 Depth=1
	ds_read_b32 v31, v28
	s_mov_b64 s[34:35], 0
	v_mov_b32_e32 v27, v5
.LBB27_33:                              ;   Parent Loop BB27_30 Depth=1
                                        ; =>  This Inner Loop Header: Depth=2
	ds_read_b32 v39, v27
	v_add_co_u32_e32 v34, vcc, 64, v34
	v_addc_co_u32_e32 v35, vcc, 0, v35, vcc
	s_waitcnt lgkmcnt(1)
	v_max_f32_e32 v31, v31, v31
	v_cmp_ge_i64_e32 vcc, v[34:35], v[32:33]
	s_waitcnt lgkmcnt(0)
	v_max_f32_e32 v39, v39, v39
	v_add_u32_e32 v27, 0x100, v27
	s_or_b64 s[34:35], vcc, s[34:35]
	v_max_f32_e32 v31, v31, v39
	ds_write_b32 v28, v31
	s_andn2_b64 exec, exec, s[34:35]
	s_cbranch_execnz .LBB27_33
.LBB27_34:                              ;   in Loop: Header=BB27_30 Depth=1
	s_or_b64 exec, exec, s[30:31]
	v_mad_u64_u32 v[30:31], s[30:31], v30, s2, 0
	v_add3_u32 v27, v31, v38, v29
	v_sub_co_u32_e32 v30, vcc, v32, v30
	v_subb_co_u32_e32 v31, vcc, v33, v27, vcc
	v_cmp_gt_i64_e32 vcc, 64, v[30:31]
	v_cndmask_b32_e32 v31, 0, v31, vcc
	v_cndmask_b32_e32 v30, 64, v30, vcc
	v_cmp_lt_i64_e32 vcc, v[14:15], v[30:31]
	s_and_saveexec_b64 s[30:31], vcc
	s_cbranch_execnz .LBB27_46
; %bb.35:                               ;   in Loop: Header=BB27_30 Depth=1
	s_or_b64 exec, exec, s[30:31]
	v_cmp_lt_i64_e32 vcc, v[16:17], v[30:31]
	s_and_saveexec_b64 s[30:31], vcc
	s_cbranch_execnz .LBB27_47
.LBB27_36:                              ;   in Loop: Header=BB27_30 Depth=1
	s_or_b64 exec, exec, s[30:31]
	v_cmp_lt_i64_e32 vcc, v[18:19], v[30:31]
	s_and_saveexec_b64 s[30:31], vcc
	s_cbranch_execz .LBB27_38
.LBB27_37:                              ;   in Loop: Header=BB27_30 Depth=1
	v_mov_b32_e32 v29, s27
	v_add_u32_e32 v32, 32, v28
	v_mov_b32_e32 v33, s27
	flat_load_dword v27, v[28:29] glc
	s_waitcnt vmcnt(0)
	flat_load_dword v34, v[32:33] glc
	s_waitcnt vmcnt(0) lgkmcnt(0)
	v_max_f32_e32 v27, v27, v27
	v_max_f32_e32 v32, v34, v34
	;; [unrolled: 1-line block ×3, first 2 shown]
	flat_store_dword v[28:29], v27
	s_waitcnt vmcnt(0)
.LBB27_38:                              ;   in Loop: Header=BB27_30 Depth=1
	s_or_b64 exec, exec, s[30:31]
	v_cmp_ge_i64_e32 vcc, v[20:21], v[30:31]
	s_and_saveexec_b64 s[30:31], vcc
	s_xor_b64 s[30:31], exec, s[30:31]
; %bb.39:                               ;   in Loop: Header=BB27_30 Depth=1
                                        ; implicit-def: $vgpr28
; %bb.40:                               ;   in Loop: Header=BB27_30 Depth=1
	s_andn2_saveexec_b64 s[30:31], s[30:31]
	s_cbranch_execz .LBB27_42
; %bb.41:                               ;   in Loop: Header=BB27_30 Depth=1
	v_mov_b32_e32 v29, s27
	v_add_u32_e32 v32, 16, v28
	v_mov_b32_e32 v33, s27
	flat_load_dword v27, v[28:29] glc
	s_waitcnt vmcnt(0)
	flat_load_dword v34, v[32:33] glc
	s_waitcnt vmcnt(0) lgkmcnt(0)
	v_max_f32_e32 v27, v27, v27
	v_max_f32_e32 v32, v34, v34
	;; [unrolled: 1-line block ×3, first 2 shown]
	flat_store_dword v[28:29], v27
	s_waitcnt vmcnt(0)
.LBB27_42:                              ;   in Loop: Header=BB27_30 Depth=1
	s_or_b64 exec, exec, s[30:31]
	v_cmp_lt_i64_e32 vcc, v[22:23], v[30:31]
	v_lshlrev_b32_e32 v26, 2, v26
	s_and_saveexec_b64 s[30:31], vcc
	s_cbranch_execz .LBB27_44
; %bb.43:                               ;   in Loop: Header=BB27_30 Depth=1
	v_mov_b32_e32 v27, s27
	v_add_u32_e32 v28, 8, v26
	v_mov_b32_e32 v29, s27
	flat_load_dword v32, v[26:27] glc
	s_waitcnt vmcnt(0)
	flat_load_dword v33, v[28:29] glc
	s_waitcnt vmcnt(0) lgkmcnt(0)
	v_max_f32_e32 v28, v32, v32
	v_max_f32_e32 v29, v33, v33
	;; [unrolled: 1-line block ×3, first 2 shown]
	flat_store_dword v[26:27], v28
	s_waitcnt vmcnt(0)
.LBB27_44:                              ;   in Loop: Header=BB27_30 Depth=1
	s_or_b64 exec, exec, s[30:31]
	v_cmp_lt_i64_e32 vcc, v[24:25], v[30:31]
	s_and_saveexec_b64 s[30:31], vcc
	s_cbranch_execz .LBB27_28
; %bb.45:                               ;   in Loop: Header=BB27_30 Depth=1
	v_mov_b32_e32 v27, s27
	v_add_u32_e32 v28, 4, v26
	v_mov_b32_e32 v29, s27
	flat_load_dword v30, v[26:27] glc
	s_waitcnt vmcnt(0)
	flat_load_dword v31, v[28:29] glc
	s_waitcnt vmcnt(0) lgkmcnt(0)
	v_max_f32_e32 v28, v30, v30
	v_max_f32_e32 v29, v31, v31
	;; [unrolled: 1-line block ×3, first 2 shown]
	flat_store_dword v[26:27], v28
	s_waitcnt vmcnt(0)
	s_branch .LBB27_28
.LBB27_46:                              ;   in Loop: Header=BB27_30 Depth=1
	v_mov_b32_e32 v29, s27
	v_add_u32_e32 v32, 0x80, v28
	v_mov_b32_e32 v33, s27
	flat_load_dword v27, v[28:29] glc
	s_waitcnt vmcnt(0)
	flat_load_dword v34, v[32:33] glc
	s_waitcnt vmcnt(0) lgkmcnt(0)
	v_max_f32_e32 v27, v27, v27
	v_max_f32_e32 v32, v34, v34
	;; [unrolled: 1-line block ×3, first 2 shown]
	flat_store_dword v[28:29], v27
	s_waitcnt vmcnt(0)
	s_or_b64 exec, exec, s[30:31]
	v_cmp_lt_i64_e32 vcc, v[16:17], v[30:31]
	s_and_saveexec_b64 s[30:31], vcc
	s_cbranch_execz .LBB27_36
.LBB27_47:                              ;   in Loop: Header=BB27_30 Depth=1
	v_mov_b32_e32 v29, s27
	v_add_u32_e32 v32, 64, v28
	v_mov_b32_e32 v33, s27
	flat_load_dword v27, v[28:29] glc
	s_waitcnt vmcnt(0)
	flat_load_dword v34, v[32:33] glc
	s_waitcnt vmcnt(0) lgkmcnt(0)
	v_max_f32_e32 v27, v27, v27
	v_max_f32_e32 v32, v34, v34
	;; [unrolled: 1-line block ×3, first 2 shown]
	flat_store_dword v[28:29], v27
	s_waitcnt vmcnt(0)
	s_or_b64 exec, exec, s[30:31]
	v_cmp_lt_i64_e32 vcc, v[18:19], v[30:31]
	s_and_saveexec_b64 s[30:31], vcc
	s_cbranch_execnz .LBB27_37
	s_branch .LBB27_38
.LBB27_48:
	v_cmp_eq_u32_e32 vcc, 0, v4
	v_cmp_lt_i64_e64 s[2:3], v[6:7], v[8:9]
	s_and_b64 s[22:23], vcc, s[2:3]
	s_mul_i32 s7, s19, s6
	s_mul_hi_u32 s16, s18, s6
	s_mul_i32 s2, s18, s6
	s_waitcnt lgkmcnt(0)
	s_barrier
	s_and_saveexec_b64 s[18:19], s[22:23]
	s_cbranch_execz .LBB27_52
; %bb.49:
	s_load_dwordx2 s[4:5], s[4:5], 0x20
	ds_read_b32 v1, v1
	s_waitcnt lgkmcnt(0)
	s_cmp_eq_u64 s[4:5], 0
	s_cbranch_scc1 .LBB27_51
; %bb.50:
	s_load_dword s3, s[4:5], 0x0
	v_max_f32_e32 v1, v1, v1
	s_waitcnt lgkmcnt(0)
	v_max_f32_e64 v4, s3, s3
	v_min_f32_e32 v1, v1, v4
.LBB27_51:
	s_mov_b32 s3, 0x43e00000
	v_div_scale_f32 v4, s[4:5], s3, s3, v1
	v_rcp_f32_e32 v5, v4
	v_div_scale_f32 v6, vcc, v1, s3, v1
	v_lshlrev_b64 v[2:3], 2, v[2:3]
	v_fma_f32 v7, -v4, v5, 1.0
	v_fmac_f32_e32 v5, v7, v5
	v_mul_f32_e32 v7, v6, v5
	v_fma_f32 v8, -v4, v7, v6
	v_fmac_f32_e32 v7, v8, v5
	v_fma_f32 v4, -v4, v7, v6
	v_div_fmas_f32 v4, v4, v5, v7
	v_div_fixup_f32 v1, v4, s3, v1
	s_add_i32 s3, s16, s7
	s_lshl_b64 s[4:5], s[2:3], 2
	s_add_u32 s3, s10, s4
	s_addc_u32 s4, s11, s5
	v_mov_b32_e32 v4, s4
	v_add_co_u32_e32 v2, vcc, s3, v2
	v_max_f32_e32 v1, 0x36924925, v1
	v_addc_co_u32_e32 v3, vcc, v4, v3, vcc
	global_store_dword v[2:3], v1, off
.LBB27_52:
	s_or_b64 exec, exec, s[18:19]
	s_barrier
	s_and_saveexec_b64 s[4:5], s[0:1]
	s_cbranch_execz .LBB27_157
; %bb.53:
	s_mul_i32 s0, s21, s6
	s_mul_hi_u32 s1, s17, s6
	s_add_i32 s1, s1, s0
	s_mul_i32 s0, s17, s6
	s_add_u32 s13, s8, s0
	s_addc_u32 s18, s9, s1
	s_add_i32 s3, s16, s7
	s_lshl_b64 s[0:1], s[2:3], 2
	s_add_u32 s0, s10, s0
	s_addc_u32 s1, s11, s1
	s_mul_i32 s19, s45, 3
	s_lshl_b32 s20, s45, 1
	s_mov_b64 s[2:3], 0
	v_mov_b32_e32 v1, 0
	v_mov_b32_e32 v14, s44
	;; [unrolled: 1-line block ×3, first 2 shown]
	s_mov_b32 s21, 0x43f00000
	s_mov_b32 s22, 0x3c7fffff
	;; [unrolled: 1-line block ×4, first 2 shown]
	s_movk_i32 s25, 0x80
	s_movk_i32 s26, 0xff
	s_branch .LBB27_59
.LBB27_54:                              ;   in Loop: Header=BB27_59 Depth=1
	s_or_b64 exec, exec, s[16:17]
.LBB27_55:                              ;   in Loop: Header=BB27_59 Depth=1
	s_or_b64 exec, exec, s[10:11]
	v_and_b32_sdwa v12, v8, s25 dst_sel:DWORD dst_unused:UNUSED_PAD src0_sel:BYTE_3 src1_sel:DWORD
	v_lshlrev_b64 v[8:9], 2, v[0:1]
	v_and_b32_sdwa v3, v3, s25 dst_sel:DWORD dst_unused:UNUSED_PAD src0_sel:BYTE_3 src1_sel:DWORD
	v_mov_b32_e32 v0, s18
	v_add_co_u32_e32 v8, vcc, s13, v8
	v_and_or_b32 v4, v4, s26, v12
	v_lshrrev_b32_e32 v11, 24, v11
	v_addc_co_u32_e32 v9, vcc, v0, v9, vcc
	v_lshlrev_b32_e32 v0, 24, v7
	v_and_b32_e32 v5, 0x80000000, v5
	v_lshlrev_b32_e32 v4, 16, v4
	v_and_or_b32 v2, v2, s26, v3
	v_and_b32_e32 v3, 0xff, v6
	v_or3_b32 v0, v5, v0, v4
	v_lshlrev_b32_e32 v2, 8, v2
	v_and_or_b32 v3, v11, s25, v3
	s_add_i32 s10, s45, s45
	v_or3_b32 v0, v0, v2, v3
	s_add_i32 s10, s10, s45
	global_store_dword v[8:9], v0, off
	v_add_u32_e32 v0, s10, v10
	v_cmp_le_u32_e32 vcc, s12, v0
	s_orn2_b64 s[10:11], vcc, exec
.LBB27_56:                              ;   in Loop: Header=BB27_59 Depth=1
	s_or_b64 exec, exec, s[8:9]
	s_orn2_b64 s[8:9], s[10:11], exec
.LBB27_57:                              ;   in Loop: Header=BB27_59 Depth=1
	s_or_b64 exec, exec, s[6:7]
	s_orn2_b64 s[6:7], s[8:9], exec
.LBB27_58:                              ;   in Loop: Header=BB27_59 Depth=1
	s_or_b64 exec, exec, s[4:5]
	s_and_b64 s[4:5], exec, s[6:7]
	s_or_b64 s[2:3], s[4:5], s[2:3]
	s_andn2_b64 exec, exec, s[2:3]
	s_cbranch_execz .LBB27_157
.LBB27_59:                              ; =>This Inner Loop Header: Depth=1
	v_lshlrev_b64 v[6:7], 4, v[0:1]
	v_add_co_u32_e32 v2, vcc, s33, v6
	v_addc_co_u32_e32 v3, vcc, v14, v7, vcc
	v_add_co_u32_e32 v6, vcc, s14, v6
	global_load_dwordx4 v[2:5], v[2:3], off
	v_addc_co_u32_e32 v7, vcc, v15, v7, vcc
	v_lshrrev_b32_e32 v10, 3, v0
	global_load_dwordx4 v[6:9], v[6:7], off
	v_and_b32_e32 v10, 0x7fffffc, v10
	global_load_dword v11, v10, s[0:1]
	s_waitcnt vmcnt(2)
	v_mul_f32_e32 v2, v36, v2
	s_waitcnt vmcnt(1)
	v_mul_f32_e32 v6, v2, v6
	v_mov_b32_e32 v2, 0x7f
	s_waitcnt vmcnt(0)
	v_div_scale_f32 v10, s[4:5], v11, v11, v6
	v_rcp_f32_e32 v12, v10
	v_div_scale_f32 v13, vcc, v6, v11, v6
	v_fma_f32 v16, -v10, v12, 1.0
	v_fmac_f32_e32 v12, v16, v12
	v_mul_f32_e32 v16, v13, v12
	v_fma_f32 v17, -v10, v16, v13
	v_fmac_f32_e32 v16, v17, v12
	v_fma_f32 v10, -v10, v16, v13
	v_div_fmas_f32 v10, v10, v12, v16
	v_div_fixup_f32 v6, v10, v11, v6
	v_min_f32_e32 v6, 0x43e00000, v6
	v_max_f32_e32 v10, 0xc3e00000, v6
	v_and_b32_e32 v12, 0x7fffffff, v10
	v_cmp_gt_u32_e32 vcc, s21, v12
	v_mov_b32_e32 v6, 0x7f
	s_and_saveexec_b64 s[4:5], vcc
	s_cbranch_execz .LBB27_65
; %bb.60:                               ;   in Loop: Header=BB27_59 Depth=1
	v_cmp_lt_u32_e32 vcc, s22, v12
                                        ; implicit-def: $vgpr6
	s_and_saveexec_b64 s[6:7], vcc
	s_xor_b64 s[6:7], exec, s[6:7]
; %bb.61:                               ;   in Loop: Header=BB27_59 Depth=1
	v_bfe_u32 v6, v10, 20, 1
	v_add3_u32 v6, v10, v6, s23
	v_lshrrev_b32_e32 v6, 20, v6
; %bb.62:                               ;   in Loop: Header=BB27_59 Depth=1
	s_andn2_saveexec_b64 s[6:7], s[6:7]
; %bb.63:                               ;   in Loop: Header=BB27_59 Depth=1
	v_add_f32_e64 v6, |v10|, s24
; %bb.64:                               ;   in Loop: Header=BB27_59 Depth=1
	s_or_b64 exec, exec, s[6:7]
.LBB27_65:                              ;   in Loop: Header=BB27_59 Depth=1
	s_or_b64 exec, exec, s[4:5]
	v_mul_f32_e32 v3, v36, v3
	v_mul_f32_e32 v3, v3, v7
	v_div_scale_f32 v7, s[4:5], v11, v11, v3
	v_rcp_f32_e32 v12, v7
	v_div_scale_f32 v13, vcc, v3, v11, v3
	v_fma_f32 v16, -v7, v12, 1.0
	v_fmac_f32_e32 v12, v16, v12
	v_mul_f32_e32 v16, v13, v12
	v_fma_f32 v17, -v7, v16, v13
	v_fmac_f32_e32 v16, v17, v12
	v_fma_f32 v7, -v7, v16, v13
	v_div_fmas_f32 v7, v7, v12, v16
	v_div_fixup_f32 v3, v7, v11, v3
	v_min_f32_e32 v3, 0x43e00000, v3
	v_max_f32_e32 v3, 0xc3e00000, v3
	v_and_b32_e32 v7, 0x7fffffff, v3
	v_cmp_gt_u32_e32 vcc, s21, v7
	s_and_saveexec_b64 s[4:5], vcc
	s_cbranch_execz .LBB27_71
; %bb.66:                               ;   in Loop: Header=BB27_59 Depth=1
	v_cmp_lt_u32_e32 vcc, s22, v7
                                        ; implicit-def: $vgpr2
	s_and_saveexec_b64 s[6:7], vcc
	s_xor_b64 s[6:7], exec, s[6:7]
; %bb.67:                               ;   in Loop: Header=BB27_59 Depth=1
	v_bfe_u32 v2, v3, 20, 1
	v_add3_u32 v2, v3, v2, s23
	v_lshrrev_b32_e32 v2, 20, v2
; %bb.68:                               ;   in Loop: Header=BB27_59 Depth=1
	s_andn2_saveexec_b64 s[6:7], s[6:7]
; %bb.69:                               ;   in Loop: Header=BB27_59 Depth=1
	v_add_f32_e64 v2, |v3|, s24
; %bb.70:                               ;   in Loop: Header=BB27_59 Depth=1
	s_or_b64 exec, exec, s[6:7]
.LBB27_71:                              ;   in Loop: Header=BB27_59 Depth=1
	s_or_b64 exec, exec, s[4:5]
	v_mul_f32_e32 v4, v36, v4
	v_mul_f32_e32 v4, v4, v8
	v_div_scale_f32 v7, s[4:5], v11, v11, v4
	v_rcp_f32_e32 v8, v7
	v_div_scale_f32 v12, vcc, v4, v11, v4
	v_fma_f32 v13, -v7, v8, 1.0
	v_fmac_f32_e32 v8, v13, v8
	v_mul_f32_e32 v13, v12, v8
	v_fma_f32 v16, -v7, v13, v12
	v_fmac_f32_e32 v13, v16, v8
	v_fma_f32 v7, -v7, v13, v12
	v_div_fmas_f32 v7, v7, v8, v13
	v_div_fixup_f32 v4, v7, v11, v4
	v_min_f32_e32 v4, 0x43e00000, v4
	v_max_f32_e32 v8, 0xc3e00000, v4
	v_and_b32_e32 v12, 0x7fffffff, v8
	v_cmp_gt_u32_e32 vcc, s21, v12
	v_mov_b32_e32 v7, 0x7f
	v_mov_b32_e32 v4, 0x7f
	s_and_saveexec_b64 s[4:5], vcc
	s_cbranch_execz .LBB27_77
; %bb.72:                               ;   in Loop: Header=BB27_59 Depth=1
	v_cmp_lt_u32_e32 vcc, s22, v12
                                        ; implicit-def: $vgpr4
	s_and_saveexec_b64 s[6:7], vcc
	s_xor_b64 s[6:7], exec, s[6:7]
; %bb.73:                               ;   in Loop: Header=BB27_59 Depth=1
	v_bfe_u32 v4, v8, 20, 1
	v_add3_u32 v4, v8, v4, s23
	v_lshrrev_b32_e32 v4, 20, v4
; %bb.74:                               ;   in Loop: Header=BB27_59 Depth=1
	s_andn2_saveexec_b64 s[6:7], s[6:7]
; %bb.75:                               ;   in Loop: Header=BB27_59 Depth=1
	v_add_f32_e64 v4, |v8|, s24
; %bb.76:                               ;   in Loop: Header=BB27_59 Depth=1
	s_or_b64 exec, exec, s[6:7]
.LBB27_77:                              ;   in Loop: Header=BB27_59 Depth=1
	s_or_b64 exec, exec, s[4:5]
	v_mul_f32_e32 v5, v36, v5
	v_mul_f32_e32 v5, v5, v9
	v_div_scale_f32 v9, s[4:5], v11, v11, v5
	v_rcp_f32_e32 v12, v9
	v_div_scale_f32 v13, vcc, v5, v11, v5
	v_fma_f32 v16, -v9, v12, 1.0
	v_fmac_f32_e32 v12, v16, v12
	v_mul_f32_e32 v16, v13, v12
	v_fma_f32 v17, -v9, v16, v13
	v_fmac_f32_e32 v16, v17, v12
	v_fma_f32 v9, -v9, v16, v13
	v_div_fmas_f32 v9, v9, v12, v16
	v_div_fixup_f32 v5, v9, v11, v5
	v_min_f32_e32 v5, 0x43e00000, v5
	v_max_f32_e32 v5, 0xc3e00000, v5
	v_and_b32_e32 v9, 0x7fffffff, v5
	v_cmp_gt_u32_e32 vcc, s21, v9
	s_and_saveexec_b64 s[4:5], vcc
	s_cbranch_execz .LBB27_83
; %bb.78:                               ;   in Loop: Header=BB27_59 Depth=1
	v_cmp_lt_u32_e32 vcc, s22, v9
                                        ; implicit-def: $vgpr7
	s_and_saveexec_b64 s[6:7], vcc
	s_xor_b64 s[6:7], exec, s[6:7]
; %bb.79:                               ;   in Loop: Header=BB27_59 Depth=1
	v_bfe_u32 v7, v5, 20, 1
	v_add3_u32 v7, v5, v7, s23
	v_lshrrev_b32_e32 v7, 20, v7
; %bb.80:                               ;   in Loop: Header=BB27_59 Depth=1
	s_andn2_saveexec_b64 s[6:7], s[6:7]
; %bb.81:                               ;   in Loop: Header=BB27_59 Depth=1
	v_add_f32_e64 v7, |v5|, s24
; %bb.82:                               ;   in Loop: Header=BB27_59 Depth=1
	s_or_b64 exec, exec, s[6:7]
.LBB27_83:                              ;   in Loop: Header=BB27_59 Depth=1
	s_or_b64 exec, exec, s[4:5]
	v_and_b32_sdwa v11, v8, s25 dst_sel:DWORD dst_unused:UNUSED_PAD src0_sel:BYTE_3 src1_sel:DWORD
	v_and_b32_sdwa v3, v3, s25 dst_sel:DWORD dst_unused:UNUSED_PAD src0_sel:BYTE_3 src1_sel:DWORD
	v_lshlrev_b64 v[8:9], 2, v[0:1]
	v_and_or_b32 v4, v4, s26, v11
	v_lshrrev_b32_e32 v10, 24, v10
	v_mov_b32_e32 v12, s18
	v_add_co_u32_e32 v8, vcc, s13, v8
	v_lshlrev_b32_e32 v7, 24, v7
	v_and_b32_e32 v5, 0x80000000, v5
	v_lshlrev_b32_e32 v4, 16, v4
	v_and_or_b32 v2, v2, s26, v3
	v_and_b32_e32 v3, 0xff, v6
	v_addc_co_u32_e32 v9, vcc, v12, v9, vcc
	v_or3_b32 v4, v5, v7, v4
	v_lshlrev_b32_e32 v2, 8, v2
	v_and_or_b32 v3, v10, s25, v3
	v_add_u32_e32 v10, s45, v0
	v_or3_b32 v2, v4, v2, v3
	v_cmp_gt_u32_e32 vcc, s12, v10
	s_mov_b64 s[6:7], -1
	global_store_dword v[8:9], v2, off
	s_and_saveexec_b64 s[4:5], vcc
	s_cbranch_execz .LBB27_58
; %bb.84:                               ;   in Loop: Header=BB27_59 Depth=1
	v_mov_b32_e32 v11, v1
	v_lshlrev_b64 v[6:7], 4, v[10:11]
	v_mov_b32_e32 v3, s44
	v_add_co_u32_e32 v2, vcc, s33, v6
	v_addc_co_u32_e32 v3, vcc, v3, v7, vcc
	v_mov_b32_e32 v8, s15
	v_add_co_u32_e32 v6, vcc, s14, v6
	global_load_dwordx4 v[2:5], v[2:3], off
	v_addc_co_u32_e32 v7, vcc, v8, v7, vcc
	v_lshrrev_b32_e32 v12, 3, v10
	global_load_dwordx4 v[6:9], v[6:7], off
	v_and_b32_e32 v12, 0x7fffffc, v12
	global_load_dword v13, v12, s[0:1]
	s_waitcnt vmcnt(2)
	v_mul_f32_e32 v2, v36, v2
	s_waitcnt vmcnt(1)
	v_mul_f32_e32 v6, v2, v6
	v_mov_b32_e32 v2, 0x7f
	s_waitcnt vmcnt(0)
	v_div_scale_f32 v12, s[6:7], v13, v13, v6
	v_rcp_f32_e32 v16, v12
	v_div_scale_f32 v17, vcc, v6, v13, v6
	v_fma_f32 v18, -v12, v16, 1.0
	v_fmac_f32_e32 v16, v18, v16
	v_mul_f32_e32 v18, v17, v16
	v_fma_f32 v19, -v12, v18, v17
	v_fmac_f32_e32 v18, v19, v16
	v_fma_f32 v12, -v12, v18, v17
	v_div_fmas_f32 v12, v12, v16, v18
	v_div_fixup_f32 v6, v12, v13, v6
	v_min_f32_e32 v6, 0x43e00000, v6
	v_max_f32_e32 v12, 0xc3e00000, v6
	v_and_b32_e32 v16, 0x7fffffff, v12
	v_cmp_gt_u32_e32 vcc, s21, v16
	v_mov_b32_e32 v6, 0x7f
	s_and_saveexec_b64 s[6:7], vcc
	s_cbranch_execz .LBB27_90
; %bb.85:                               ;   in Loop: Header=BB27_59 Depth=1
	v_cmp_lt_u32_e32 vcc, s22, v16
                                        ; implicit-def: $vgpr6
	s_and_saveexec_b64 s[8:9], vcc
	s_xor_b64 s[8:9], exec, s[8:9]
; %bb.86:                               ;   in Loop: Header=BB27_59 Depth=1
	v_bfe_u32 v6, v12, 20, 1
	v_add3_u32 v6, v12, v6, s23
	v_lshrrev_b32_e32 v6, 20, v6
; %bb.87:                               ;   in Loop: Header=BB27_59 Depth=1
	s_andn2_saveexec_b64 s[8:9], s[8:9]
; %bb.88:                               ;   in Loop: Header=BB27_59 Depth=1
	v_add_f32_e64 v6, |v12|, s24
; %bb.89:                               ;   in Loop: Header=BB27_59 Depth=1
	s_or_b64 exec, exec, s[8:9]
.LBB27_90:                              ;   in Loop: Header=BB27_59 Depth=1
	s_or_b64 exec, exec, s[6:7]
	v_mul_f32_e32 v3, v36, v3
	v_mul_f32_e32 v3, v3, v7
	v_div_scale_f32 v7, s[6:7], v13, v13, v3
	v_rcp_f32_e32 v16, v7
	v_div_scale_f32 v17, vcc, v3, v13, v3
	v_fma_f32 v18, -v7, v16, 1.0
	v_fmac_f32_e32 v16, v18, v16
	v_mul_f32_e32 v18, v17, v16
	v_fma_f32 v19, -v7, v18, v17
	v_fmac_f32_e32 v18, v19, v16
	v_fma_f32 v7, -v7, v18, v17
	v_div_fmas_f32 v7, v7, v16, v18
	v_div_fixup_f32 v3, v7, v13, v3
	v_min_f32_e32 v3, 0x43e00000, v3
	v_max_f32_e32 v3, 0xc3e00000, v3
	v_and_b32_e32 v7, 0x7fffffff, v3
	v_cmp_gt_u32_e32 vcc, s21, v7
	s_and_saveexec_b64 s[6:7], vcc
	s_cbranch_execz .LBB27_96
; %bb.91:                               ;   in Loop: Header=BB27_59 Depth=1
	v_cmp_lt_u32_e32 vcc, s22, v7
                                        ; implicit-def: $vgpr2
	s_and_saveexec_b64 s[8:9], vcc
	s_xor_b64 s[8:9], exec, s[8:9]
; %bb.92:                               ;   in Loop: Header=BB27_59 Depth=1
	v_bfe_u32 v2, v3, 20, 1
	v_add3_u32 v2, v3, v2, s23
	v_lshrrev_b32_e32 v2, 20, v2
; %bb.93:                               ;   in Loop: Header=BB27_59 Depth=1
	s_andn2_saveexec_b64 s[8:9], s[8:9]
; %bb.94:                               ;   in Loop: Header=BB27_59 Depth=1
	v_add_f32_e64 v2, |v3|, s24
; %bb.95:                               ;   in Loop: Header=BB27_59 Depth=1
	s_or_b64 exec, exec, s[8:9]
.LBB27_96:                              ;   in Loop: Header=BB27_59 Depth=1
	s_or_b64 exec, exec, s[6:7]
	v_mul_f32_e32 v4, v36, v4
	v_mul_f32_e32 v4, v4, v8
	v_div_scale_f32 v7, s[6:7], v13, v13, v4
	v_rcp_f32_e32 v8, v7
	v_div_scale_f32 v16, vcc, v4, v13, v4
	v_fma_f32 v17, -v7, v8, 1.0
	v_fmac_f32_e32 v8, v17, v8
	v_mul_f32_e32 v17, v16, v8
	v_fma_f32 v18, -v7, v17, v16
	v_fmac_f32_e32 v17, v18, v8
	v_fma_f32 v7, -v7, v17, v16
	v_div_fmas_f32 v7, v7, v8, v17
	v_div_fixup_f32 v4, v7, v13, v4
	v_min_f32_e32 v4, 0x43e00000, v4
	v_max_f32_e32 v8, 0xc3e00000, v4
	v_and_b32_e32 v16, 0x7fffffff, v8
	v_cmp_gt_u32_e32 vcc, s21, v16
	v_mov_b32_e32 v7, 0x7f
	v_mov_b32_e32 v4, 0x7f
	s_and_saveexec_b64 s[6:7], vcc
	s_cbranch_execz .LBB27_102
; %bb.97:                               ;   in Loop: Header=BB27_59 Depth=1
	v_cmp_lt_u32_e32 vcc, s22, v16
                                        ; implicit-def: $vgpr4
	s_and_saveexec_b64 s[8:9], vcc
	s_xor_b64 s[8:9], exec, s[8:9]
; %bb.98:                               ;   in Loop: Header=BB27_59 Depth=1
	v_bfe_u32 v4, v8, 20, 1
	v_add3_u32 v4, v8, v4, s23
	v_lshrrev_b32_e32 v4, 20, v4
; %bb.99:                               ;   in Loop: Header=BB27_59 Depth=1
	s_andn2_saveexec_b64 s[8:9], s[8:9]
; %bb.100:                              ;   in Loop: Header=BB27_59 Depth=1
	v_add_f32_e64 v4, |v8|, s24
; %bb.101:                              ;   in Loop: Header=BB27_59 Depth=1
	s_or_b64 exec, exec, s[8:9]
.LBB27_102:                             ;   in Loop: Header=BB27_59 Depth=1
	s_or_b64 exec, exec, s[6:7]
	v_mul_f32_e32 v5, v36, v5
	v_mul_f32_e32 v5, v5, v9
	v_div_scale_f32 v9, s[6:7], v13, v13, v5
	v_rcp_f32_e32 v16, v9
	v_div_scale_f32 v17, vcc, v5, v13, v5
	v_fma_f32 v18, -v9, v16, 1.0
	v_fmac_f32_e32 v16, v18, v16
	v_mul_f32_e32 v18, v17, v16
	v_fma_f32 v19, -v9, v18, v17
	v_fmac_f32_e32 v18, v19, v16
	v_fma_f32 v9, -v9, v18, v17
	v_div_fmas_f32 v9, v9, v16, v18
	v_div_fixup_f32 v5, v9, v13, v5
	v_min_f32_e32 v5, 0x43e00000, v5
	v_max_f32_e32 v5, 0xc3e00000, v5
	v_and_b32_e32 v9, 0x7fffffff, v5
	v_cmp_gt_u32_e32 vcc, s21, v9
	s_and_saveexec_b64 s[6:7], vcc
	s_cbranch_execz .LBB27_108
; %bb.103:                              ;   in Loop: Header=BB27_59 Depth=1
	v_cmp_lt_u32_e32 vcc, s22, v9
                                        ; implicit-def: $vgpr7
	s_and_saveexec_b64 s[8:9], vcc
	s_xor_b64 s[8:9], exec, s[8:9]
; %bb.104:                              ;   in Loop: Header=BB27_59 Depth=1
	v_bfe_u32 v7, v5, 20, 1
	v_add3_u32 v7, v5, v7, s23
	v_lshrrev_b32_e32 v7, 20, v7
; %bb.105:                              ;   in Loop: Header=BB27_59 Depth=1
	s_andn2_saveexec_b64 s[8:9], s[8:9]
; %bb.106:                              ;   in Loop: Header=BB27_59 Depth=1
	v_add_f32_e64 v7, |v5|, s24
; %bb.107:                              ;   in Loop: Header=BB27_59 Depth=1
	s_or_b64 exec, exec, s[8:9]
.LBB27_108:                             ;   in Loop: Header=BB27_59 Depth=1
	s_or_b64 exec, exec, s[6:7]
	v_and_b32_sdwa v13, v8, s25 dst_sel:DWORD dst_unused:UNUSED_PAD src0_sel:BYTE_3 src1_sel:DWORD
	v_and_b32_sdwa v3, v3, s25 dst_sel:DWORD dst_unused:UNUSED_PAD src0_sel:BYTE_3 src1_sel:DWORD
	v_lshlrev_b64 v[8:9], 2, v[10:11]
	v_and_or_b32 v4, v4, s26, v13
	v_lshrrev_b32_e32 v12, 24, v12
	v_mov_b32_e32 v11, s18
	v_add_co_u32_e32 v8, vcc, s13, v8
	v_lshlrev_b32_e32 v7, 24, v7
	v_and_b32_e32 v5, 0x80000000, v5
	v_lshlrev_b32_e32 v4, 16, v4
	v_and_or_b32 v2, v2, s26, v3
	v_and_b32_e32 v3, 0xff, v6
	v_addc_co_u32_e32 v9, vcc, v11, v9, vcc
	v_or3_b32 v4, v5, v7, v4
	v_lshlrev_b32_e32 v2, 8, v2
	v_and_or_b32 v3, v12, s25, v3
	v_add_u32_e32 v12, s20, v0
	v_or3_b32 v2, v4, v2, v3
	v_cmp_gt_u32_e32 vcc, s12, v12
	s_mov_b64 s[8:9], -1
	global_store_dword v[8:9], v2, off
	s_and_saveexec_b64 s[6:7], vcc
	s_cbranch_execz .LBB27_57
; %bb.109:                              ;   in Loop: Header=BB27_59 Depth=1
	v_mov_b32_e32 v13, v1
	v_lshlrev_b64 v[6:7], 4, v[12:13]
	v_mov_b32_e32 v3, s44
	v_add_co_u32_e32 v2, vcc, s33, v6
	v_addc_co_u32_e32 v3, vcc, v3, v7, vcc
	v_mov_b32_e32 v8, s15
	v_add_co_u32_e32 v6, vcc, s14, v6
	global_load_dwordx4 v[2:5], v[2:3], off
	v_addc_co_u32_e32 v7, vcc, v8, v7, vcc
	v_lshrrev_b32_e32 v11, 3, v12
	global_load_dwordx4 v[6:9], v[6:7], off
	v_and_b32_e32 v11, 0x7fffffc, v11
	global_load_dword v16, v11, s[0:1]
	s_waitcnt vmcnt(2)
	v_mul_f32_e32 v2, v36, v2
	s_waitcnt vmcnt(1)
	v_mul_f32_e32 v6, v2, v6
	v_mov_b32_e32 v2, 0x7f
	s_waitcnt vmcnt(0)
	v_div_scale_f32 v11, s[8:9], v16, v16, v6
	v_rcp_f32_e32 v17, v11
	v_div_scale_f32 v18, vcc, v6, v16, v6
	v_fma_f32 v19, -v11, v17, 1.0
	v_fmac_f32_e32 v17, v19, v17
	v_mul_f32_e32 v19, v18, v17
	v_fma_f32 v20, -v11, v19, v18
	v_fmac_f32_e32 v19, v20, v17
	v_fma_f32 v11, -v11, v19, v18
	v_div_fmas_f32 v11, v11, v17, v19
	v_div_fixup_f32 v6, v11, v16, v6
	v_min_f32_e32 v6, 0x43e00000, v6
	v_max_f32_e32 v11, 0xc3e00000, v6
	v_and_b32_e32 v17, 0x7fffffff, v11
	v_cmp_gt_u32_e32 vcc, s21, v17
	v_mov_b32_e32 v6, 0x7f
	s_and_saveexec_b64 s[8:9], vcc
	s_cbranch_execz .LBB27_115
; %bb.110:                              ;   in Loop: Header=BB27_59 Depth=1
	v_cmp_lt_u32_e32 vcc, s22, v17
                                        ; implicit-def: $vgpr6
	s_and_saveexec_b64 s[10:11], vcc
	s_xor_b64 s[10:11], exec, s[10:11]
; %bb.111:                              ;   in Loop: Header=BB27_59 Depth=1
	v_bfe_u32 v6, v11, 20, 1
	v_add3_u32 v6, v11, v6, s23
	v_lshrrev_b32_e32 v6, 20, v6
; %bb.112:                              ;   in Loop: Header=BB27_59 Depth=1
	s_andn2_saveexec_b64 s[10:11], s[10:11]
; %bb.113:                              ;   in Loop: Header=BB27_59 Depth=1
	v_add_f32_e64 v6, |v11|, s24
; %bb.114:                              ;   in Loop: Header=BB27_59 Depth=1
	s_or_b64 exec, exec, s[10:11]
.LBB27_115:                             ;   in Loop: Header=BB27_59 Depth=1
	s_or_b64 exec, exec, s[8:9]
	v_mul_f32_e32 v3, v36, v3
	v_mul_f32_e32 v3, v3, v7
	v_div_scale_f32 v7, s[8:9], v16, v16, v3
	v_rcp_f32_e32 v17, v7
	v_div_scale_f32 v18, vcc, v3, v16, v3
	v_fma_f32 v19, -v7, v17, 1.0
	v_fmac_f32_e32 v17, v19, v17
	v_mul_f32_e32 v19, v18, v17
	v_fma_f32 v20, -v7, v19, v18
	v_fmac_f32_e32 v19, v20, v17
	v_fma_f32 v7, -v7, v19, v18
	v_div_fmas_f32 v7, v7, v17, v19
	v_div_fixup_f32 v3, v7, v16, v3
	v_min_f32_e32 v3, 0x43e00000, v3
	v_max_f32_e32 v3, 0xc3e00000, v3
	v_and_b32_e32 v7, 0x7fffffff, v3
	v_cmp_gt_u32_e32 vcc, s21, v7
	s_and_saveexec_b64 s[8:9], vcc
	s_cbranch_execz .LBB27_121
; %bb.116:                              ;   in Loop: Header=BB27_59 Depth=1
	v_cmp_lt_u32_e32 vcc, s22, v7
                                        ; implicit-def: $vgpr2
	s_and_saveexec_b64 s[10:11], vcc
	s_xor_b64 s[10:11], exec, s[10:11]
; %bb.117:                              ;   in Loop: Header=BB27_59 Depth=1
	v_bfe_u32 v2, v3, 20, 1
	v_add3_u32 v2, v3, v2, s23
	v_lshrrev_b32_e32 v2, 20, v2
; %bb.118:                              ;   in Loop: Header=BB27_59 Depth=1
	s_andn2_saveexec_b64 s[10:11], s[10:11]
; %bb.119:                              ;   in Loop: Header=BB27_59 Depth=1
	v_add_f32_e64 v2, |v3|, s24
; %bb.120:                              ;   in Loop: Header=BB27_59 Depth=1
	s_or_b64 exec, exec, s[10:11]
.LBB27_121:                             ;   in Loop: Header=BB27_59 Depth=1
	s_or_b64 exec, exec, s[8:9]
	v_mul_f32_e32 v4, v36, v4
	v_mul_f32_e32 v4, v4, v8
	v_div_scale_f32 v7, s[8:9], v16, v16, v4
	v_rcp_f32_e32 v8, v7
	v_div_scale_f32 v17, vcc, v4, v16, v4
	v_fma_f32 v18, -v7, v8, 1.0
	v_fmac_f32_e32 v8, v18, v8
	v_mul_f32_e32 v18, v17, v8
	v_fma_f32 v19, -v7, v18, v17
	v_fmac_f32_e32 v18, v19, v8
	v_fma_f32 v7, -v7, v18, v17
	v_div_fmas_f32 v7, v7, v8, v18
	v_div_fixup_f32 v4, v7, v16, v4
	v_min_f32_e32 v4, 0x43e00000, v4
	v_max_f32_e32 v8, 0xc3e00000, v4
	v_and_b32_e32 v17, 0x7fffffff, v8
	v_cmp_gt_u32_e32 vcc, s21, v17
	v_mov_b32_e32 v7, 0x7f
	v_mov_b32_e32 v4, 0x7f
	s_and_saveexec_b64 s[8:9], vcc
	s_cbranch_execz .LBB27_127
; %bb.122:                              ;   in Loop: Header=BB27_59 Depth=1
	v_cmp_lt_u32_e32 vcc, s22, v17
                                        ; implicit-def: $vgpr4
	s_and_saveexec_b64 s[10:11], vcc
	s_xor_b64 s[10:11], exec, s[10:11]
; %bb.123:                              ;   in Loop: Header=BB27_59 Depth=1
	v_bfe_u32 v4, v8, 20, 1
	v_add3_u32 v4, v8, v4, s23
	v_lshrrev_b32_e32 v4, 20, v4
; %bb.124:                              ;   in Loop: Header=BB27_59 Depth=1
	s_andn2_saveexec_b64 s[10:11], s[10:11]
; %bb.125:                              ;   in Loop: Header=BB27_59 Depth=1
	v_add_f32_e64 v4, |v8|, s24
; %bb.126:                              ;   in Loop: Header=BB27_59 Depth=1
	s_or_b64 exec, exec, s[10:11]
.LBB27_127:                             ;   in Loop: Header=BB27_59 Depth=1
	s_or_b64 exec, exec, s[8:9]
	v_mul_f32_e32 v5, v36, v5
	v_mul_f32_e32 v5, v5, v9
	v_div_scale_f32 v9, s[8:9], v16, v16, v5
	v_rcp_f32_e32 v17, v9
	v_div_scale_f32 v18, vcc, v5, v16, v5
	v_fma_f32 v19, -v9, v17, 1.0
	v_fmac_f32_e32 v17, v19, v17
	v_mul_f32_e32 v19, v18, v17
	v_fma_f32 v20, -v9, v19, v18
	v_fmac_f32_e32 v19, v20, v17
	v_fma_f32 v9, -v9, v19, v18
	v_div_fmas_f32 v9, v9, v17, v19
	v_div_fixup_f32 v5, v9, v16, v5
	v_min_f32_e32 v5, 0x43e00000, v5
	v_max_f32_e32 v5, 0xc3e00000, v5
	v_and_b32_e32 v9, 0x7fffffff, v5
	v_cmp_gt_u32_e32 vcc, s21, v9
	s_and_saveexec_b64 s[8:9], vcc
	s_cbranch_execz .LBB27_133
; %bb.128:                              ;   in Loop: Header=BB27_59 Depth=1
	v_cmp_lt_u32_e32 vcc, s22, v9
                                        ; implicit-def: $vgpr7
	s_and_saveexec_b64 s[10:11], vcc
	s_xor_b64 s[10:11], exec, s[10:11]
; %bb.129:                              ;   in Loop: Header=BB27_59 Depth=1
	v_bfe_u32 v7, v5, 20, 1
	v_add3_u32 v7, v5, v7, s23
	v_lshrrev_b32_e32 v7, 20, v7
; %bb.130:                              ;   in Loop: Header=BB27_59 Depth=1
	s_andn2_saveexec_b64 s[10:11], s[10:11]
; %bb.131:                              ;   in Loop: Header=BB27_59 Depth=1
	v_add_f32_e64 v7, |v5|, s24
; %bb.132:                              ;   in Loop: Header=BB27_59 Depth=1
	s_or_b64 exec, exec, s[10:11]
.LBB27_133:                             ;   in Loop: Header=BB27_59 Depth=1
	s_or_b64 exec, exec, s[8:9]
	v_and_b32_sdwa v16, v8, s25 dst_sel:DWORD dst_unused:UNUSED_PAD src0_sel:BYTE_3 src1_sel:DWORD
	v_and_b32_sdwa v3, v3, s25 dst_sel:DWORD dst_unused:UNUSED_PAD src0_sel:BYTE_3 src1_sel:DWORD
	v_lshlrev_b64 v[8:9], 2, v[12:13]
	v_and_or_b32 v4, v4, s26, v16
	v_lshrrev_b32_e32 v11, 24, v11
	v_mov_b32_e32 v12, s18
	v_add_co_u32_e32 v8, vcc, s13, v8
	v_lshlrev_b32_e32 v7, 24, v7
	v_and_b32_e32 v5, 0x80000000, v5
	v_lshlrev_b32_e32 v4, 16, v4
	v_and_or_b32 v2, v2, s26, v3
	v_and_b32_e32 v3, 0xff, v6
	v_addc_co_u32_e32 v9, vcc, v12, v9, vcc
	v_or3_b32 v4, v5, v7, v4
	v_lshlrev_b32_e32 v2, 8, v2
	v_and_or_b32 v3, v11, s25, v3
	v_add_u32_e32 v0, s19, v0
	v_or3_b32 v2, v4, v2, v3
	v_cmp_gt_u32_e32 vcc, s12, v0
	s_mov_b64 s[10:11], -1
	global_store_dword v[8:9], v2, off
	s_and_saveexec_b64 s[8:9], vcc
	s_cbranch_execz .LBB27_56
; %bb.134:                              ;   in Loop: Header=BB27_59 Depth=1
	v_lshlrev_b64 v[6:7], 4, v[0:1]
	v_mov_b32_e32 v3, s44
	v_add_co_u32_e32 v2, vcc, s33, v6
	v_addc_co_u32_e32 v3, vcc, v3, v7, vcc
	v_mov_b32_e32 v8, s15
	v_add_co_u32_e32 v6, vcc, s14, v6
	global_load_dwordx4 v[2:5], v[2:3], off
	v_addc_co_u32_e32 v7, vcc, v8, v7, vcc
	v_lshrrev_b32_e32 v11, 3, v0
	global_load_dwordx4 v[6:9], v[6:7], off
	v_and_b32_e32 v11, 0x7fffffc, v11
	global_load_dword v12, v11, s[0:1]
	s_waitcnt vmcnt(2)
	v_mul_f32_e32 v2, v36, v2
	s_waitcnt vmcnt(1)
	v_mul_f32_e32 v6, v2, v6
	v_mov_b32_e32 v2, 0x7f
	s_waitcnt vmcnt(0)
	v_div_scale_f32 v11, s[10:11], v12, v12, v6
	v_rcp_f32_e32 v13, v11
	v_div_scale_f32 v16, vcc, v6, v12, v6
	v_fma_f32 v17, -v11, v13, 1.0
	v_fmac_f32_e32 v13, v17, v13
	v_mul_f32_e32 v17, v16, v13
	v_fma_f32 v18, -v11, v17, v16
	v_fmac_f32_e32 v17, v18, v13
	v_fma_f32 v11, -v11, v17, v16
	v_div_fmas_f32 v11, v11, v13, v17
	v_div_fixup_f32 v6, v11, v12, v6
	v_min_f32_e32 v6, 0x43e00000, v6
	v_max_f32_e32 v11, 0xc3e00000, v6
	v_and_b32_e32 v13, 0x7fffffff, v11
	v_cmp_gt_u32_e32 vcc, s21, v13
	v_mov_b32_e32 v6, 0x7f
	s_and_saveexec_b64 s[10:11], vcc
	s_cbranch_execz .LBB27_140
; %bb.135:                              ;   in Loop: Header=BB27_59 Depth=1
	v_cmp_lt_u32_e32 vcc, s22, v13
                                        ; implicit-def: $vgpr6
	s_and_saveexec_b64 s[16:17], vcc
	s_xor_b64 s[16:17], exec, s[16:17]
; %bb.136:                              ;   in Loop: Header=BB27_59 Depth=1
	v_bfe_u32 v6, v11, 20, 1
	v_add3_u32 v6, v11, v6, s23
	v_lshrrev_b32_e32 v6, 20, v6
; %bb.137:                              ;   in Loop: Header=BB27_59 Depth=1
	s_andn2_saveexec_b64 s[16:17], s[16:17]
; %bb.138:                              ;   in Loop: Header=BB27_59 Depth=1
	v_add_f32_e64 v6, |v11|, s24
; %bb.139:                              ;   in Loop: Header=BB27_59 Depth=1
	s_or_b64 exec, exec, s[16:17]
.LBB27_140:                             ;   in Loop: Header=BB27_59 Depth=1
	s_or_b64 exec, exec, s[10:11]
	v_mul_f32_e32 v3, v36, v3
	v_mul_f32_e32 v3, v3, v7
	v_div_scale_f32 v7, s[10:11], v12, v12, v3
	v_rcp_f32_e32 v13, v7
	v_div_scale_f32 v16, vcc, v3, v12, v3
	v_fma_f32 v17, -v7, v13, 1.0
	v_fmac_f32_e32 v13, v17, v13
	v_mul_f32_e32 v17, v16, v13
	v_fma_f32 v18, -v7, v17, v16
	v_fmac_f32_e32 v17, v18, v13
	v_fma_f32 v7, -v7, v17, v16
	v_div_fmas_f32 v7, v7, v13, v17
	v_div_fixup_f32 v3, v7, v12, v3
	v_min_f32_e32 v3, 0x43e00000, v3
	v_max_f32_e32 v3, 0xc3e00000, v3
	v_and_b32_e32 v7, 0x7fffffff, v3
	v_cmp_gt_u32_e32 vcc, s21, v7
	s_and_saveexec_b64 s[10:11], vcc
	s_cbranch_execz .LBB27_146
; %bb.141:                              ;   in Loop: Header=BB27_59 Depth=1
	v_cmp_lt_u32_e32 vcc, s22, v7
                                        ; implicit-def: $vgpr2
	s_and_saveexec_b64 s[16:17], vcc
	s_xor_b64 s[16:17], exec, s[16:17]
; %bb.142:                              ;   in Loop: Header=BB27_59 Depth=1
	v_bfe_u32 v2, v3, 20, 1
	v_add3_u32 v2, v3, v2, s23
	v_lshrrev_b32_e32 v2, 20, v2
; %bb.143:                              ;   in Loop: Header=BB27_59 Depth=1
	s_andn2_saveexec_b64 s[16:17], s[16:17]
; %bb.144:                              ;   in Loop: Header=BB27_59 Depth=1
	v_add_f32_e64 v2, |v3|, s24
; %bb.145:                              ;   in Loop: Header=BB27_59 Depth=1
	s_or_b64 exec, exec, s[16:17]
.LBB27_146:                             ;   in Loop: Header=BB27_59 Depth=1
	s_or_b64 exec, exec, s[10:11]
	v_mul_f32_e32 v4, v36, v4
	v_mul_f32_e32 v4, v4, v8
	v_div_scale_f32 v7, s[10:11], v12, v12, v4
	v_rcp_f32_e32 v8, v7
	v_div_scale_f32 v13, vcc, v4, v12, v4
	v_fma_f32 v16, -v7, v8, 1.0
	v_fmac_f32_e32 v8, v16, v8
	v_mul_f32_e32 v16, v13, v8
	v_fma_f32 v17, -v7, v16, v13
	v_fmac_f32_e32 v16, v17, v8
	v_fma_f32 v7, -v7, v16, v13
	v_div_fmas_f32 v7, v7, v8, v16
	v_div_fixup_f32 v4, v7, v12, v4
	v_min_f32_e32 v4, 0x43e00000, v4
	v_max_f32_e32 v8, 0xc3e00000, v4
	v_and_b32_e32 v13, 0x7fffffff, v8
	v_cmp_gt_u32_e32 vcc, s21, v13
	v_mov_b32_e32 v7, 0x7f
	v_mov_b32_e32 v4, 0x7f
	s_and_saveexec_b64 s[10:11], vcc
	s_cbranch_execz .LBB27_152
; %bb.147:                              ;   in Loop: Header=BB27_59 Depth=1
	v_cmp_lt_u32_e32 vcc, s22, v13
                                        ; implicit-def: $vgpr4
	s_and_saveexec_b64 s[16:17], vcc
	s_xor_b64 s[16:17], exec, s[16:17]
; %bb.148:                              ;   in Loop: Header=BB27_59 Depth=1
	v_bfe_u32 v4, v8, 20, 1
	v_add3_u32 v4, v8, v4, s23
	v_lshrrev_b32_e32 v4, 20, v4
; %bb.149:                              ;   in Loop: Header=BB27_59 Depth=1
	s_andn2_saveexec_b64 s[16:17], s[16:17]
; %bb.150:                              ;   in Loop: Header=BB27_59 Depth=1
	v_add_f32_e64 v4, |v8|, s24
; %bb.151:                              ;   in Loop: Header=BB27_59 Depth=1
	s_or_b64 exec, exec, s[16:17]
.LBB27_152:                             ;   in Loop: Header=BB27_59 Depth=1
	s_or_b64 exec, exec, s[10:11]
	v_mul_f32_e32 v5, v36, v5
	v_mul_f32_e32 v5, v5, v9
	v_div_scale_f32 v9, s[10:11], v12, v12, v5
	v_rcp_f32_e32 v13, v9
	v_div_scale_f32 v16, vcc, v5, v12, v5
	v_fma_f32 v17, -v9, v13, 1.0
	v_fmac_f32_e32 v13, v17, v13
	v_mul_f32_e32 v17, v16, v13
	v_fma_f32 v18, -v9, v17, v16
	v_fmac_f32_e32 v17, v18, v13
	v_fma_f32 v9, -v9, v17, v16
	v_div_fmas_f32 v9, v9, v13, v17
	v_div_fixup_f32 v5, v9, v12, v5
	v_min_f32_e32 v5, 0x43e00000, v5
	v_max_f32_e32 v5, 0xc3e00000, v5
	v_and_b32_e32 v9, 0x7fffffff, v5
	v_cmp_gt_u32_e32 vcc, s21, v9
	s_and_saveexec_b64 s[10:11], vcc
	s_cbranch_execz .LBB27_55
; %bb.153:                              ;   in Loop: Header=BB27_59 Depth=1
	v_cmp_lt_u32_e32 vcc, s22, v9
                                        ; implicit-def: $vgpr7
	s_and_saveexec_b64 s[16:17], vcc
	s_xor_b64 s[16:17], exec, s[16:17]
; %bb.154:                              ;   in Loop: Header=BB27_59 Depth=1
	v_bfe_u32 v7, v5, 20, 1
	v_add3_u32 v7, v5, v7, s23
	v_lshrrev_b32_e32 v7, 20, v7
; %bb.155:                              ;   in Loop: Header=BB27_59 Depth=1
	s_andn2_saveexec_b64 s[16:17], s[16:17]
	s_cbranch_execz .LBB27_54
; %bb.156:                              ;   in Loop: Header=BB27_59 Depth=1
	v_add_f32_e64 v7, |v5|, s24
	s_branch .LBB27_54
.LBB27_157:
	s_endpgm
	.section	.rodata,"a",@progbits
	.p2align	6, 0x0
	.amdhsa_kernel _ZN4vllm31rms_norm_per_block_quant_kernelIfN3c1013Float8_e4m3fnELb0ELb0ELi128EEEvPT0_PfPKT_S8_PKffiiPS6_l
		.amdhsa_group_segment_fixed_size 4164
		.amdhsa_private_segment_fixed_size 0
		.amdhsa_kernarg_size 328
		.amdhsa_user_sgpr_count 6
		.amdhsa_user_sgpr_private_segment_buffer 1
		.amdhsa_user_sgpr_dispatch_ptr 0
		.amdhsa_user_sgpr_queue_ptr 0
		.amdhsa_user_sgpr_kernarg_segment_ptr 1
		.amdhsa_user_sgpr_dispatch_id 0
		.amdhsa_user_sgpr_flat_scratch_init 0
		.amdhsa_user_sgpr_kernarg_preload_length 0
		.amdhsa_user_sgpr_kernarg_preload_offset 0
		.amdhsa_user_sgpr_private_segment_size 0
		.amdhsa_uses_dynamic_stack 0
		.amdhsa_system_sgpr_private_segment_wavefront_offset 0
		.amdhsa_system_sgpr_workgroup_id_x 1
		.amdhsa_system_sgpr_workgroup_id_y 0
		.amdhsa_system_sgpr_workgroup_id_z 0
		.amdhsa_system_sgpr_workgroup_info 0
		.amdhsa_system_vgpr_workitem_id 0
		.amdhsa_next_free_vgpr 40
		.amdhsa_next_free_sgpr 46
		.amdhsa_accum_offset 40
		.amdhsa_reserve_vcc 1
		.amdhsa_reserve_flat_scratch 0
		.amdhsa_float_round_mode_32 0
		.amdhsa_float_round_mode_16_64 0
		.amdhsa_float_denorm_mode_32 3
		.amdhsa_float_denorm_mode_16_64 3
		.amdhsa_dx10_clamp 1
		.amdhsa_ieee_mode 1
		.amdhsa_fp16_overflow 0
		.amdhsa_tg_split 0
		.amdhsa_exception_fp_ieee_invalid_op 0
		.amdhsa_exception_fp_denorm_src 0
		.amdhsa_exception_fp_ieee_div_zero 0
		.amdhsa_exception_fp_ieee_overflow 0
		.amdhsa_exception_fp_ieee_underflow 0
		.amdhsa_exception_fp_ieee_inexact 0
		.amdhsa_exception_int_div_zero 0
	.end_amdhsa_kernel
	.section	.text._ZN4vllm31rms_norm_per_block_quant_kernelIfN3c1013Float8_e4m3fnELb0ELb0ELi128EEEvPT0_PfPKT_S8_PKffiiPS6_l,"axG",@progbits,_ZN4vllm31rms_norm_per_block_quant_kernelIfN3c1013Float8_e4m3fnELb0ELb0ELi128EEEvPT0_PfPKT_S8_PKffiiPS6_l,comdat
.Lfunc_end27:
	.size	_ZN4vllm31rms_norm_per_block_quant_kernelIfN3c1013Float8_e4m3fnELb0ELb0ELi128EEEvPT0_PfPKT_S8_PKffiiPS6_l, .Lfunc_end27-_ZN4vllm31rms_norm_per_block_quant_kernelIfN3c1013Float8_e4m3fnELb0ELb0ELi128EEEvPT0_PfPKT_S8_PKffiiPS6_l
                                        ; -- End function
	.section	.AMDGPU.csdata,"",@progbits
; Kernel info:
; codeLenInByte = 7460
; NumSgprs: 50
; NumVgprs: 40
; NumAgprs: 0
; TotalNumVgprs: 40
; ScratchSize: 0
; MemoryBound: 0
; FloatMode: 240
; IeeeMode: 1
; LDSByteSize: 4164 bytes/workgroup (compile time only)
; SGPRBlocks: 6
; VGPRBlocks: 4
; NumSGPRsForWavesPerEU: 50
; NumVGPRsForWavesPerEU: 40
; AccumOffset: 40
; Occupancy: 8
; WaveLimiterHint : 0
; COMPUTE_PGM_RSRC2:SCRATCH_EN: 0
; COMPUTE_PGM_RSRC2:USER_SGPR: 6
; COMPUTE_PGM_RSRC2:TRAP_HANDLER: 0
; COMPUTE_PGM_RSRC2:TGID_X_EN: 1
; COMPUTE_PGM_RSRC2:TGID_Y_EN: 0
; COMPUTE_PGM_RSRC2:TGID_Z_EN: 0
; COMPUTE_PGM_RSRC2:TIDIG_COMP_CNT: 0
; COMPUTE_PGM_RSRC3_GFX90A:ACCUM_OFFSET: 9
; COMPUTE_PGM_RSRC3_GFX90A:TG_SPLIT: 0
	.section	.text._ZN4vllm31rms_norm_per_block_quant_kernelIfN3c1015Float8_e4m3fnuzELb0ELb0ELi128EEEvPT0_PfPKT_S8_PKffiiPS6_l,"axG",@progbits,_ZN4vllm31rms_norm_per_block_quant_kernelIfN3c1015Float8_e4m3fnuzELb0ELb0ELi128EEEvPT0_PfPKT_S8_PKffiiPS6_l,comdat
	.protected	_ZN4vllm31rms_norm_per_block_quant_kernelIfN3c1015Float8_e4m3fnuzELb0ELb0ELi128EEEvPT0_PfPKT_S8_PKffiiPS6_l ; -- Begin function _ZN4vllm31rms_norm_per_block_quant_kernelIfN3c1015Float8_e4m3fnuzELb0ELb0ELi128EEEvPT0_PfPKT_S8_PKffiiPS6_l
	.globl	_ZN4vllm31rms_norm_per_block_quant_kernelIfN3c1015Float8_e4m3fnuzELb0ELb0ELi128EEEvPT0_PfPKT_S8_PKffiiPS6_l
	.p2align	8
	.type	_ZN4vllm31rms_norm_per_block_quant_kernelIfN3c1015Float8_e4m3fnuzELb0ELb0ELi128EEEvPT0_PfPKT_S8_PKffiiPS6_l,@function
_ZN4vllm31rms_norm_per_block_quant_kernelIfN3c1015Float8_e4m3fnuzELb0ELb0ELi128EEEvPT0_PfPKT_S8_PKffiiPS6_l: ; @_ZN4vllm31rms_norm_per_block_quant_kernelIfN3c1015Float8_e4m3fnuzELb0ELb0ELi128EEEvPT0_PfPKT_S8_PKffiiPS6_l
; %bb.0:
	s_load_dwordx4 s[16:19], s[4:5], 0x28
	s_load_dwordx8 s[8:15], s[4:5], 0x0
	v_mov_b32_e32 v1, 0
	s_waitcnt lgkmcnt(0)
	s_ashr_i32 s0, s18, 31
	s_mul_hi_u32 s1, s18, s6
	s_mul_i32 s0, s0, s6
	s_add_i32 s1, s1, s0
	s_mul_i32 s0, s18, s6
	s_lshl_b64 s[0:1], s[0:1], 2
	s_add_u32 s33, s12, s0
	s_addc_u32 s44, s13, s1
	s_ashr_i32 s12, s17, 2
	s_add_u32 s2, s4, 0x48
	s_mov_b32 s20, s17
	v_cmp_gt_u32_e64 s[0:1], s12, v0
	s_addc_u32 s3, s5, 0
	s_and_saveexec_b64 s[18:19], s[0:1]
	s_cbranch_execz .LBB28_10
; %bb.1:
	s_load_dword s7, s[2:3], 0x0
	v_mov_b32_e32 v3, 0
	v_mov_b32_e32 v9, s44
	;; [unrolled: 1-line block ×3, first 2 shown]
                                        ; implicit-def: $sgpr24_sgpr25
	s_waitcnt lgkmcnt(0)
	s_cmp_lt_u32 s6, s7
	s_cselect_b32 s7, 12, 18
	s_add_u32 s22, s2, s7
	s_addc_u32 s23, s3, 0
	global_load_ushort v8, v3, s[22:23]
	s_mov_b64 s[22:23], 0
	s_waitcnt vmcnt(0)
	v_add_u32_e32 v1, v8, v8
	v_mul_lo_u32 v10, v8, 3
	v_lshlrev_b32_e32 v11, 1, v8
	v_add_u32_e32 v12, v1, v8
	v_mov_b32_e32 v1, v3
	s_branch .LBB28_5
.LBB28_2:                               ;   in Loop: Header=BB28_5 Depth=1
	s_or_b64 exec, exec, s[30:31]
	s_orn2_b64 s[30:31], s[34:35], exec
.LBB28_3:                               ;   in Loop: Header=BB28_5 Depth=1
	s_or_b64 exec, exec, s[28:29]
	s_andn2_b64 s[24:25], s[24:25], exec
	s_and_b64 s[28:29], s[30:31], exec
	s_or_b64 s[24:25], s[24:25], s[28:29]
.LBB28_4:                               ;   in Loop: Header=BB28_5 Depth=1
	s_or_b64 exec, exec, s[26:27]
	s_and_b64 s[26:27], exec, s[24:25]
	s_or_b64 s[22:23], s[26:27], s[22:23]
	s_andn2_b64 exec, exec, s[22:23]
	s_cbranch_execz .LBB28_9
.LBB28_5:                               ; =>This Inner Loop Header: Depth=1
	v_lshlrev_b64 v[4:5], 4, v[2:3]
	v_add_co_u32_e32 v4, vcc, s33, v4
	v_addc_co_u32_e32 v5, vcc, v9, v5, vcc
	global_load_dwordx4 v[14:17], v[4:5], off
	v_add_u32_e32 v4, v2, v8
	v_cmp_gt_u32_e32 vcc, s12, v4
	s_or_b64 s[24:25], s[24:25], exec
	s_waitcnt vmcnt(0)
	v_fmac_f32_e32 v1, v14, v14
	v_fmac_f32_e32 v1, v15, v15
	;; [unrolled: 1-line block ×4, first 2 shown]
	s_and_saveexec_b64 s[26:27], vcc
	s_cbranch_execz .LBB28_4
; %bb.6:                                ;   in Loop: Header=BB28_5 Depth=1
	v_mov_b32_e32 v5, v3
	v_lshlrev_b64 v[6:7], 4, v[4:5]
	v_add_co_u32_e32 v6, vcc, s33, v6
	v_addc_co_u32_e32 v7, vcc, v9, v7, vcc
	global_load_dwordx4 v[14:17], v[6:7], off
	v_add_u32_e32 v6, v11, v2
	v_cmp_gt_u32_e32 vcc, s12, v6
	s_mov_b64 s[30:31], -1
	s_waitcnt vmcnt(0)
	v_fmac_f32_e32 v1, v14, v14
	v_fmac_f32_e32 v1, v15, v15
	;; [unrolled: 1-line block ×4, first 2 shown]
	s_and_saveexec_b64 s[28:29], vcc
	s_cbranch_execz .LBB28_3
; %bb.7:                                ;   in Loop: Header=BB28_5 Depth=1
	v_mov_b32_e32 v7, v3
	v_lshlrev_b64 v[6:7], 4, v[6:7]
	v_add_co_u32_e32 v6, vcc, s33, v6
	v_addc_co_u32_e32 v7, vcc, v9, v7, vcc
	global_load_dwordx4 v[14:17], v[6:7], off
	v_add_u32_e32 v2, v10, v2
	v_cmp_gt_u32_e32 vcc, s12, v2
	s_mov_b64 s[34:35], -1
	s_waitcnt vmcnt(0)
	v_fmac_f32_e32 v1, v14, v14
	v_fmac_f32_e32 v1, v15, v15
	;; [unrolled: 1-line block ×4, first 2 shown]
	s_and_saveexec_b64 s[30:31], vcc
	s_xor_b64 s[30:31], exec, s[30:31]
	s_cbranch_execz .LBB28_2
; %bb.8:                                ;   in Loop: Header=BB28_5 Depth=1
	v_lshlrev_b64 v[6:7], 4, v[2:3]
	v_add_co_u32_e32 v6, vcc, s33, v6
	v_addc_co_u32_e32 v7, vcc, v9, v7, vcc
	global_load_dwordx4 v[14:17], v[6:7], off
	v_add_u32_e32 v2, v12, v4
	v_cmp_le_u32_e32 vcc, s12, v2
	s_orn2_b64 s[34:35], vcc, exec
	s_waitcnt vmcnt(0)
	v_fmac_f32_e32 v1, v14, v14
	v_fmac_f32_e32 v1, v15, v15
	;; [unrolled: 1-line block ×4, first 2 shown]
	s_branch .LBB28_2
.LBB28_9:
	s_or_b64 exec, exec, s[22:23]
.LBB28_10:
	s_or_b64 exec, exec, s[18:19]
	v_mbcnt_lo_u32_b32 v2, -1, 0
	v_mbcnt_hi_u32_b32 v2, -1, v2
	v_and_b32_e32 v3, 63, v2
	v_cmp_ne_u32_e32 vcc, 63, v3
	s_load_dword s2, s[2:3], 0xc
	v_addc_co_u32_e32 v4, vcc, 0, v2, vcc
	v_lshlrev_b32_e32 v4, 2, v4
	ds_bpermute_b32 v4, v4, v1
	s_waitcnt lgkmcnt(0)
	s_and_b32 s45, s2, 0xffff
	v_and_b32_e32 v5, 0x3c0, v0
	v_sub_u32_e64 v5, s45, v5 clamp
	v_add_u32_e32 v6, 1, v2
	v_add_f32_e32 v4, v1, v4
	v_cmp_lt_u32_e32 vcc, v6, v5
	v_cndmask_b32_e32 v1, v1, v4, vcc
	v_cmp_gt_u32_e32 vcc, 62, v3
	v_cndmask_b32_e64 v4, 0, 1, vcc
	v_lshlrev_b32_e32 v4, 1, v4
	v_add_lshl_u32 v4, v4, v2, 2
	ds_bpermute_b32 v4, v4, v1
	v_add_u32_e32 v6, 2, v2
	v_cmp_lt_u32_e32 vcc, v6, v5
	v_add_u32_e32 v6, 4, v2
	s_waitcnt lgkmcnt(0)
	v_add_f32_e32 v4, v1, v4
	v_cndmask_b32_e32 v1, v1, v4, vcc
	v_cmp_gt_u32_e32 vcc, 60, v3
	v_cndmask_b32_e64 v4, 0, 1, vcc
	v_lshlrev_b32_e32 v4, 2, v4
	v_add_lshl_u32 v4, v4, v2, 2
	ds_bpermute_b32 v4, v4, v1
	v_cmp_lt_u32_e32 vcc, v6, v5
	v_add_u32_e32 v6, 8, v2
	s_waitcnt lgkmcnt(0)
	v_add_f32_e32 v4, v1, v4
	v_cndmask_b32_e32 v1, v1, v4, vcc
	v_cmp_gt_u32_e32 vcc, 56, v3
	v_cndmask_b32_e64 v4, 0, 1, vcc
	v_lshlrev_b32_e32 v4, 3, v4
	v_add_lshl_u32 v4, v4, v2, 2
	ds_bpermute_b32 v4, v4, v1
	;; [unrolled: 10-line block ×3, first 2 shown]
	v_cmp_lt_u32_e32 vcc, v6, v5
	s_waitcnt lgkmcnt(0)
	v_add_f32_e32 v4, v1, v4
	v_cndmask_b32_e32 v1, v1, v4, vcc
	v_cmp_gt_u32_e32 vcc, 32, v3
	v_cndmask_b32_e64 v3, 0, 1, vcc
	v_lshlrev_b32_e32 v3, 5, v3
	v_add_lshl_u32 v3, v3, v2, 2
	ds_bpermute_b32 v3, v3, v1
	v_add_u32_e32 v4, 32, v2
	v_cmp_lt_u32_e32 vcc, v4, v5
	s_waitcnt lgkmcnt(0)
	v_add_f32_e32 v3, v1, v3
	v_cndmask_b32_e32 v1, v1, v3, vcc
	v_cmp_eq_u32_e32 vcc, 0, v2
	s_and_saveexec_b64 s[2:3], vcc
	s_cbranch_execz .LBB28_12
; %bb.11:
	v_lshrrev_b32_e32 v3, 4, v0
	v_and_b32_e32 v3, 60, v3
	ds_write_b32 v3, v1 offset:4096
.LBB28_12:
	s_or_b64 exec, exec, s[2:3]
	v_cmp_gt_u32_e32 vcc, 16, v0
	s_waitcnt lgkmcnt(0)
	s_barrier
	s_and_saveexec_b64 s[18:19], vcc
	s_cbranch_execz .LBB28_14
; %bb.13:
	v_lshlrev_b32_e32 v1, 2, v2
	ds_read_b32 v1, v1 offset:4096
	v_and_b32_e32 v3, 15, v2
	v_cmp_ne_u32_e32 vcc, 15, v3
	v_addc_co_u32_e32 v4, vcc, 0, v2, vcc
	v_lshlrev_b32_e32 v4, 2, v4
	s_waitcnt lgkmcnt(0)
	ds_bpermute_b32 v4, v4, v1
	s_add_i32 s2, s45, 63
	s_lshr_b32 s7, s2, 6
	v_add_u32_e32 v5, 1, v3
	v_cmp_gt_u32_e64 s[2:3], 14, v3
	v_cmp_gt_u32_e32 vcc, s7, v5
	v_cndmask_b32_e64 v5, 0, 1, s[2:3]
	s_waitcnt lgkmcnt(0)
	v_add_f32_e32 v4, v1, v4
	v_lshlrev_b32_e32 v5, 1, v5
	v_cndmask_b32_e32 v4, v1, v4, vcc
	v_add_lshl_u32 v5, v5, v2, 2
	ds_bpermute_b32 v5, v5, v4
	v_add_u32_e32 v6, 2, v3
	v_cmp_gt_u32_e64 s[2:3], s7, v6
	v_add_u32_e32 v6, 4, v3
	s_waitcnt lgkmcnt(0)
	v_add_f32_e32 v5, v4, v5
	v_cndmask_b32_e64 v4, v4, v5, s[2:3]
	v_cmp_gt_u32_e64 s[2:3], 12, v3
	v_cndmask_b32_e64 v5, 0, 1, s[2:3]
	v_lshlrev_b32_e32 v5, 2, v5
	v_add_lshl_u32 v5, v5, v2, 2
	ds_bpermute_b32 v5, v5, v4
	v_cmp_gt_u32_e64 s[2:3], s7, v6
	s_waitcnt lgkmcnt(0)
	v_add_f32_e32 v5, v4, v5
	v_cndmask_b32_e64 v4, v4, v5, s[2:3]
	v_cmp_gt_u32_e64 s[2:3], 8, v3
	v_cndmask_b32_e64 v5, 0, 1, s[2:3]
	v_lshlrev_b32_e32 v5, 3, v5
	v_add_lshl_u32 v2, v5, v2, 2
	ds_bpermute_b32 v2, v2, v4
	v_add_u32_e32 v3, 8, v3
	v_cmp_gt_u32_e64 s[2:3], s7, v3
	s_waitcnt lgkmcnt(0)
	v_add_f32_e32 v2, v4, v2
	v_cndmask_b32_e64 v2, v4, v2, s[2:3]
	v_cndmask_b32_e32 v1, v1, v2, vcc
.LBB28_14:
	s_or_b64 exec, exec, s[18:19]
	v_cmp_eq_u32_e32 vcc, 0, v0
	s_and_saveexec_b64 s[2:3], vcc
	s_cbranch_execz .LBB28_16
; %bb.15:
	v_cvt_f32_i32_e32 v2, s17
	s_mov_b32 s7, 0x800000
	v_div_scale_f32 v3, s[18:19], v2, v2, v1
	v_rcp_f32_e32 v4, v3
	v_div_scale_f32 v5, vcc, v1, v2, v1
	v_fma_f32 v6, -v3, v4, 1.0
	v_fmac_f32_e32 v4, v6, v4
	v_mul_f32_e32 v6, v5, v4
	v_fma_f32 v7, -v3, v6, v5
	v_fmac_f32_e32 v6, v7, v4
	v_fma_f32 v3, -v3, v6, v5
	v_div_fmas_f32 v3, v3, v4, v6
	v_div_fixup_f32 v1, v3, v2, v1
	v_add_f32_e32 v1, s16, v1
	v_mul_f32_e32 v2, 0x4b800000, v1
	v_cmp_gt_f32_e32 vcc, s7, v1
	v_cndmask_b32_e32 v1, v1, v2, vcc
	v_rsq_f32_e32 v1, v1
	v_mul_f32_e32 v2, 0x45800000, v1
	v_cndmask_b32_e32 v1, v1, v2, vcc
	v_mov_b32_e32 v2, 0
	ds_write_b32 v2, v1 offset:4160
.LBB28_16:
	s_or_b64 exec, exec, s[2:3]
	s_ashr_i32 s21, s17, 31
	s_lshr_b32 s2, s21, 25
	s_add_i32 s2, s17, s2
	s_ashr_i32 s18, s2, 7
	s_abs_i32 s3, s18
	v_cvt_f32_u32_e32 v1, s3
	s_sub_i32 s7, 0, s3
	s_ashr_i32 s2, s2, 31
	v_mov_b32_e32 v5, 0
	v_rcp_iflag_f32_e32 v1, v1
	s_waitcnt lgkmcnt(0)
	s_barrier
	v_mul_f32_e32 v1, 0x4f7ffffe, v1
	v_cvt_u32_f32_e32 v1, v1
	ds_read_b32 v36, v5 offset:4160
	v_readfirstlane_b32 s13, v1
	s_mul_i32 s7, s7, s13
	s_mul_hi_u32 s7, s13, s7
	s_add_i32 s13, s13, s7
	s_mul_hi_u32 s7, s45, s13
	s_mul_i32 s13, s7, s3
	s_sub_i32 s13, s45, s13
	s_add_i32 s16, s7, 1
	s_sub_i32 s19, s13, s3
	s_cmp_ge_u32 s13, s3
	s_cselect_b32 s7, s16, s7
	s_cselect_b32 s13, s19, s13
	s_add_i32 s16, s7, 1
	s_cmp_ge_u32 s13, s3
	s_cselect_b32 s3, s16, s7
	s_xor_b32 s3, s3, s2
	s_sub_i32 s2, s3, s2
	s_abs_i32 s7, s2
	v_cvt_f32_u32_e32 v1, s7
	s_sub_i32 s13, 0, s7
	s_ashr_i32 s3, s2, 31
	v_rcp_iflag_f32_e32 v1, v1
	v_mul_f32_e32 v1, 0x4f7ffffe, v1
	v_cvt_u32_f32_e32 v1, v1
	v_mul_lo_u32 v2, s13, v1
	v_mul_hi_u32 v2, v1, v2
	v_add_u32_e32 v1, v1, v2
	v_mul_hi_u32 v1, v0, v1
	v_mul_lo_u32 v2, v1, s7
	v_sub_u32_e32 v2, v0, v2
	v_add_u32_e32 v3, 1, v1
	v_cmp_le_u32_e32 vcc, s7, v2
	v_cndmask_b32_e32 v1, v1, v3, vcc
	v_subrev_u32_e32 v3, s7, v2
	v_cndmask_b32_e32 v2, v2, v3, vcc
	v_add_u32_e32 v3, 1, v1
	v_cmp_le_u32_e32 vcc, s7, v2
	v_cndmask_b32_e32 v1, v1, v3, vcc
	v_xor_b32_e32 v1, s3, v1
	v_subrev_u32_e32 v2, s3, v1
	v_mul_lo_u32 v1, v2, s2
	v_ashrrev_i32_e32 v3, 31, v2
	v_sub_u32_e32 v4, v0, v1
	v_lshlrev_b64 v[8:9], 5, v[2:3]
	v_add_co_u32_e32 v6, vcc, v8, v4
	v_addc_co_u32_e32 v7, vcc, 0, v9, vcc
	v_add_co_u32_e32 v8, vcc, 32, v8
	v_addc_co_u32_e32 v9, vcc, 0, v9, vcc
	s_ashr_i32 s13, s12, 31
	v_mov_b32_e32 v1, s13
	v_cmp_gt_i64_e32 vcc, s[12:13], v[8:9]
	v_cndmask_b32_e32 v9, v1, v9, vcc
	v_mov_b32_e32 v1, s12
	v_cndmask_b32_e32 v8, v1, v8, vcc
	v_ashrrev_i32_e32 v11, 31, v8
	v_mov_b32_e32 v10, v8
	v_cmp_lt_i64_e32 vcc, v[6:7], v[10:11]
	s_and_saveexec_b64 s[22:23], vcc
	s_cbranch_execz .LBB28_26
; %bb.17:
	v_lshlrev_b64 v[12:13], 9, v[2:3]
	v_lshlrev_b64 v[14:15], 4, v[4:5]
	v_add_co_u32_e32 v12, vcc, v12, v14
	v_addc_co_u32_e32 v1, vcc, v13, v15, vcc
	s_lshl_b64 s[24:25], s[2:3], 6
	s_mul_hi_i32 s7, s2, 3
	s_mul_i32 s13, s2, 3
	s_lshl_b64 s[26:27], s[2:3], 1
	s_lshl_b64 s[30:31], s[2:3], 4
	s_mov_b64 s[28:29], 0
	v_mov_b32_e32 v5, 0
	v_mov_b32_e32 v13, s44
	;; [unrolled: 1-line block ×4, first 2 shown]
	v_pk_mov_b32 v[14:15], v[6:7], v[6:7] op_sel:[0,1]
                                        ; implicit-def: $sgpr34_sgpr35
	s_branch .LBB28_21
.LBB28_18:                              ;   in Loop: Header=BB28_21 Depth=1
	s_or_b64 exec, exec, s[40:41]
	s_orn2_b64 s[40:41], s[42:43], exec
.LBB28_19:                              ;   in Loop: Header=BB28_21 Depth=1
	s_or_b64 exec, exec, s[38:39]
	s_andn2_b64 s[34:35], s[34:35], exec
	s_and_b64 s[38:39], s[40:41], exec
	s_or_b64 s[34:35], s[34:35], s[38:39]
.LBB28_20:                              ;   in Loop: Header=BB28_21 Depth=1
	s_or_b64 exec, exec, s[36:37]
	s_and_b64 s[36:37], exec, s[34:35]
	s_or_b64 s[28:29], s[36:37], s[28:29]
	s_andn2_b64 exec, exec, s[28:29]
	s_cbranch_execz .LBB28_25
.LBB28_21:                              ; =>This Inner Loop Header: Depth=1
	v_add_co_u32_e32 v18, vcc, s33, v12
	v_addc_co_u32_e32 v19, vcc, v13, v1, vcc
	v_add_co_u32_e32 v20, vcc, s14, v12
	global_load_dwordx4 v[24:27], v[18:19], off
	v_addc_co_u32_e32 v21, vcc, v22, v1, vcc
	global_load_dwordx4 v[28:31], v[20:21], off
	v_add_co_u32_e32 v16, vcc, s2, v14
	v_addc_co_u32_e32 v17, vcc, v15, v23, vcc
	v_cmp_lt_i64_e32 vcc, v[16:17], v[10:11]
	s_or_b64 s[34:35], s[34:35], exec
	s_waitcnt vmcnt(1) lgkmcnt(0)
	v_mul_f32_e32 v24, v36, v24
	v_mul_f32_e32 v25, v36, v25
	v_mul_f32_e32 v26, v36, v26
	v_mul_f32_e32 v27, v36, v27
	s_waitcnt vmcnt(0)
	v_mul_f32_e32 v24, v24, v28
	v_mul_f32_e32 v25, v25, v29
	;; [unrolled: 1-line block ×4, first 2 shown]
	v_max3_f32 v5, v5, |v24|, |v25|
	v_max3_f32 v5, v5, |v26|, |v27|
	s_and_saveexec_b64 s[36:37], vcc
	s_cbranch_execz .LBB28_20
; %bb.22:                               ;   in Loop: Header=BB28_21 Depth=1
	v_mov_b32_e32 v28, s31
	v_add_co_u32_e32 v18, vcc, s30, v18
	v_addc_co_u32_e32 v19, vcc, v19, v28, vcc
	v_add_co_u32_e32 v20, vcc, s30, v20
	global_load_dwordx4 v[24:27], v[18:19], off
	v_addc_co_u32_e32 v21, vcc, v21, v28, vcc
	global_load_dwordx4 v[28:31], v[20:21], off
	v_mov_b32_e32 v33, s27
	v_add_co_u32_e32 v32, vcc, s26, v14
	v_addc_co_u32_e32 v33, vcc, v33, v15, vcc
	v_cmp_lt_i64_e32 vcc, v[32:33], v[10:11]
	s_mov_b64 s[40:41], -1
	s_waitcnt vmcnt(1)
	v_mul_f32_e32 v24, v36, v24
	v_mul_f32_e32 v25, v36, v25
	;; [unrolled: 1-line block ×4, first 2 shown]
	s_waitcnt vmcnt(0)
	v_mul_f32_e32 v24, v24, v28
	v_mul_f32_e32 v25, v25, v29
	;; [unrolled: 1-line block ×4, first 2 shown]
	v_max3_f32 v5, v5, |v24|, |v25|
	v_max3_f32 v5, v5, |v26|, |v27|
	s_and_saveexec_b64 s[38:39], vcc
	s_cbranch_execz .LBB28_19
; %bb.23:                               ;   in Loop: Header=BB28_21 Depth=1
	v_mov_b32_e32 v28, s31
	v_add_co_u32_e32 v18, vcc, s30, v18
	v_addc_co_u32_e32 v19, vcc, v19, v28, vcc
	v_add_co_u32_e32 v20, vcc, s30, v20
	global_load_dwordx4 v[24:27], v[18:19], off
	v_addc_co_u32_e32 v21, vcc, v21, v28, vcc
	global_load_dwordx4 v[28:31], v[20:21], off
	v_mov_b32_e32 v32, s7
	v_add_co_u32_e32 v14, vcc, s13, v14
	v_addc_co_u32_e32 v15, vcc, v32, v15, vcc
	v_cmp_lt_i64_e32 vcc, v[14:15], v[10:11]
	s_mov_b64 s[42:43], -1
	s_waitcnt vmcnt(1)
	v_mul_f32_e32 v14, v36, v24
	v_mul_f32_e32 v15, v36, v25
	v_mul_f32_e32 v24, v36, v26
	v_mul_f32_e32 v25, v36, v27
	s_waitcnt vmcnt(0)
	v_mul_f32_e32 v14, v14, v28
	v_mul_f32_e32 v15, v15, v29
	;; [unrolled: 1-line block ×4, first 2 shown]
	v_max3_f32 v5, v5, |v14|, |v15|
	v_max3_f32 v5, v5, |v24|, |v25|
                                        ; implicit-def: $vgpr14_vgpr15
	s_and_saveexec_b64 s[40:41], vcc
	s_xor_b64 s[40:41], exec, s[40:41]
	s_cbranch_execz .LBB28_18
; %bb.24:                               ;   in Loop: Header=BB28_21 Depth=1
	v_mov_b32_e32 v28, s31
	v_add_co_u32_e32 v14, vcc, s30, v18
	v_addc_co_u32_e32 v15, vcc, v19, v28, vcc
	global_load_dwordx4 v[24:27], v[14:15], off
	v_add_co_u32_e32 v14, vcc, s30, v20
	v_addc_co_u32_e32 v15, vcc, v21, v28, vcc
	global_load_dwordx4 v[18:21], v[14:15], off
	s_add_u32 s16, s2, s2
	s_addc_u32 s19, s3, s3
	v_mov_b32_e32 v14, s25
	v_add_co_u32_e32 v12, vcc, s24, v12
	s_add_u32 s16, s16, s2
	v_addc_co_u32_e32 v1, vcc, v1, v14, vcc
	s_addc_u32 s19, s19, s3
	v_mov_b32_e32 v15, s19
	v_add_co_u32_e32 v14, vcc, s16, v16
	v_addc_co_u32_e32 v15, vcc, v15, v17, vcc
	v_cmp_ge_i64_e32 vcc, v[14:15], v[10:11]
	s_orn2_b64 s[42:43], vcc, exec
	s_waitcnt vmcnt(1)
	v_mul_f32_e32 v16, v36, v24
	v_mul_f32_e32 v17, v36, v25
	;; [unrolled: 1-line block ×4, first 2 shown]
	s_waitcnt vmcnt(0)
	v_mul_f32_e32 v16, v16, v18
	v_mul_f32_e32 v17, v17, v19
	;; [unrolled: 1-line block ×4, first 2 shown]
	v_max3_f32 v5, v5, |v16|, |v17|
	v_max3_f32 v5, v5, |v18|, |v19|
	s_branch .LBB28_18
.LBB28_25:
	s_or_b64 exec, exec, s[28:29]
.LBB28_26:
	s_or_b64 exec, exec, s[22:23]
	s_lshr_b32 s7, s45, 6
	v_cvt_f32_u32_e32 v10, s7
	v_lshlrev_b32_e32 v1, 2, v0
	ds_write_b32 v1, v5
	s_sub_i32 s22, 0, s7
	v_rcp_iflag_f32_e32 v5, v10
	s_add_i32 s13, s18, s7
	s_add_i32 s13, s13, -1
	s_ashr_i32 s16, s13, 31
	v_mul_f32_e32 v5, 0x4f7ffffe, v5
	v_cvt_u32_f32_e32 v5, v5
	s_abs_i32 s13, s13
	s_ashr_i32 s19, s18, 31
	s_waitcnt lgkmcnt(0)
	v_readfirstlane_b32 s23, v5
	s_mul_i32 s22, s22, s23
	s_mul_hi_u32 s22, s23, s22
	s_add_i32 s23, s23, s22
	s_mul_hi_u32 s22, s13, s23
	s_mul_i32 s23, s22, s7
	s_sub_i32 s13, s13, s23
	s_add_i32 s23, s22, 1
	s_sub_i32 s24, s13, s7
	s_cmp_ge_u32 s13, s7
	s_cselect_b32 s22, s23, s22
	s_cselect_b32 s13, s24, s13
	s_add_i32 s23, s22, 1
	s_cmp_ge_u32 s13, s7
	s_cselect_b32 s13, s23, s22
	s_xor_b32 s13, s13, s16
	s_sub_i32 s22, s13, s16
	s_ashr_i32 s23, s22, 31
	v_cmp_lt_i64_e64 s[24:25], s[22:23], 1
	s_and_b64 vcc, exec, s[24:25]
	s_barrier
	s_cbranch_vccnz .LBB28_48
; %bb.27:
	v_and_b32_e32 v12, 63, v0
	v_add_co_u32_e32 v14, vcc, 32, v12
	v_addc_co_u32_e64 v15, s[24:25], 0, 0, vcc
	v_add_co_u32_e32 v16, vcc, 16, v12
	v_addc_co_u32_e64 v17, s[24:25], 0, 0, vcc
	v_add_co_u32_e32 v18, vcc, 8, v12
	v_lshrrev_b32_e32 v10, 6, v0
	v_addc_co_u32_e64 v19, s[24:25], 0, 0, vcc
	v_add_co_u32_e32 v20, vcc, 4, v12
	v_addc_co_u32_e64 v21, s[24:25], 0, 0, vcc
	v_add_co_u32_e32 v22, vcc, 2, v12
	v_mul_lo_u32 v5, s2, v10
	v_addc_co_u32_e64 v23, s[24:25], 0, 0, vcc
	v_add_co_u32_e32 v24, vcc, 1, v12
	v_lshlrev_b32_e32 v5, 2, v5
	v_lshlrev_b32_e32 v26, 2, v12
	s_movk_i32 s13, 0x100
	v_mov_b32_e32 v11, 0
	v_addc_co_u32_e64 v25, s[24:25], 0, 0, vcc
	v_add3_u32 v5, v5, v26, s13
	s_mul_i32 s13, s2, s7
	v_mov_b32_e32 v13, v11
	s_lshl_b32 s13, s13, 2
	s_mov_b64 s[24:25], 0
	v_mov_b32_e32 v37, s7
	s_mov_b64 s[26:27], src_shared_base
	s_branch .LBB28_30
.LBB28_28:                              ;   in Loop: Header=BB28_30 Depth=1
	s_or_b64 exec, exec, s[30:31]
	v_mov_b32_e32 v27, s27
	flat_load_dword v26, v[26:27] glc
	s_waitcnt vmcnt(0)
.LBB28_29:                              ;   in Loop: Header=BB28_30 Depth=1
	s_or_b64 exec, exec, s[28:29]
	s_add_u32 s24, s24, 1
	s_addc_u32 s25, s25, 0
	s_cmp_eq_u64 s[24:25], s[22:23]
	v_add_u32_e32 v5, s13, v5
	s_cbranch_scc1 .LBB28_48
.LBB28_30:                              ; =>This Loop Header: Depth=1
                                        ;     Child Loop BB28_33 Depth 2
	v_mad_u64_u32 v[30:31], s[28:29], s24, v37, v[10:11]
	s_mul_i32 s16, s25, s7
	v_add_u32_e32 v31, s16, v31
	v_cmp_gt_i64_e32 vcc, s[18:19], v[30:31]
	s_and_saveexec_b64 s[28:29], vcc
	s_cbranch_execz .LBB28_29
; %bb.31:                               ;   in Loop: Header=BB28_30 Depth=1
	v_pk_mov_b32 v[32:33], s[2:3], s[2:3] op_sel:[0,1]
	v_mul_lo_u32 v29, v31, s2
	v_mul_lo_u32 v38, v30, s3
	v_mad_u64_u32 v[32:33], s[30:31], v30, s2, v[32:33]
	v_add3_u32 v33, v29, v33, v38
	v_mov_b32_e32 v28, s21
	v_cmp_gt_i64_e32 vcc, s[20:21], v[32:33]
	s_waitcnt lgkmcnt(0)
	v_mad_u64_u32 v[26:27], s[30:31], v30, s2, v[12:13]
	v_cndmask_b32_e32 v33, v28, v33, vcc
	v_mov_b32_e32 v28, s17
	v_add3_u32 v27, v29, v27, v38
	v_cndmask_b32_e32 v32, v28, v32, vcc
	v_add_co_u32_e32 v34, vcc, 64, v26
	v_addc_co_u32_e32 v35, vcc, 0, v27, vcc
	v_cmp_lt_i64_e32 vcc, v[34:35], v[32:33]
	v_lshlrev_b32_e32 v28, 2, v26
	s_and_saveexec_b64 s[30:31], vcc
	s_cbranch_execz .LBB28_34
; %bb.32:                               ;   in Loop: Header=BB28_30 Depth=1
	ds_read_b32 v31, v28
	s_mov_b64 s[34:35], 0
	v_mov_b32_e32 v27, v5
.LBB28_33:                              ;   Parent Loop BB28_30 Depth=1
                                        ; =>  This Inner Loop Header: Depth=2
	ds_read_b32 v39, v27
	v_add_co_u32_e32 v34, vcc, 64, v34
	v_addc_co_u32_e32 v35, vcc, 0, v35, vcc
	s_waitcnt lgkmcnt(1)
	v_max_f32_e32 v31, v31, v31
	v_cmp_ge_i64_e32 vcc, v[34:35], v[32:33]
	s_waitcnt lgkmcnt(0)
	v_max_f32_e32 v39, v39, v39
	v_add_u32_e32 v27, 0x100, v27
	s_or_b64 s[34:35], vcc, s[34:35]
	v_max_f32_e32 v31, v31, v39
	ds_write_b32 v28, v31
	s_andn2_b64 exec, exec, s[34:35]
	s_cbranch_execnz .LBB28_33
.LBB28_34:                              ;   in Loop: Header=BB28_30 Depth=1
	s_or_b64 exec, exec, s[30:31]
	v_mad_u64_u32 v[30:31], s[30:31], v30, s2, 0
	v_add3_u32 v27, v31, v38, v29
	v_sub_co_u32_e32 v30, vcc, v32, v30
	v_subb_co_u32_e32 v31, vcc, v33, v27, vcc
	v_cmp_gt_i64_e32 vcc, 64, v[30:31]
	v_cndmask_b32_e32 v31, 0, v31, vcc
	v_cndmask_b32_e32 v30, 64, v30, vcc
	v_cmp_lt_i64_e32 vcc, v[14:15], v[30:31]
	s_and_saveexec_b64 s[30:31], vcc
	s_cbranch_execnz .LBB28_46
; %bb.35:                               ;   in Loop: Header=BB28_30 Depth=1
	s_or_b64 exec, exec, s[30:31]
	v_cmp_lt_i64_e32 vcc, v[16:17], v[30:31]
	s_and_saveexec_b64 s[30:31], vcc
	s_cbranch_execnz .LBB28_47
.LBB28_36:                              ;   in Loop: Header=BB28_30 Depth=1
	s_or_b64 exec, exec, s[30:31]
	v_cmp_lt_i64_e32 vcc, v[18:19], v[30:31]
	s_and_saveexec_b64 s[30:31], vcc
	s_cbranch_execz .LBB28_38
.LBB28_37:                              ;   in Loop: Header=BB28_30 Depth=1
	v_mov_b32_e32 v29, s27
	v_add_u32_e32 v32, 32, v28
	v_mov_b32_e32 v33, s27
	flat_load_dword v27, v[28:29] glc
	s_waitcnt vmcnt(0)
	flat_load_dword v34, v[32:33] glc
	s_waitcnt vmcnt(0) lgkmcnt(0)
	v_max_f32_e32 v27, v27, v27
	v_max_f32_e32 v32, v34, v34
	v_max_f32_e32 v27, v27, v32
	flat_store_dword v[28:29], v27
	s_waitcnt vmcnt(0)
.LBB28_38:                              ;   in Loop: Header=BB28_30 Depth=1
	s_or_b64 exec, exec, s[30:31]
	v_cmp_ge_i64_e32 vcc, v[20:21], v[30:31]
	s_and_saveexec_b64 s[30:31], vcc
	s_xor_b64 s[30:31], exec, s[30:31]
; %bb.39:                               ;   in Loop: Header=BB28_30 Depth=1
                                        ; implicit-def: $vgpr28
; %bb.40:                               ;   in Loop: Header=BB28_30 Depth=1
	s_andn2_saveexec_b64 s[30:31], s[30:31]
	s_cbranch_execz .LBB28_42
; %bb.41:                               ;   in Loop: Header=BB28_30 Depth=1
	v_mov_b32_e32 v29, s27
	v_add_u32_e32 v32, 16, v28
	v_mov_b32_e32 v33, s27
	flat_load_dword v27, v[28:29] glc
	s_waitcnt vmcnt(0)
	flat_load_dword v34, v[32:33] glc
	s_waitcnt vmcnt(0) lgkmcnt(0)
	v_max_f32_e32 v27, v27, v27
	v_max_f32_e32 v32, v34, v34
	;; [unrolled: 1-line block ×3, first 2 shown]
	flat_store_dword v[28:29], v27
	s_waitcnt vmcnt(0)
.LBB28_42:                              ;   in Loop: Header=BB28_30 Depth=1
	s_or_b64 exec, exec, s[30:31]
	v_cmp_lt_i64_e32 vcc, v[22:23], v[30:31]
	v_lshlrev_b32_e32 v26, 2, v26
	s_and_saveexec_b64 s[30:31], vcc
	s_cbranch_execz .LBB28_44
; %bb.43:                               ;   in Loop: Header=BB28_30 Depth=1
	v_mov_b32_e32 v27, s27
	v_add_u32_e32 v28, 8, v26
	v_mov_b32_e32 v29, s27
	flat_load_dword v32, v[26:27] glc
	s_waitcnt vmcnt(0)
	flat_load_dword v33, v[28:29] glc
	s_waitcnt vmcnt(0) lgkmcnt(0)
	v_max_f32_e32 v28, v32, v32
	v_max_f32_e32 v29, v33, v33
	;; [unrolled: 1-line block ×3, first 2 shown]
	flat_store_dword v[26:27], v28
	s_waitcnt vmcnt(0)
.LBB28_44:                              ;   in Loop: Header=BB28_30 Depth=1
	s_or_b64 exec, exec, s[30:31]
	v_cmp_lt_i64_e32 vcc, v[24:25], v[30:31]
	s_and_saveexec_b64 s[30:31], vcc
	s_cbranch_execz .LBB28_28
; %bb.45:                               ;   in Loop: Header=BB28_30 Depth=1
	v_mov_b32_e32 v27, s27
	v_add_u32_e32 v28, 4, v26
	v_mov_b32_e32 v29, s27
	flat_load_dword v30, v[26:27] glc
	s_waitcnt vmcnt(0)
	flat_load_dword v31, v[28:29] glc
	s_waitcnt vmcnt(0) lgkmcnt(0)
	v_max_f32_e32 v28, v30, v30
	v_max_f32_e32 v29, v31, v31
	v_max_f32_e32 v28, v28, v29
	flat_store_dword v[26:27], v28
	s_waitcnt vmcnt(0)
	s_branch .LBB28_28
.LBB28_46:                              ;   in Loop: Header=BB28_30 Depth=1
	v_mov_b32_e32 v29, s27
	v_add_u32_e32 v32, 0x80, v28
	v_mov_b32_e32 v33, s27
	flat_load_dword v27, v[28:29] glc
	s_waitcnt vmcnt(0)
	flat_load_dword v34, v[32:33] glc
	s_waitcnt vmcnt(0) lgkmcnt(0)
	v_max_f32_e32 v27, v27, v27
	v_max_f32_e32 v32, v34, v34
	;; [unrolled: 1-line block ×3, first 2 shown]
	flat_store_dword v[28:29], v27
	s_waitcnt vmcnt(0)
	s_or_b64 exec, exec, s[30:31]
	v_cmp_lt_i64_e32 vcc, v[16:17], v[30:31]
	s_and_saveexec_b64 s[30:31], vcc
	s_cbranch_execz .LBB28_36
.LBB28_47:                              ;   in Loop: Header=BB28_30 Depth=1
	v_mov_b32_e32 v29, s27
	v_add_u32_e32 v32, 64, v28
	v_mov_b32_e32 v33, s27
	flat_load_dword v27, v[28:29] glc
	s_waitcnt vmcnt(0)
	flat_load_dword v34, v[32:33] glc
	s_waitcnt vmcnt(0) lgkmcnt(0)
	v_max_f32_e32 v27, v27, v27
	v_max_f32_e32 v32, v34, v34
	;; [unrolled: 1-line block ×3, first 2 shown]
	flat_store_dword v[28:29], v27
	s_waitcnt vmcnt(0)
	s_or_b64 exec, exec, s[30:31]
	v_cmp_lt_i64_e32 vcc, v[18:19], v[30:31]
	s_and_saveexec_b64 s[30:31], vcc
	s_cbranch_execnz .LBB28_37
	s_branch .LBB28_38
.LBB28_48:
	v_cmp_eq_u32_e32 vcc, 0, v4
	v_cmp_lt_i64_e64 s[2:3], v[6:7], v[8:9]
	s_and_b64 s[22:23], vcc, s[2:3]
	s_mul_i32 s7, s19, s6
	s_mul_hi_u32 s16, s18, s6
	s_mul_i32 s2, s18, s6
	s_waitcnt lgkmcnt(0)
	s_barrier
	s_and_saveexec_b64 s[18:19], s[22:23]
	s_cbranch_execz .LBB28_52
; %bb.49:
	s_load_dwordx2 s[4:5], s[4:5], 0x20
	ds_read_b32 v1, v1
	s_waitcnt lgkmcnt(0)
	s_cmp_eq_u64 s[4:5], 0
	s_cbranch_scc1 .LBB28_51
; %bb.50:
	s_load_dword s3, s[4:5], 0x0
	v_max_f32_e32 v1, v1, v1
	s_waitcnt lgkmcnt(0)
	v_max_f32_e64 v4, s3, s3
	v_min_f32_e32 v1, v1, v4
.LBB28_51:
	s_mov_b32 s3, 0x43600000
	v_div_scale_f32 v4, s[4:5], s3, s3, v1
	v_rcp_f32_e32 v5, v4
	v_div_scale_f32 v6, vcc, v1, s3, v1
	v_lshlrev_b64 v[2:3], 2, v[2:3]
	v_fma_f32 v7, -v4, v5, 1.0
	v_fmac_f32_e32 v5, v7, v5
	v_mul_f32_e32 v7, v6, v5
	v_fma_f32 v8, -v4, v7, v6
	v_fmac_f32_e32 v7, v8, v5
	v_fma_f32 v4, -v4, v7, v6
	v_div_fmas_f32 v4, v4, v5, v7
	v_div_fixup_f32 v1, v4, s3, v1
	s_add_i32 s3, s16, s7
	s_lshl_b64 s[4:5], s[2:3], 2
	s_add_u32 s3, s10, s4
	s_addc_u32 s4, s11, s5
	v_mov_b32_e32 v4, s4
	v_add_co_u32_e32 v2, vcc, s3, v2
	v_max_f32_e32 v1, 0x37124925, v1
	v_addc_co_u32_e32 v3, vcc, v4, v3, vcc
	global_store_dword v[2:3], v1, off
.LBB28_52:
	s_or_b64 exec, exec, s[18:19]
	s_barrier
	s_and_saveexec_b64 s[4:5], s[0:1]
	s_cbranch_execz .LBB28_189
; %bb.53:
	s_mul_i32 s0, s21, s6
	s_mul_hi_u32 s1, s17, s6
	s_add_i32 s1, s1, s0
	s_mul_i32 s0, s17, s6
	s_add_u32 s13, s8, s0
	s_addc_u32 s20, s9, s1
	s_add_i32 s3, s16, s7
	s_lshl_b64 s[0:1], s[2:3], 2
	s_add_u32 s0, s10, s0
	s_addc_u32 s1, s11, s1
	s_mul_i32 s21, s45, 3
	s_lshl_b32 s22, s45, 1
	s_mov_b64 s[2:3], 0
	v_mov_b32_e32 v1, 0
	v_mov_b32_e32 v14, s44
	;; [unrolled: 1-line block ×3, first 2 shown]
	s_mov_b32 s23, 0x43800000
	s_mov_b32 s24, 0x3bffffff
	;; [unrolled: 1-line block ×4, first 2 shown]
	s_movk_i32 s27, 0x80
	s_mov_b32 s28, 0x4020c0c
	s_branch .LBB28_59
.LBB28_54:                              ;   in Loop: Header=BB28_59 Depth=1
	s_or_b64 exec, exec, s[18:19]
.LBB28_55:                              ;   in Loop: Header=BB28_59 Depth=1
	s_or_b64 exec, exec, s[10:11]
	v_lshlrev_b64 v[8:9], 2, v[0:1]
	v_mov_b32_e32 v0, s20
	v_add_co_u32_e32 v8, vcc, s13, v8
	v_addc_co_u32_e32 v9, vcc, v0, v9, vcc
	v_lshlrev_b32_e32 v0, 16, v4
	v_lshlrev_b32_e32 v2, 8, v2
	v_perm_b32 v0, v3, v0, s28
	v_and_b32_e32 v2, 0xff00, v2
	v_and_b32_e32 v3, 0xff, v6
	s_add_i32 s10, s45, s45
	v_or3_b32 v0, v0, v2, v3
	s_add_i32 s10, s10, s45
	global_store_dword v[8:9], v0, off
	v_add_u32_e32 v0, s10, v10
	v_cmp_le_u32_e32 vcc, s12, v0
	s_orn2_b64 s[10:11], vcc, exec
.LBB28_56:                              ;   in Loop: Header=BB28_59 Depth=1
	s_or_b64 exec, exec, s[8:9]
	s_orn2_b64 s[8:9], s[10:11], exec
.LBB28_57:                              ;   in Loop: Header=BB28_59 Depth=1
	s_or_b64 exec, exec, s[6:7]
	s_orn2_b64 s[6:7], s[8:9], exec
.LBB28_58:                              ;   in Loop: Header=BB28_59 Depth=1
	s_or_b64 exec, exec, s[4:5]
	s_and_b64 s[4:5], exec, s[6:7]
	s_or_b64 s[2:3], s[4:5], s[2:3]
	s_andn2_b64 exec, exec, s[2:3]
	s_cbranch_execz .LBB28_189
.LBB28_59:                              ; =>This Inner Loop Header: Depth=1
	v_lshlrev_b64 v[6:7], 4, v[0:1]
	v_add_co_u32_e32 v2, vcc, s33, v6
	v_addc_co_u32_e32 v3, vcc, v14, v7, vcc
	v_add_co_u32_e32 v6, vcc, s14, v6
	global_load_dwordx4 v[2:5], v[2:3], off
	v_addc_co_u32_e32 v7, vcc, v15, v7, vcc
	v_lshrrev_b32_e32 v10, 3, v0
	global_load_dwordx4 v[6:9], v[6:7], off
	v_and_b32_e32 v10, 0x7fffffc, v10
	global_load_dword v10, v10, s[0:1]
	s_waitcnt vmcnt(2)
	v_mul_f32_e32 v2, v36, v2
	s_waitcnt vmcnt(1)
	v_mul_f32_e32 v6, v2, v6
	v_mov_b32_e32 v2, 0x80
	s_waitcnt vmcnt(0)
	v_div_scale_f32 v11, s[4:5], v10, v10, v6
	v_rcp_f32_e32 v12, v11
	v_div_scale_f32 v13, vcc, v6, v10, v6
	v_fma_f32 v16, -v11, v12, 1.0
	v_fmac_f32_e32 v12, v16, v12
	v_mul_f32_e32 v16, v13, v12
	v_fma_f32 v17, -v11, v16, v13
	v_fmac_f32_e32 v16, v17, v12
	v_fma_f32 v11, -v11, v16, v13
	v_div_fmas_f32 v11, v11, v12, v16
	v_div_fixup_f32 v6, v11, v10, v6
	v_min_f32_e32 v6, 0x43600000, v6
	v_max_f32_e32 v11, 0xc3600000, v6
	v_and_b32_e32 v12, 0x7fffffff, v11
	v_cmp_gt_u32_e32 vcc, s23, v12
	v_mov_b32_e32 v6, 0x80
	s_and_saveexec_b64 s[4:5], vcc
	s_cbranch_execz .LBB28_65
; %bb.60:                               ;   in Loop: Header=BB28_59 Depth=1
	v_cmp_lt_u32_e32 vcc, s24, v12
	s_mov_b64 s[6:7], 0
                                        ; implicit-def: $vgpr12
	s_and_saveexec_b64 s[8:9], vcc
	s_xor_b64 s[8:9], exec, s[8:9]
	s_cbranch_execnz .LBB28_156
; %bb.61:                               ;   in Loop: Header=BB28_59 Depth=1
	s_or_saveexec_b64 s[8:9], s[8:9]
                                        ; implicit-def: $sgpr10
	s_xor_b64 exec, exec, s[8:9]
	s_cbranch_execnz .LBB28_157
.LBB28_62:                              ;   in Loop: Header=BB28_59 Depth=1
	s_or_b64 exec, exec, s[8:9]
	v_mov_b32_e32 v6, s10
	s_and_saveexec_b64 s[8:9], s[6:7]
.LBB28_63:                              ;   in Loop: Header=BB28_59 Depth=1
	v_lshrrev_b32_e32 v6, 24, v11
	v_and_or_b32 v6, v6, s27, v12
.LBB28_64:                              ;   in Loop: Header=BB28_59 Depth=1
	s_or_b64 exec, exec, s[8:9]
.LBB28_65:                              ;   in Loop: Header=BB28_59 Depth=1
	s_or_b64 exec, exec, s[4:5]
	v_mul_f32_e32 v3, v36, v3
	v_mul_f32_e32 v3, v3, v7
	v_div_scale_f32 v7, s[4:5], v10, v10, v3
	v_rcp_f32_e32 v11, v7
	v_div_scale_f32 v12, vcc, v3, v10, v3
	v_fma_f32 v13, -v7, v11, 1.0
	v_fmac_f32_e32 v11, v13, v11
	v_mul_f32_e32 v13, v12, v11
	v_fma_f32 v16, -v7, v13, v12
	v_fmac_f32_e32 v13, v16, v11
	v_fma_f32 v7, -v7, v13, v12
	v_div_fmas_f32 v7, v7, v11, v13
	v_div_fixup_f32 v3, v7, v10, v3
	v_min_f32_e32 v3, 0x43600000, v3
	v_max_f32_e32 v3, 0xc3600000, v3
	v_and_b32_e32 v7, 0x7fffffff, v3
	v_cmp_gt_u32_e32 vcc, s23, v7
	s_and_saveexec_b64 s[4:5], vcc
	s_cbranch_execz .LBB28_71
; %bb.66:                               ;   in Loop: Header=BB28_59 Depth=1
	v_cmp_lt_u32_e32 vcc, s24, v7
	s_mov_b64 s[6:7], 0
                                        ; implicit-def: $vgpr7
	s_and_saveexec_b64 s[8:9], vcc
	s_xor_b64 s[8:9], exec, s[8:9]
	s_cbranch_execnz .LBB28_158
; %bb.67:                               ;   in Loop: Header=BB28_59 Depth=1
	s_or_saveexec_b64 s[8:9], s[8:9]
                                        ; implicit-def: $sgpr10
	s_xor_b64 exec, exec, s[8:9]
	s_cbranch_execnz .LBB28_159
.LBB28_68:                              ;   in Loop: Header=BB28_59 Depth=1
	s_or_b64 exec, exec, s[8:9]
	v_mov_b32_e32 v2, s10
	s_and_saveexec_b64 s[8:9], s[6:7]
.LBB28_69:                              ;   in Loop: Header=BB28_59 Depth=1
	v_lshrrev_b32_e32 v2, 24, v3
	v_and_or_b32 v2, v2, s27, v7
.LBB28_70:                              ;   in Loop: Header=BB28_59 Depth=1
	s_or_b64 exec, exec, s[8:9]
.LBB28_71:                              ;   in Loop: Header=BB28_59 Depth=1
	s_or_b64 exec, exec, s[4:5]
	v_mul_f32_e32 v3, v36, v4
	v_mul_f32_e32 v3, v3, v8
	v_div_scale_f32 v4, s[4:5], v10, v10, v3
	v_rcp_f32_e32 v7, v4
	v_div_scale_f32 v8, vcc, v3, v10, v3
	v_fma_f32 v11, -v4, v7, 1.0
	v_fmac_f32_e32 v7, v11, v7
	v_mul_f32_e32 v11, v8, v7
	v_fma_f32 v12, -v4, v11, v8
	v_fmac_f32_e32 v11, v12, v7
	v_fma_f32 v4, -v4, v11, v8
	v_div_fmas_f32 v4, v4, v7, v11
	v_div_fixup_f32 v3, v4, v10, v3
	v_min_f32_e32 v3, 0x43600000, v3
	v_max_f32_e32 v7, 0xc3600000, v3
	v_and_b32_e32 v8, 0x7fffffff, v7
	v_cmp_gt_u32_e32 vcc, s23, v8
	v_mov_b32_e32 v3, 0x80
	v_mov_b32_e32 v4, 0x80
	s_and_saveexec_b64 s[4:5], vcc
	s_cbranch_execz .LBB28_77
; %bb.72:                               ;   in Loop: Header=BB28_59 Depth=1
	v_cmp_lt_u32_e32 vcc, s24, v8
	s_mov_b64 s[6:7], 0
                                        ; implicit-def: $vgpr8
	s_and_saveexec_b64 s[8:9], vcc
	s_xor_b64 s[8:9], exec, s[8:9]
	s_cbranch_execnz .LBB28_160
; %bb.73:                               ;   in Loop: Header=BB28_59 Depth=1
	s_or_saveexec_b64 s[8:9], s[8:9]
                                        ; implicit-def: $sgpr10
	s_xor_b64 exec, exec, s[8:9]
	s_cbranch_execnz .LBB28_161
.LBB28_74:                              ;   in Loop: Header=BB28_59 Depth=1
	s_or_b64 exec, exec, s[8:9]
	v_mov_b32_e32 v4, s10
	s_and_saveexec_b64 s[8:9], s[6:7]
.LBB28_75:                              ;   in Loop: Header=BB28_59 Depth=1
	v_lshrrev_b32_e32 v4, 24, v7
	v_and_or_b32 v4, v4, s27, v8
.LBB28_76:                              ;   in Loop: Header=BB28_59 Depth=1
	s_or_b64 exec, exec, s[8:9]
.LBB28_77:                              ;   in Loop: Header=BB28_59 Depth=1
	s_or_b64 exec, exec, s[4:5]
	v_mul_f32_e32 v5, v36, v5
	v_mul_f32_e32 v5, v5, v9
	v_div_scale_f32 v7, s[4:5], v10, v10, v5
	v_rcp_f32_e32 v8, v7
	v_div_scale_f32 v9, vcc, v5, v10, v5
	v_fma_f32 v11, -v7, v8, 1.0
	v_fmac_f32_e32 v8, v11, v8
	v_mul_f32_e32 v11, v9, v8
	v_fma_f32 v12, -v7, v11, v9
	v_fmac_f32_e32 v11, v12, v8
	v_fma_f32 v7, -v7, v11, v9
	v_div_fmas_f32 v7, v7, v8, v11
	v_div_fixup_f32 v5, v7, v10, v5
	v_min_f32_e32 v5, 0x43600000, v5
	v_max_f32_e32 v5, 0xc3600000, v5
	v_and_b32_e32 v7, 0x7fffffff, v5
	v_cmp_gt_u32_e32 vcc, s23, v7
	s_and_saveexec_b64 s[4:5], vcc
	s_cbranch_execz .LBB28_83
; %bb.78:                               ;   in Loop: Header=BB28_59 Depth=1
	v_cmp_lt_u32_e32 vcc, s24, v7
	s_mov_b64 s[6:7], 0
                                        ; implicit-def: $vgpr7
	s_and_saveexec_b64 s[8:9], vcc
	s_xor_b64 s[8:9], exec, s[8:9]
	s_cbranch_execnz .LBB28_162
; %bb.79:                               ;   in Loop: Header=BB28_59 Depth=1
	s_or_saveexec_b64 s[8:9], s[8:9]
                                        ; implicit-def: $sgpr10
	s_xor_b64 exec, exec, s[8:9]
	s_cbranch_execnz .LBB28_163
.LBB28_80:                              ;   in Loop: Header=BB28_59 Depth=1
	s_or_b64 exec, exec, s[8:9]
	v_mov_b32_e32 v3, s10
	s_and_saveexec_b64 s[8:9], s[6:7]
.LBB28_81:                              ;   in Loop: Header=BB28_59 Depth=1
	v_lshrrev_b32_e32 v3, 24, v5
	v_and_or_b32 v3, v3, s27, v7
.LBB28_82:                              ;   in Loop: Header=BB28_59 Depth=1
	s_or_b64 exec, exec, s[8:9]
.LBB28_83:                              ;   in Loop: Header=BB28_59 Depth=1
	s_or_b64 exec, exec, s[4:5]
	v_lshlrev_b64 v[8:9], 2, v[0:1]
	v_mov_b32_e32 v5, s20
	v_add_co_u32_e32 v8, vcc, s13, v8
	v_lshlrev_b32_e32 v4, 16, v4
	v_lshlrev_b32_e32 v2, 8, v2
	v_addc_co_u32_e32 v9, vcc, v5, v9, vcc
	v_perm_b32 v3, v3, v4, s28
	v_and_b32_e32 v2, 0xff00, v2
	v_and_b32_e32 v4, 0xff, v6
	v_add_u32_e32 v10, s45, v0
	v_or3_b32 v2, v3, v2, v4
	v_cmp_gt_u32_e32 vcc, s12, v10
	s_mov_b64 s[6:7], -1
	global_store_dword v[8:9], v2, off
	s_and_saveexec_b64 s[4:5], vcc
	s_cbranch_execz .LBB28_58
; %bb.84:                               ;   in Loop: Header=BB28_59 Depth=1
	v_mov_b32_e32 v11, v1
	v_lshlrev_b64 v[6:7], 4, v[10:11]
	v_mov_b32_e32 v3, s44
	v_add_co_u32_e32 v2, vcc, s33, v6
	v_addc_co_u32_e32 v3, vcc, v3, v7, vcc
	v_mov_b32_e32 v8, s15
	v_add_co_u32_e32 v6, vcc, s14, v6
	global_load_dwordx4 v[2:5], v[2:3], off
	v_addc_co_u32_e32 v7, vcc, v8, v7, vcc
	v_lshrrev_b32_e32 v12, 3, v10
	global_load_dwordx4 v[6:9], v[6:7], off
	v_and_b32_e32 v12, 0x7fffffc, v12
	global_load_dword v12, v12, s[0:1]
	s_waitcnt vmcnt(2)
	v_mul_f32_e32 v2, v36, v2
	s_waitcnt vmcnt(1)
	v_mul_f32_e32 v6, v2, v6
	v_mov_b32_e32 v2, 0x80
	s_waitcnt vmcnt(0)
	v_div_scale_f32 v13, s[6:7], v12, v12, v6
	v_rcp_f32_e32 v16, v13
	v_div_scale_f32 v17, vcc, v6, v12, v6
	v_fma_f32 v18, -v13, v16, 1.0
	v_fmac_f32_e32 v16, v18, v16
	v_mul_f32_e32 v18, v17, v16
	v_fma_f32 v19, -v13, v18, v17
	v_fmac_f32_e32 v18, v19, v16
	v_fma_f32 v13, -v13, v18, v17
	v_div_fmas_f32 v13, v13, v16, v18
	v_div_fixup_f32 v6, v13, v12, v6
	v_min_f32_e32 v6, 0x43600000, v6
	v_max_f32_e32 v13, 0xc3600000, v6
	v_and_b32_e32 v16, 0x7fffffff, v13
	v_cmp_gt_u32_e32 vcc, s23, v16
	v_mov_b32_e32 v6, 0x80
	s_and_saveexec_b64 s[6:7], vcc
	s_cbranch_execz .LBB28_90
; %bb.85:                               ;   in Loop: Header=BB28_59 Depth=1
	v_cmp_lt_u32_e32 vcc, s24, v16
	s_mov_b64 s[8:9], 0
                                        ; implicit-def: $vgpr16
	s_and_saveexec_b64 s[10:11], vcc
	s_xor_b64 s[10:11], exec, s[10:11]
	s_cbranch_execnz .LBB28_164
; %bb.86:                               ;   in Loop: Header=BB28_59 Depth=1
	s_or_saveexec_b64 s[10:11], s[10:11]
                                        ; implicit-def: $sgpr16
	s_xor_b64 exec, exec, s[10:11]
	s_cbranch_execnz .LBB28_165
.LBB28_87:                              ;   in Loop: Header=BB28_59 Depth=1
	s_or_b64 exec, exec, s[10:11]
	v_mov_b32_e32 v6, s16
	s_and_saveexec_b64 s[10:11], s[8:9]
.LBB28_88:                              ;   in Loop: Header=BB28_59 Depth=1
	v_lshrrev_b32_e32 v6, 24, v13
	v_and_or_b32 v6, v6, s27, v16
.LBB28_89:                              ;   in Loop: Header=BB28_59 Depth=1
	s_or_b64 exec, exec, s[10:11]
.LBB28_90:                              ;   in Loop: Header=BB28_59 Depth=1
	s_or_b64 exec, exec, s[6:7]
	v_mul_f32_e32 v3, v36, v3
	v_mul_f32_e32 v3, v3, v7
	v_div_scale_f32 v7, s[6:7], v12, v12, v3
	v_rcp_f32_e32 v13, v7
	v_div_scale_f32 v16, vcc, v3, v12, v3
	v_fma_f32 v17, -v7, v13, 1.0
	v_fmac_f32_e32 v13, v17, v13
	v_mul_f32_e32 v17, v16, v13
	v_fma_f32 v18, -v7, v17, v16
	v_fmac_f32_e32 v17, v18, v13
	v_fma_f32 v7, -v7, v17, v16
	v_div_fmas_f32 v7, v7, v13, v17
	v_div_fixup_f32 v3, v7, v12, v3
	v_min_f32_e32 v3, 0x43600000, v3
	v_max_f32_e32 v3, 0xc3600000, v3
	v_and_b32_e32 v7, 0x7fffffff, v3
	v_cmp_gt_u32_e32 vcc, s23, v7
	s_and_saveexec_b64 s[6:7], vcc
	s_cbranch_execz .LBB28_96
; %bb.91:                               ;   in Loop: Header=BB28_59 Depth=1
	v_cmp_lt_u32_e32 vcc, s24, v7
	s_mov_b64 s[8:9], 0
                                        ; implicit-def: $vgpr7
	s_and_saveexec_b64 s[10:11], vcc
	s_xor_b64 s[10:11], exec, s[10:11]
	s_cbranch_execnz .LBB28_166
; %bb.92:                               ;   in Loop: Header=BB28_59 Depth=1
	s_or_saveexec_b64 s[10:11], s[10:11]
                                        ; implicit-def: $sgpr16
	s_xor_b64 exec, exec, s[10:11]
	s_cbranch_execnz .LBB28_167
.LBB28_93:                              ;   in Loop: Header=BB28_59 Depth=1
	s_or_b64 exec, exec, s[10:11]
	v_mov_b32_e32 v2, s16
	s_and_saveexec_b64 s[10:11], s[8:9]
.LBB28_94:                              ;   in Loop: Header=BB28_59 Depth=1
	v_lshrrev_b32_e32 v2, 24, v3
	v_and_or_b32 v2, v2, s27, v7
.LBB28_95:                              ;   in Loop: Header=BB28_59 Depth=1
	s_or_b64 exec, exec, s[10:11]
.LBB28_96:                              ;   in Loop: Header=BB28_59 Depth=1
	s_or_b64 exec, exec, s[6:7]
	v_mul_f32_e32 v3, v36, v4
	v_mul_f32_e32 v3, v3, v8
	v_div_scale_f32 v4, s[6:7], v12, v12, v3
	v_rcp_f32_e32 v7, v4
	v_div_scale_f32 v8, vcc, v3, v12, v3
	v_fma_f32 v13, -v4, v7, 1.0
	v_fmac_f32_e32 v7, v13, v7
	v_mul_f32_e32 v13, v8, v7
	v_fma_f32 v16, -v4, v13, v8
	v_fmac_f32_e32 v13, v16, v7
	v_fma_f32 v4, -v4, v13, v8
	v_div_fmas_f32 v4, v4, v7, v13
	v_div_fixup_f32 v3, v4, v12, v3
	v_min_f32_e32 v3, 0x43600000, v3
	v_max_f32_e32 v7, 0xc3600000, v3
	v_and_b32_e32 v8, 0x7fffffff, v7
	v_cmp_gt_u32_e32 vcc, s23, v8
	v_mov_b32_e32 v3, 0x80
	v_mov_b32_e32 v4, 0x80
	s_and_saveexec_b64 s[6:7], vcc
	s_cbranch_execz .LBB28_102
; %bb.97:                               ;   in Loop: Header=BB28_59 Depth=1
	v_cmp_lt_u32_e32 vcc, s24, v8
	s_mov_b64 s[8:9], 0
                                        ; implicit-def: $vgpr8
	s_and_saveexec_b64 s[10:11], vcc
	s_xor_b64 s[10:11], exec, s[10:11]
	s_cbranch_execnz .LBB28_168
; %bb.98:                               ;   in Loop: Header=BB28_59 Depth=1
	s_or_saveexec_b64 s[10:11], s[10:11]
                                        ; implicit-def: $sgpr16
	s_xor_b64 exec, exec, s[10:11]
	s_cbranch_execnz .LBB28_169
.LBB28_99:                              ;   in Loop: Header=BB28_59 Depth=1
	s_or_b64 exec, exec, s[10:11]
	v_mov_b32_e32 v4, s16
	s_and_saveexec_b64 s[10:11], s[8:9]
.LBB28_100:                             ;   in Loop: Header=BB28_59 Depth=1
	v_lshrrev_b32_e32 v4, 24, v7
	v_and_or_b32 v4, v4, s27, v8
.LBB28_101:                             ;   in Loop: Header=BB28_59 Depth=1
	s_or_b64 exec, exec, s[10:11]
.LBB28_102:                             ;   in Loop: Header=BB28_59 Depth=1
	s_or_b64 exec, exec, s[6:7]
	v_mul_f32_e32 v5, v36, v5
	v_mul_f32_e32 v5, v5, v9
	v_div_scale_f32 v7, s[6:7], v12, v12, v5
	v_rcp_f32_e32 v8, v7
	v_div_scale_f32 v9, vcc, v5, v12, v5
	v_fma_f32 v13, -v7, v8, 1.0
	v_fmac_f32_e32 v8, v13, v8
	v_mul_f32_e32 v13, v9, v8
	v_fma_f32 v16, -v7, v13, v9
	v_fmac_f32_e32 v13, v16, v8
	v_fma_f32 v7, -v7, v13, v9
	v_div_fmas_f32 v7, v7, v8, v13
	v_div_fixup_f32 v5, v7, v12, v5
	v_min_f32_e32 v5, 0x43600000, v5
	v_max_f32_e32 v5, 0xc3600000, v5
	v_and_b32_e32 v7, 0x7fffffff, v5
	v_cmp_gt_u32_e32 vcc, s23, v7
	s_and_saveexec_b64 s[6:7], vcc
	s_cbranch_execz .LBB28_108
; %bb.103:                              ;   in Loop: Header=BB28_59 Depth=1
	v_cmp_lt_u32_e32 vcc, s24, v7
	s_mov_b64 s[8:9], 0
                                        ; implicit-def: $vgpr7
	s_and_saveexec_b64 s[10:11], vcc
	s_xor_b64 s[10:11], exec, s[10:11]
	s_cbranch_execnz .LBB28_170
; %bb.104:                              ;   in Loop: Header=BB28_59 Depth=1
	s_or_saveexec_b64 s[10:11], s[10:11]
                                        ; implicit-def: $sgpr16
	s_xor_b64 exec, exec, s[10:11]
	s_cbranch_execnz .LBB28_171
.LBB28_105:                             ;   in Loop: Header=BB28_59 Depth=1
	s_or_b64 exec, exec, s[10:11]
	v_mov_b32_e32 v3, s16
	s_and_saveexec_b64 s[10:11], s[8:9]
.LBB28_106:                             ;   in Loop: Header=BB28_59 Depth=1
	v_lshrrev_b32_e32 v3, 24, v5
	v_and_or_b32 v3, v3, s27, v7
.LBB28_107:                             ;   in Loop: Header=BB28_59 Depth=1
	s_or_b64 exec, exec, s[10:11]
.LBB28_108:                             ;   in Loop: Header=BB28_59 Depth=1
	s_or_b64 exec, exec, s[6:7]
	v_lshlrev_b64 v[8:9], 2, v[10:11]
	v_mov_b32_e32 v5, s20
	v_add_co_u32_e32 v8, vcc, s13, v8
	v_lshlrev_b32_e32 v4, 16, v4
	v_lshlrev_b32_e32 v2, 8, v2
	v_addc_co_u32_e32 v9, vcc, v5, v9, vcc
	v_perm_b32 v3, v3, v4, s28
	v_and_b32_e32 v2, 0xff00, v2
	v_and_b32_e32 v4, 0xff, v6
	v_add_u32_e32 v12, s22, v0
	v_or3_b32 v2, v3, v2, v4
	v_cmp_gt_u32_e32 vcc, s12, v12
	s_mov_b64 s[8:9], -1
	global_store_dword v[8:9], v2, off
	s_and_saveexec_b64 s[6:7], vcc
	s_cbranch_execz .LBB28_57
; %bb.109:                              ;   in Loop: Header=BB28_59 Depth=1
	v_mov_b32_e32 v13, v1
	v_lshlrev_b64 v[6:7], 4, v[12:13]
	v_mov_b32_e32 v3, s44
	v_add_co_u32_e32 v2, vcc, s33, v6
	v_addc_co_u32_e32 v3, vcc, v3, v7, vcc
	v_mov_b32_e32 v8, s15
	v_add_co_u32_e32 v6, vcc, s14, v6
	global_load_dwordx4 v[2:5], v[2:3], off
	v_addc_co_u32_e32 v7, vcc, v8, v7, vcc
	v_lshrrev_b32_e32 v11, 3, v12
	global_load_dwordx4 v[6:9], v[6:7], off
	v_and_b32_e32 v11, 0x7fffffc, v11
	global_load_dword v11, v11, s[0:1]
	s_waitcnt vmcnt(2)
	v_mul_f32_e32 v2, v36, v2
	s_waitcnt vmcnt(1)
	v_mul_f32_e32 v6, v2, v6
	v_mov_b32_e32 v2, 0x80
	s_waitcnt vmcnt(0)
	v_div_scale_f32 v16, s[8:9], v11, v11, v6
	v_rcp_f32_e32 v17, v16
	v_div_scale_f32 v18, vcc, v6, v11, v6
	v_fma_f32 v19, -v16, v17, 1.0
	v_fmac_f32_e32 v17, v19, v17
	v_mul_f32_e32 v19, v18, v17
	v_fma_f32 v20, -v16, v19, v18
	v_fmac_f32_e32 v19, v20, v17
	v_fma_f32 v16, -v16, v19, v18
	v_div_fmas_f32 v16, v16, v17, v19
	v_div_fixup_f32 v6, v16, v11, v6
	v_min_f32_e32 v6, 0x43600000, v6
	v_max_f32_e32 v16, 0xc3600000, v6
	v_and_b32_e32 v17, 0x7fffffff, v16
	v_cmp_gt_u32_e32 vcc, s23, v17
	v_mov_b32_e32 v6, 0x80
	s_and_saveexec_b64 s[8:9], vcc
	s_cbranch_execz .LBB28_115
; %bb.110:                              ;   in Loop: Header=BB28_59 Depth=1
	v_cmp_lt_u32_e32 vcc, s24, v17
	s_mov_b64 s[10:11], 0
                                        ; implicit-def: $vgpr17
	s_and_saveexec_b64 s[16:17], vcc
	s_xor_b64 s[16:17], exec, s[16:17]
	s_cbranch_execnz .LBB28_172
; %bb.111:                              ;   in Loop: Header=BB28_59 Depth=1
	s_or_saveexec_b64 s[16:17], s[16:17]
                                        ; implicit-def: $sgpr18
	s_xor_b64 exec, exec, s[16:17]
	s_cbranch_execnz .LBB28_173
.LBB28_112:                             ;   in Loop: Header=BB28_59 Depth=1
	s_or_b64 exec, exec, s[16:17]
	v_mov_b32_e32 v6, s18
	s_and_saveexec_b64 s[16:17], s[10:11]
.LBB28_113:                             ;   in Loop: Header=BB28_59 Depth=1
	v_lshrrev_b32_e32 v6, 24, v16
	v_and_or_b32 v6, v6, s27, v17
.LBB28_114:                             ;   in Loop: Header=BB28_59 Depth=1
	s_or_b64 exec, exec, s[16:17]
.LBB28_115:                             ;   in Loop: Header=BB28_59 Depth=1
	s_or_b64 exec, exec, s[8:9]
	v_mul_f32_e32 v3, v36, v3
	v_mul_f32_e32 v3, v3, v7
	v_div_scale_f32 v7, s[8:9], v11, v11, v3
	v_rcp_f32_e32 v16, v7
	v_div_scale_f32 v17, vcc, v3, v11, v3
	v_fma_f32 v18, -v7, v16, 1.0
	v_fmac_f32_e32 v16, v18, v16
	v_mul_f32_e32 v18, v17, v16
	v_fma_f32 v19, -v7, v18, v17
	v_fmac_f32_e32 v18, v19, v16
	v_fma_f32 v7, -v7, v18, v17
	v_div_fmas_f32 v7, v7, v16, v18
	v_div_fixup_f32 v3, v7, v11, v3
	v_min_f32_e32 v3, 0x43600000, v3
	v_max_f32_e32 v3, 0xc3600000, v3
	v_and_b32_e32 v7, 0x7fffffff, v3
	v_cmp_gt_u32_e32 vcc, s23, v7
	s_and_saveexec_b64 s[8:9], vcc
	s_cbranch_execz .LBB28_121
; %bb.116:                              ;   in Loop: Header=BB28_59 Depth=1
	v_cmp_lt_u32_e32 vcc, s24, v7
	s_mov_b64 s[10:11], 0
                                        ; implicit-def: $vgpr7
	s_and_saveexec_b64 s[16:17], vcc
	s_xor_b64 s[16:17], exec, s[16:17]
	s_cbranch_execnz .LBB28_174
; %bb.117:                              ;   in Loop: Header=BB28_59 Depth=1
	s_or_saveexec_b64 s[16:17], s[16:17]
                                        ; implicit-def: $sgpr18
	s_xor_b64 exec, exec, s[16:17]
	s_cbranch_execnz .LBB28_175
.LBB28_118:                             ;   in Loop: Header=BB28_59 Depth=1
	s_or_b64 exec, exec, s[16:17]
	v_mov_b32_e32 v2, s18
	s_and_saveexec_b64 s[16:17], s[10:11]
.LBB28_119:                             ;   in Loop: Header=BB28_59 Depth=1
	v_lshrrev_b32_e32 v2, 24, v3
	v_and_or_b32 v2, v2, s27, v7
.LBB28_120:                             ;   in Loop: Header=BB28_59 Depth=1
	s_or_b64 exec, exec, s[16:17]
.LBB28_121:                             ;   in Loop: Header=BB28_59 Depth=1
	s_or_b64 exec, exec, s[8:9]
	v_mul_f32_e32 v3, v36, v4
	v_mul_f32_e32 v3, v3, v8
	v_div_scale_f32 v4, s[8:9], v11, v11, v3
	v_rcp_f32_e32 v7, v4
	v_div_scale_f32 v8, vcc, v3, v11, v3
	v_fma_f32 v16, -v4, v7, 1.0
	v_fmac_f32_e32 v7, v16, v7
	v_mul_f32_e32 v16, v8, v7
	v_fma_f32 v17, -v4, v16, v8
	v_fmac_f32_e32 v16, v17, v7
	v_fma_f32 v4, -v4, v16, v8
	v_div_fmas_f32 v4, v4, v7, v16
	v_div_fixup_f32 v3, v4, v11, v3
	v_min_f32_e32 v3, 0x43600000, v3
	v_max_f32_e32 v7, 0xc3600000, v3
	v_and_b32_e32 v8, 0x7fffffff, v7
	v_cmp_gt_u32_e32 vcc, s23, v8
	v_mov_b32_e32 v3, 0x80
	v_mov_b32_e32 v4, 0x80
	s_and_saveexec_b64 s[8:9], vcc
	s_cbranch_execz .LBB28_127
; %bb.122:                              ;   in Loop: Header=BB28_59 Depth=1
	v_cmp_lt_u32_e32 vcc, s24, v8
	s_mov_b64 s[10:11], 0
                                        ; implicit-def: $vgpr8
	s_and_saveexec_b64 s[16:17], vcc
	s_xor_b64 s[16:17], exec, s[16:17]
	s_cbranch_execnz .LBB28_176
; %bb.123:                              ;   in Loop: Header=BB28_59 Depth=1
	s_or_saveexec_b64 s[16:17], s[16:17]
                                        ; implicit-def: $sgpr18
	s_xor_b64 exec, exec, s[16:17]
	s_cbranch_execnz .LBB28_177
.LBB28_124:                             ;   in Loop: Header=BB28_59 Depth=1
	s_or_b64 exec, exec, s[16:17]
	v_mov_b32_e32 v4, s18
	s_and_saveexec_b64 s[16:17], s[10:11]
.LBB28_125:                             ;   in Loop: Header=BB28_59 Depth=1
	v_lshrrev_b32_e32 v4, 24, v7
	v_and_or_b32 v4, v4, s27, v8
.LBB28_126:                             ;   in Loop: Header=BB28_59 Depth=1
	s_or_b64 exec, exec, s[16:17]
.LBB28_127:                             ;   in Loop: Header=BB28_59 Depth=1
	s_or_b64 exec, exec, s[8:9]
	v_mul_f32_e32 v5, v36, v5
	v_mul_f32_e32 v5, v5, v9
	v_div_scale_f32 v7, s[8:9], v11, v11, v5
	v_rcp_f32_e32 v8, v7
	v_div_scale_f32 v9, vcc, v5, v11, v5
	v_fma_f32 v16, -v7, v8, 1.0
	v_fmac_f32_e32 v8, v16, v8
	v_mul_f32_e32 v16, v9, v8
	v_fma_f32 v17, -v7, v16, v9
	v_fmac_f32_e32 v16, v17, v8
	v_fma_f32 v7, -v7, v16, v9
	v_div_fmas_f32 v7, v7, v8, v16
	v_div_fixup_f32 v5, v7, v11, v5
	v_min_f32_e32 v5, 0x43600000, v5
	v_max_f32_e32 v5, 0xc3600000, v5
	v_and_b32_e32 v7, 0x7fffffff, v5
	v_cmp_gt_u32_e32 vcc, s23, v7
	s_and_saveexec_b64 s[8:9], vcc
	s_cbranch_execz .LBB28_133
; %bb.128:                              ;   in Loop: Header=BB28_59 Depth=1
	v_cmp_lt_u32_e32 vcc, s24, v7
	s_mov_b64 s[10:11], 0
                                        ; implicit-def: $vgpr7
	s_and_saveexec_b64 s[16:17], vcc
	s_xor_b64 s[16:17], exec, s[16:17]
	s_cbranch_execnz .LBB28_178
; %bb.129:                              ;   in Loop: Header=BB28_59 Depth=1
	s_or_saveexec_b64 s[16:17], s[16:17]
                                        ; implicit-def: $sgpr18
	s_xor_b64 exec, exec, s[16:17]
	s_cbranch_execnz .LBB28_179
.LBB28_130:                             ;   in Loop: Header=BB28_59 Depth=1
	s_or_b64 exec, exec, s[16:17]
	v_mov_b32_e32 v3, s18
	s_and_saveexec_b64 s[16:17], s[10:11]
.LBB28_131:                             ;   in Loop: Header=BB28_59 Depth=1
	v_lshrrev_b32_e32 v3, 24, v5
	v_and_or_b32 v3, v3, s27, v7
.LBB28_132:                             ;   in Loop: Header=BB28_59 Depth=1
	s_or_b64 exec, exec, s[16:17]
.LBB28_133:                             ;   in Loop: Header=BB28_59 Depth=1
	s_or_b64 exec, exec, s[8:9]
	v_lshlrev_b64 v[8:9], 2, v[12:13]
	v_mov_b32_e32 v5, s20
	v_add_co_u32_e32 v8, vcc, s13, v8
	v_lshlrev_b32_e32 v4, 16, v4
	v_lshlrev_b32_e32 v2, 8, v2
	v_addc_co_u32_e32 v9, vcc, v5, v9, vcc
	v_perm_b32 v3, v3, v4, s28
	v_and_b32_e32 v2, 0xff00, v2
	v_and_b32_e32 v4, 0xff, v6
	v_add_u32_e32 v0, s21, v0
	v_or3_b32 v2, v3, v2, v4
	v_cmp_gt_u32_e32 vcc, s12, v0
	s_mov_b64 s[10:11], -1
	global_store_dword v[8:9], v2, off
	s_and_saveexec_b64 s[8:9], vcc
	s_cbranch_execz .LBB28_56
; %bb.134:                              ;   in Loop: Header=BB28_59 Depth=1
	v_lshlrev_b64 v[6:7], 4, v[0:1]
	v_mov_b32_e32 v3, s44
	v_add_co_u32_e32 v2, vcc, s33, v6
	v_addc_co_u32_e32 v3, vcc, v3, v7, vcc
	v_mov_b32_e32 v8, s15
	v_add_co_u32_e32 v6, vcc, s14, v6
	global_load_dwordx4 v[2:5], v[2:3], off
	v_addc_co_u32_e32 v7, vcc, v8, v7, vcc
	v_lshrrev_b32_e32 v11, 3, v0
	global_load_dwordx4 v[6:9], v[6:7], off
	v_and_b32_e32 v11, 0x7fffffc, v11
	global_load_dword v11, v11, s[0:1]
	s_waitcnt vmcnt(2)
	v_mul_f32_e32 v2, v36, v2
	s_waitcnt vmcnt(1)
	v_mul_f32_e32 v6, v2, v6
	v_mov_b32_e32 v2, 0x80
	s_waitcnt vmcnt(0)
	v_div_scale_f32 v12, s[10:11], v11, v11, v6
	v_rcp_f32_e32 v13, v12
	v_div_scale_f32 v16, vcc, v6, v11, v6
	v_fma_f32 v17, -v12, v13, 1.0
	v_fmac_f32_e32 v13, v17, v13
	v_mul_f32_e32 v17, v16, v13
	v_fma_f32 v18, -v12, v17, v16
	v_fmac_f32_e32 v17, v18, v13
	v_fma_f32 v12, -v12, v17, v16
	v_div_fmas_f32 v12, v12, v13, v17
	v_div_fixup_f32 v6, v12, v11, v6
	v_min_f32_e32 v6, 0x43600000, v6
	v_max_f32_e32 v12, 0xc3600000, v6
	v_and_b32_e32 v13, 0x7fffffff, v12
	v_cmp_gt_u32_e32 vcc, s23, v13
	v_mov_b32_e32 v6, 0x80
	s_and_saveexec_b64 s[10:11], vcc
	s_cbranch_execz .LBB28_140
; %bb.135:                              ;   in Loop: Header=BB28_59 Depth=1
	v_cmp_lt_u32_e32 vcc, s24, v13
	s_mov_b64 s[16:17], 0
                                        ; implicit-def: $vgpr13
	s_and_saveexec_b64 s[18:19], vcc
	s_xor_b64 s[18:19], exec, s[18:19]
	s_cbranch_execnz .LBB28_180
; %bb.136:                              ;   in Loop: Header=BB28_59 Depth=1
	s_or_saveexec_b64 s[18:19], s[18:19]
                                        ; implicit-def: $sgpr29
	s_xor_b64 exec, exec, s[18:19]
	s_cbranch_execnz .LBB28_181
.LBB28_137:                             ;   in Loop: Header=BB28_59 Depth=1
	s_or_b64 exec, exec, s[18:19]
	v_mov_b32_e32 v6, s29
	s_and_saveexec_b64 s[18:19], s[16:17]
.LBB28_138:                             ;   in Loop: Header=BB28_59 Depth=1
	v_lshrrev_b32_e32 v6, 24, v12
	v_and_or_b32 v6, v6, s27, v13
.LBB28_139:                             ;   in Loop: Header=BB28_59 Depth=1
	s_or_b64 exec, exec, s[18:19]
.LBB28_140:                             ;   in Loop: Header=BB28_59 Depth=1
	s_or_b64 exec, exec, s[10:11]
	v_mul_f32_e32 v3, v36, v3
	v_mul_f32_e32 v3, v3, v7
	v_div_scale_f32 v7, s[10:11], v11, v11, v3
	v_rcp_f32_e32 v12, v7
	v_div_scale_f32 v13, vcc, v3, v11, v3
	v_fma_f32 v16, -v7, v12, 1.0
	v_fmac_f32_e32 v12, v16, v12
	v_mul_f32_e32 v16, v13, v12
	v_fma_f32 v17, -v7, v16, v13
	v_fmac_f32_e32 v16, v17, v12
	v_fma_f32 v7, -v7, v16, v13
	v_div_fmas_f32 v7, v7, v12, v16
	v_div_fixup_f32 v3, v7, v11, v3
	v_min_f32_e32 v3, 0x43600000, v3
	v_max_f32_e32 v3, 0xc3600000, v3
	v_and_b32_e32 v7, 0x7fffffff, v3
	v_cmp_gt_u32_e32 vcc, s23, v7
	s_and_saveexec_b64 s[10:11], vcc
	s_cbranch_execz .LBB28_146
; %bb.141:                              ;   in Loop: Header=BB28_59 Depth=1
	v_cmp_lt_u32_e32 vcc, s24, v7
	s_mov_b64 s[16:17], 0
                                        ; implicit-def: $vgpr7
	s_and_saveexec_b64 s[18:19], vcc
	s_xor_b64 s[18:19], exec, s[18:19]
	s_cbranch_execnz .LBB28_182
; %bb.142:                              ;   in Loop: Header=BB28_59 Depth=1
	s_or_saveexec_b64 s[18:19], s[18:19]
                                        ; implicit-def: $sgpr29
	s_xor_b64 exec, exec, s[18:19]
	s_cbranch_execnz .LBB28_183
.LBB28_143:                             ;   in Loop: Header=BB28_59 Depth=1
	s_or_b64 exec, exec, s[18:19]
	v_mov_b32_e32 v2, s29
	s_and_saveexec_b64 s[18:19], s[16:17]
.LBB28_144:                             ;   in Loop: Header=BB28_59 Depth=1
	v_lshrrev_b32_e32 v2, 24, v3
	v_and_or_b32 v2, v2, s27, v7
.LBB28_145:                             ;   in Loop: Header=BB28_59 Depth=1
	s_or_b64 exec, exec, s[18:19]
.LBB28_146:                             ;   in Loop: Header=BB28_59 Depth=1
	s_or_b64 exec, exec, s[10:11]
	v_mul_f32_e32 v3, v36, v4
	v_mul_f32_e32 v3, v3, v8
	v_div_scale_f32 v4, s[10:11], v11, v11, v3
	v_rcp_f32_e32 v7, v4
	v_div_scale_f32 v8, vcc, v3, v11, v3
	v_fma_f32 v12, -v4, v7, 1.0
	v_fmac_f32_e32 v7, v12, v7
	v_mul_f32_e32 v12, v8, v7
	v_fma_f32 v13, -v4, v12, v8
	v_fmac_f32_e32 v12, v13, v7
	v_fma_f32 v4, -v4, v12, v8
	v_div_fmas_f32 v4, v4, v7, v12
	v_div_fixup_f32 v3, v4, v11, v3
	v_min_f32_e32 v3, 0x43600000, v3
	v_max_f32_e32 v7, 0xc3600000, v3
	v_and_b32_e32 v8, 0x7fffffff, v7
	v_cmp_gt_u32_e32 vcc, s23, v8
	v_mov_b32_e32 v3, 0x80
	v_mov_b32_e32 v4, 0x80
	s_and_saveexec_b64 s[10:11], vcc
	s_cbranch_execz .LBB28_152
; %bb.147:                              ;   in Loop: Header=BB28_59 Depth=1
	v_cmp_lt_u32_e32 vcc, s24, v8
	s_mov_b64 s[16:17], 0
                                        ; implicit-def: $vgpr8
	s_and_saveexec_b64 s[18:19], vcc
	s_xor_b64 s[18:19], exec, s[18:19]
	s_cbranch_execnz .LBB28_184
; %bb.148:                              ;   in Loop: Header=BB28_59 Depth=1
	s_or_saveexec_b64 s[18:19], s[18:19]
                                        ; implicit-def: $sgpr29
	s_xor_b64 exec, exec, s[18:19]
	s_cbranch_execnz .LBB28_185
.LBB28_149:                             ;   in Loop: Header=BB28_59 Depth=1
	s_or_b64 exec, exec, s[18:19]
	v_mov_b32_e32 v4, s29
	s_and_saveexec_b64 s[18:19], s[16:17]
.LBB28_150:                             ;   in Loop: Header=BB28_59 Depth=1
	v_lshrrev_b32_e32 v4, 24, v7
	v_and_or_b32 v4, v4, s27, v8
.LBB28_151:                             ;   in Loop: Header=BB28_59 Depth=1
	s_or_b64 exec, exec, s[18:19]
.LBB28_152:                             ;   in Loop: Header=BB28_59 Depth=1
	s_or_b64 exec, exec, s[10:11]
	v_mul_f32_e32 v5, v36, v5
	v_mul_f32_e32 v5, v5, v9
	v_div_scale_f32 v7, s[10:11], v11, v11, v5
	v_rcp_f32_e32 v8, v7
	v_div_scale_f32 v9, vcc, v5, v11, v5
	v_fma_f32 v12, -v7, v8, 1.0
	v_fmac_f32_e32 v8, v12, v8
	v_mul_f32_e32 v12, v9, v8
	v_fma_f32 v13, -v7, v12, v9
	v_fmac_f32_e32 v12, v13, v8
	v_fma_f32 v7, -v7, v12, v9
	v_div_fmas_f32 v7, v7, v8, v12
	v_div_fixup_f32 v5, v7, v11, v5
	v_min_f32_e32 v5, 0x43600000, v5
	v_max_f32_e32 v5, 0xc3600000, v5
	v_and_b32_e32 v7, 0x7fffffff, v5
	v_cmp_gt_u32_e32 vcc, s23, v7
	s_and_saveexec_b64 s[10:11], vcc
	s_cbranch_execz .LBB28_55
; %bb.153:                              ;   in Loop: Header=BB28_59 Depth=1
	v_cmp_lt_u32_e32 vcc, s24, v7
	s_mov_b64 s[16:17], 0
                                        ; implicit-def: $vgpr7
	s_and_saveexec_b64 s[18:19], vcc
	s_xor_b64 s[18:19], exec, s[18:19]
	s_cbranch_execnz .LBB28_186
; %bb.154:                              ;   in Loop: Header=BB28_59 Depth=1
	s_or_saveexec_b64 s[18:19], s[18:19]
                                        ; implicit-def: $sgpr29
	s_xor_b64 exec, exec, s[18:19]
	s_cbranch_execnz .LBB28_187
.LBB28_155:                             ;   in Loop: Header=BB28_59 Depth=1
	s_or_b64 exec, exec, s[18:19]
	v_mov_b32_e32 v3, s29
	s_and_saveexec_b64 s[18:19], s[16:17]
	s_cbranch_execz .LBB28_54
	s_branch .LBB28_188
.LBB28_156:                             ;   in Loop: Header=BB28_59 Depth=1
	v_bfe_u32 v6, v11, 20, 1
	v_add3_u32 v6, v11, v6, s25
	s_mov_b64 s[6:7], exec
	v_lshrrev_b32_e32 v12, 20, v6
	s_or_saveexec_b64 s[8:9], s[8:9]
                                        ; implicit-def: $sgpr10
	s_xor_b64 exec, exec, s[8:9]
	s_cbranch_execz .LBB28_62
.LBB28_157:                             ;   in Loop: Header=BB28_59 Depth=1
	v_add_f32_e64 v6, |v11|, s26
	v_and_b32_e32 v12, 0xff, v6
	v_cmp_ne_u32_e32 vcc, 0, v12
	s_andn2_b64 s[6:7], s[6:7], exec
	s_and_b64 s[16:17], vcc, exec
	s_mov_b32 s10, 0
	s_or_b64 s[6:7], s[6:7], s[16:17]
	s_or_b64 exec, exec, s[8:9]
	v_mov_b32_e32 v6, s10
	s_and_saveexec_b64 s[8:9], s[6:7]
	s_cbranch_execnz .LBB28_63
	s_branch .LBB28_64
.LBB28_158:                             ;   in Loop: Header=BB28_59 Depth=1
	v_bfe_u32 v2, v3, 20, 1
	v_add3_u32 v2, v3, v2, s25
	s_mov_b64 s[6:7], exec
	v_lshrrev_b32_e32 v7, 20, v2
	s_or_saveexec_b64 s[8:9], s[8:9]
                                        ; implicit-def: $sgpr10
	s_xor_b64 exec, exec, s[8:9]
	s_cbranch_execz .LBB28_68
.LBB28_159:                             ;   in Loop: Header=BB28_59 Depth=1
	v_add_f32_e64 v2, |v3|, s26
	v_and_b32_e32 v7, 0xff, v2
	v_cmp_ne_u32_e32 vcc, 0, v7
	s_andn2_b64 s[6:7], s[6:7], exec
	s_and_b64 s[16:17], vcc, exec
	s_mov_b32 s10, 0
	s_or_b64 s[6:7], s[6:7], s[16:17]
	s_or_b64 exec, exec, s[8:9]
	v_mov_b32_e32 v2, s10
	s_and_saveexec_b64 s[8:9], s[6:7]
	s_cbranch_execnz .LBB28_69
	s_branch .LBB28_70
.LBB28_160:                             ;   in Loop: Header=BB28_59 Depth=1
	v_bfe_u32 v4, v7, 20, 1
	v_add3_u32 v4, v7, v4, s25
	s_mov_b64 s[6:7], exec
	v_lshrrev_b32_e32 v8, 20, v4
	s_or_saveexec_b64 s[8:9], s[8:9]
                                        ; implicit-def: $sgpr10
	s_xor_b64 exec, exec, s[8:9]
	s_cbranch_execz .LBB28_74
.LBB28_161:                             ;   in Loop: Header=BB28_59 Depth=1
	v_add_f32_e64 v4, |v7|, s26
	v_and_b32_e32 v8, 0xff, v4
	v_cmp_ne_u32_e32 vcc, 0, v8
	s_andn2_b64 s[6:7], s[6:7], exec
	s_and_b64 s[16:17], vcc, exec
	s_mov_b32 s10, 0
	s_or_b64 s[6:7], s[6:7], s[16:17]
	s_or_b64 exec, exec, s[8:9]
	v_mov_b32_e32 v4, s10
	s_and_saveexec_b64 s[8:9], s[6:7]
	s_cbranch_execnz .LBB28_75
	s_branch .LBB28_76
.LBB28_162:                             ;   in Loop: Header=BB28_59 Depth=1
	v_bfe_u32 v3, v5, 20, 1
	v_add3_u32 v3, v5, v3, s25
	s_mov_b64 s[6:7], exec
	v_lshrrev_b32_e32 v7, 20, v3
	s_or_saveexec_b64 s[8:9], s[8:9]
                                        ; implicit-def: $sgpr10
	s_xor_b64 exec, exec, s[8:9]
	s_cbranch_execz .LBB28_80
.LBB28_163:                             ;   in Loop: Header=BB28_59 Depth=1
	v_add_f32_e64 v3, |v5|, s26
	v_and_b32_e32 v7, 0xff, v3
	v_cmp_ne_u32_e32 vcc, 0, v7
	s_andn2_b64 s[6:7], s[6:7], exec
	s_and_b64 s[16:17], vcc, exec
	s_mov_b32 s10, 0
	s_or_b64 s[6:7], s[6:7], s[16:17]
	s_or_b64 exec, exec, s[8:9]
	v_mov_b32_e32 v3, s10
	s_and_saveexec_b64 s[8:9], s[6:7]
	s_cbranch_execnz .LBB28_81
	s_branch .LBB28_82
.LBB28_164:                             ;   in Loop: Header=BB28_59 Depth=1
	v_bfe_u32 v6, v13, 20, 1
	v_add3_u32 v6, v13, v6, s25
	s_mov_b64 s[8:9], exec
	v_lshrrev_b32_e32 v16, 20, v6
	s_or_saveexec_b64 s[10:11], s[10:11]
                                        ; implicit-def: $sgpr16
	s_xor_b64 exec, exec, s[10:11]
	s_cbranch_execz .LBB28_87
.LBB28_165:                             ;   in Loop: Header=BB28_59 Depth=1
	v_add_f32_e64 v6, |v13|, s26
	v_and_b32_e32 v16, 0xff, v6
	v_cmp_ne_u32_e32 vcc, 0, v16
	s_andn2_b64 s[8:9], s[8:9], exec
	s_and_b64 s[18:19], vcc, exec
	s_mov_b32 s16, 0
	s_or_b64 s[8:9], s[8:9], s[18:19]
	s_or_b64 exec, exec, s[10:11]
	v_mov_b32_e32 v6, s16
	s_and_saveexec_b64 s[10:11], s[8:9]
	s_cbranch_execnz .LBB28_88
	s_branch .LBB28_89
.LBB28_166:                             ;   in Loop: Header=BB28_59 Depth=1
	v_bfe_u32 v2, v3, 20, 1
	v_add3_u32 v2, v3, v2, s25
	s_mov_b64 s[8:9], exec
	v_lshrrev_b32_e32 v7, 20, v2
	s_or_saveexec_b64 s[10:11], s[10:11]
                                        ; implicit-def: $sgpr16
	s_xor_b64 exec, exec, s[10:11]
	s_cbranch_execz .LBB28_93
.LBB28_167:                             ;   in Loop: Header=BB28_59 Depth=1
	v_add_f32_e64 v2, |v3|, s26
	v_and_b32_e32 v7, 0xff, v2
	v_cmp_ne_u32_e32 vcc, 0, v7
	s_andn2_b64 s[8:9], s[8:9], exec
	s_and_b64 s[18:19], vcc, exec
	s_mov_b32 s16, 0
	s_or_b64 s[8:9], s[8:9], s[18:19]
	s_or_b64 exec, exec, s[10:11]
	v_mov_b32_e32 v2, s16
	s_and_saveexec_b64 s[10:11], s[8:9]
	s_cbranch_execnz .LBB28_94
	s_branch .LBB28_95
.LBB28_168:                             ;   in Loop: Header=BB28_59 Depth=1
	v_bfe_u32 v4, v7, 20, 1
	v_add3_u32 v4, v7, v4, s25
	s_mov_b64 s[8:9], exec
	v_lshrrev_b32_e32 v8, 20, v4
	s_or_saveexec_b64 s[10:11], s[10:11]
                                        ; implicit-def: $sgpr16
	s_xor_b64 exec, exec, s[10:11]
	s_cbranch_execz .LBB28_99
.LBB28_169:                             ;   in Loop: Header=BB28_59 Depth=1
	v_add_f32_e64 v4, |v7|, s26
	v_and_b32_e32 v8, 0xff, v4
	v_cmp_ne_u32_e32 vcc, 0, v8
	s_andn2_b64 s[8:9], s[8:9], exec
	s_and_b64 s[18:19], vcc, exec
	s_mov_b32 s16, 0
	s_or_b64 s[8:9], s[8:9], s[18:19]
	s_or_b64 exec, exec, s[10:11]
	v_mov_b32_e32 v4, s16
	s_and_saveexec_b64 s[10:11], s[8:9]
	s_cbranch_execnz .LBB28_100
	s_branch .LBB28_101
.LBB28_170:                             ;   in Loop: Header=BB28_59 Depth=1
	v_bfe_u32 v3, v5, 20, 1
	v_add3_u32 v3, v5, v3, s25
	s_mov_b64 s[8:9], exec
	v_lshrrev_b32_e32 v7, 20, v3
	s_or_saveexec_b64 s[10:11], s[10:11]
                                        ; implicit-def: $sgpr16
	s_xor_b64 exec, exec, s[10:11]
	s_cbranch_execz .LBB28_105
.LBB28_171:                             ;   in Loop: Header=BB28_59 Depth=1
	v_add_f32_e64 v3, |v5|, s26
	v_and_b32_e32 v7, 0xff, v3
	v_cmp_ne_u32_e32 vcc, 0, v7
	s_andn2_b64 s[8:9], s[8:9], exec
	s_and_b64 s[18:19], vcc, exec
	s_mov_b32 s16, 0
	s_or_b64 s[8:9], s[8:9], s[18:19]
	s_or_b64 exec, exec, s[10:11]
	v_mov_b32_e32 v3, s16
	s_and_saveexec_b64 s[10:11], s[8:9]
	s_cbranch_execnz .LBB28_106
	s_branch .LBB28_107
.LBB28_172:                             ;   in Loop: Header=BB28_59 Depth=1
	v_bfe_u32 v6, v16, 20, 1
	v_add3_u32 v6, v16, v6, s25
	s_mov_b64 s[10:11], exec
	v_lshrrev_b32_e32 v17, 20, v6
	s_or_saveexec_b64 s[16:17], s[16:17]
                                        ; implicit-def: $sgpr18
	s_xor_b64 exec, exec, s[16:17]
	s_cbranch_execz .LBB28_112
.LBB28_173:                             ;   in Loop: Header=BB28_59 Depth=1
	v_add_f32_e64 v6, |v16|, s26
	v_and_b32_e32 v17, 0xff, v6
	v_cmp_ne_u32_e32 vcc, 0, v17
	s_andn2_b64 s[10:11], s[10:11], exec
	s_and_b64 s[30:31], vcc, exec
	s_mov_b32 s18, 0
	s_or_b64 s[10:11], s[10:11], s[30:31]
	s_or_b64 exec, exec, s[16:17]
	v_mov_b32_e32 v6, s18
	s_and_saveexec_b64 s[16:17], s[10:11]
	s_cbranch_execnz .LBB28_113
	s_branch .LBB28_114
.LBB28_174:                             ;   in Loop: Header=BB28_59 Depth=1
	v_bfe_u32 v2, v3, 20, 1
	v_add3_u32 v2, v3, v2, s25
	s_mov_b64 s[10:11], exec
	v_lshrrev_b32_e32 v7, 20, v2
	s_or_saveexec_b64 s[16:17], s[16:17]
                                        ; implicit-def: $sgpr18
	s_xor_b64 exec, exec, s[16:17]
	s_cbranch_execz .LBB28_118
.LBB28_175:                             ;   in Loop: Header=BB28_59 Depth=1
	v_add_f32_e64 v2, |v3|, s26
	v_and_b32_e32 v7, 0xff, v2
	v_cmp_ne_u32_e32 vcc, 0, v7
	s_andn2_b64 s[10:11], s[10:11], exec
	s_and_b64 s[30:31], vcc, exec
	s_mov_b32 s18, 0
	s_or_b64 s[10:11], s[10:11], s[30:31]
	s_or_b64 exec, exec, s[16:17]
	v_mov_b32_e32 v2, s18
	s_and_saveexec_b64 s[16:17], s[10:11]
	s_cbranch_execnz .LBB28_119
	s_branch .LBB28_120
.LBB28_176:                             ;   in Loop: Header=BB28_59 Depth=1
	v_bfe_u32 v4, v7, 20, 1
	v_add3_u32 v4, v7, v4, s25
	s_mov_b64 s[10:11], exec
	v_lshrrev_b32_e32 v8, 20, v4
	s_or_saveexec_b64 s[16:17], s[16:17]
                                        ; implicit-def: $sgpr18
	s_xor_b64 exec, exec, s[16:17]
	s_cbranch_execz .LBB28_124
.LBB28_177:                             ;   in Loop: Header=BB28_59 Depth=1
	v_add_f32_e64 v4, |v7|, s26
	v_and_b32_e32 v8, 0xff, v4
	v_cmp_ne_u32_e32 vcc, 0, v8
	s_andn2_b64 s[10:11], s[10:11], exec
	s_and_b64 s[30:31], vcc, exec
	s_mov_b32 s18, 0
	s_or_b64 s[10:11], s[10:11], s[30:31]
	s_or_b64 exec, exec, s[16:17]
	v_mov_b32_e32 v4, s18
	s_and_saveexec_b64 s[16:17], s[10:11]
	s_cbranch_execnz .LBB28_125
	s_branch .LBB28_126
.LBB28_178:                             ;   in Loop: Header=BB28_59 Depth=1
	v_bfe_u32 v3, v5, 20, 1
	v_add3_u32 v3, v5, v3, s25
	s_mov_b64 s[10:11], exec
	v_lshrrev_b32_e32 v7, 20, v3
	s_or_saveexec_b64 s[16:17], s[16:17]
                                        ; implicit-def: $sgpr18
	s_xor_b64 exec, exec, s[16:17]
	s_cbranch_execz .LBB28_130
.LBB28_179:                             ;   in Loop: Header=BB28_59 Depth=1
	v_add_f32_e64 v3, |v5|, s26
	v_and_b32_e32 v7, 0xff, v3
	v_cmp_ne_u32_e32 vcc, 0, v7
	s_andn2_b64 s[10:11], s[10:11], exec
	s_and_b64 s[30:31], vcc, exec
	s_mov_b32 s18, 0
	s_or_b64 s[10:11], s[10:11], s[30:31]
	s_or_b64 exec, exec, s[16:17]
	v_mov_b32_e32 v3, s18
	s_and_saveexec_b64 s[16:17], s[10:11]
	s_cbranch_execnz .LBB28_131
	s_branch .LBB28_132
.LBB28_180:                             ;   in Loop: Header=BB28_59 Depth=1
	v_bfe_u32 v6, v12, 20, 1
	v_add3_u32 v6, v12, v6, s25
	s_mov_b64 s[16:17], exec
	v_lshrrev_b32_e32 v13, 20, v6
	s_or_saveexec_b64 s[18:19], s[18:19]
                                        ; implicit-def: $sgpr29
	s_xor_b64 exec, exec, s[18:19]
	s_cbranch_execz .LBB28_137
.LBB28_181:                             ;   in Loop: Header=BB28_59 Depth=1
	v_add_f32_e64 v6, |v12|, s26
	v_and_b32_e32 v13, 0xff, v6
	v_cmp_ne_u32_e32 vcc, 0, v13
	s_andn2_b64 s[16:17], s[16:17], exec
	s_and_b64 s[30:31], vcc, exec
	s_mov_b32 s29, 0
	s_or_b64 s[16:17], s[16:17], s[30:31]
	s_or_b64 exec, exec, s[18:19]
	v_mov_b32_e32 v6, s29
	s_and_saveexec_b64 s[18:19], s[16:17]
	s_cbranch_execnz .LBB28_138
	s_branch .LBB28_139
.LBB28_182:                             ;   in Loop: Header=BB28_59 Depth=1
	v_bfe_u32 v2, v3, 20, 1
	v_add3_u32 v2, v3, v2, s25
	s_mov_b64 s[16:17], exec
	v_lshrrev_b32_e32 v7, 20, v2
	s_or_saveexec_b64 s[18:19], s[18:19]
                                        ; implicit-def: $sgpr29
	s_xor_b64 exec, exec, s[18:19]
	s_cbranch_execz .LBB28_143
.LBB28_183:                             ;   in Loop: Header=BB28_59 Depth=1
	v_add_f32_e64 v2, |v3|, s26
	v_and_b32_e32 v7, 0xff, v2
	v_cmp_ne_u32_e32 vcc, 0, v7
	s_andn2_b64 s[16:17], s[16:17], exec
	s_and_b64 s[30:31], vcc, exec
	s_mov_b32 s29, 0
	s_or_b64 s[16:17], s[16:17], s[30:31]
	s_or_b64 exec, exec, s[18:19]
	v_mov_b32_e32 v2, s29
	s_and_saveexec_b64 s[18:19], s[16:17]
	s_cbranch_execnz .LBB28_144
	s_branch .LBB28_145
.LBB28_184:                             ;   in Loop: Header=BB28_59 Depth=1
	v_bfe_u32 v4, v7, 20, 1
	v_add3_u32 v4, v7, v4, s25
	s_mov_b64 s[16:17], exec
	v_lshrrev_b32_e32 v8, 20, v4
	s_or_saveexec_b64 s[18:19], s[18:19]
                                        ; implicit-def: $sgpr29
	s_xor_b64 exec, exec, s[18:19]
	s_cbranch_execz .LBB28_149
.LBB28_185:                             ;   in Loop: Header=BB28_59 Depth=1
	v_add_f32_e64 v4, |v7|, s26
	v_and_b32_e32 v8, 0xff, v4
	v_cmp_ne_u32_e32 vcc, 0, v8
	s_andn2_b64 s[16:17], s[16:17], exec
	s_and_b64 s[30:31], vcc, exec
	s_mov_b32 s29, 0
	s_or_b64 s[16:17], s[16:17], s[30:31]
	s_or_b64 exec, exec, s[18:19]
	v_mov_b32_e32 v4, s29
	s_and_saveexec_b64 s[18:19], s[16:17]
	s_cbranch_execnz .LBB28_150
	s_branch .LBB28_151
.LBB28_186:                             ;   in Loop: Header=BB28_59 Depth=1
	v_bfe_u32 v3, v5, 20, 1
	v_add3_u32 v3, v5, v3, s25
	s_mov_b64 s[16:17], exec
	v_lshrrev_b32_e32 v7, 20, v3
	s_or_saveexec_b64 s[18:19], s[18:19]
                                        ; implicit-def: $sgpr29
	s_xor_b64 exec, exec, s[18:19]
	s_cbranch_execz .LBB28_155
.LBB28_187:                             ;   in Loop: Header=BB28_59 Depth=1
	v_add_f32_e64 v3, |v5|, s26
	v_and_b32_e32 v7, 0xff, v3
	v_cmp_ne_u32_e32 vcc, 0, v7
	s_andn2_b64 s[16:17], s[16:17], exec
	s_and_b64 s[30:31], vcc, exec
	s_mov_b32 s29, 0
	s_or_b64 s[16:17], s[16:17], s[30:31]
	s_or_b64 exec, exec, s[18:19]
	v_mov_b32_e32 v3, s29
	s_and_saveexec_b64 s[18:19], s[16:17]
	s_cbranch_execz .LBB28_54
.LBB28_188:                             ;   in Loop: Header=BB28_59 Depth=1
	v_lshrrev_b32_e32 v3, 24, v5
	v_and_or_b32 v3, v3, s27, v7
	s_branch .LBB28_54
.LBB28_189:
	s_endpgm
	.section	.rodata,"a",@progbits
	.p2align	6, 0x0
	.amdhsa_kernel _ZN4vllm31rms_norm_per_block_quant_kernelIfN3c1015Float8_e4m3fnuzELb0ELb0ELi128EEEvPT0_PfPKT_S8_PKffiiPS6_l
		.amdhsa_group_segment_fixed_size 4164
		.amdhsa_private_segment_fixed_size 0
		.amdhsa_kernarg_size 328
		.amdhsa_user_sgpr_count 6
		.amdhsa_user_sgpr_private_segment_buffer 1
		.amdhsa_user_sgpr_dispatch_ptr 0
		.amdhsa_user_sgpr_queue_ptr 0
		.amdhsa_user_sgpr_kernarg_segment_ptr 1
		.amdhsa_user_sgpr_dispatch_id 0
		.amdhsa_user_sgpr_flat_scratch_init 0
		.amdhsa_user_sgpr_kernarg_preload_length 0
		.amdhsa_user_sgpr_kernarg_preload_offset 0
		.amdhsa_user_sgpr_private_segment_size 0
		.amdhsa_uses_dynamic_stack 0
		.amdhsa_system_sgpr_private_segment_wavefront_offset 0
		.amdhsa_system_sgpr_workgroup_id_x 1
		.amdhsa_system_sgpr_workgroup_id_y 0
		.amdhsa_system_sgpr_workgroup_id_z 0
		.amdhsa_system_sgpr_workgroup_info 0
		.amdhsa_system_vgpr_workitem_id 0
		.amdhsa_next_free_vgpr 40
		.amdhsa_next_free_sgpr 46
		.amdhsa_accum_offset 40
		.amdhsa_reserve_vcc 1
		.amdhsa_reserve_flat_scratch 0
		.amdhsa_float_round_mode_32 0
		.amdhsa_float_round_mode_16_64 0
		.amdhsa_float_denorm_mode_32 3
		.amdhsa_float_denorm_mode_16_64 3
		.amdhsa_dx10_clamp 1
		.amdhsa_ieee_mode 1
		.amdhsa_fp16_overflow 0
		.amdhsa_tg_split 0
		.amdhsa_exception_fp_ieee_invalid_op 0
		.amdhsa_exception_fp_denorm_src 0
		.amdhsa_exception_fp_ieee_div_zero 0
		.amdhsa_exception_fp_ieee_overflow 0
		.amdhsa_exception_fp_ieee_underflow 0
		.amdhsa_exception_fp_ieee_inexact 0
		.amdhsa_exception_int_div_zero 0
	.end_amdhsa_kernel
	.section	.text._ZN4vllm31rms_norm_per_block_quant_kernelIfN3c1015Float8_e4m3fnuzELb0ELb0ELi128EEEvPT0_PfPKT_S8_PKffiiPS6_l,"axG",@progbits,_ZN4vllm31rms_norm_per_block_quant_kernelIfN3c1015Float8_e4m3fnuzELb0ELb0ELi128EEEvPT0_PfPKT_S8_PKffiiPS6_l,comdat
.Lfunc_end28:
	.size	_ZN4vllm31rms_norm_per_block_quant_kernelIfN3c1015Float8_e4m3fnuzELb0ELb0ELi128EEEvPT0_PfPKT_S8_PKffiiPS6_l, .Lfunc_end28-_ZN4vllm31rms_norm_per_block_quant_kernelIfN3c1015Float8_e4m3fnuzELb0ELb0ELi128EEEvPT0_PfPKT_S8_PKffiiPS6_l
                                        ; -- End function
	.section	.AMDGPU.csdata,"",@progbits
; Kernel info:
; codeLenInByte = 8936
; NumSgprs: 50
; NumVgprs: 40
; NumAgprs: 0
; TotalNumVgprs: 40
; ScratchSize: 0
; MemoryBound: 0
; FloatMode: 240
; IeeeMode: 1
; LDSByteSize: 4164 bytes/workgroup (compile time only)
; SGPRBlocks: 6
; VGPRBlocks: 4
; NumSGPRsForWavesPerEU: 50
; NumVGPRsForWavesPerEU: 40
; AccumOffset: 40
; Occupancy: 8
; WaveLimiterHint : 0
; COMPUTE_PGM_RSRC2:SCRATCH_EN: 0
; COMPUTE_PGM_RSRC2:USER_SGPR: 6
; COMPUTE_PGM_RSRC2:TRAP_HANDLER: 0
; COMPUTE_PGM_RSRC2:TGID_X_EN: 1
; COMPUTE_PGM_RSRC2:TGID_Y_EN: 0
; COMPUTE_PGM_RSRC2:TGID_Z_EN: 0
; COMPUTE_PGM_RSRC2:TIDIG_COMP_CNT: 0
; COMPUTE_PGM_RSRC3_GFX90A:ACCUM_OFFSET: 9
; COMPUTE_PGM_RSRC3_GFX90A:TG_SPLIT: 0
	.section	.text._ZN4vllm31rms_norm_per_block_quant_kernelIfaLb0ELb0ELi128EEEvPT0_PfPKT_S6_PKffiiPS4_l,"axG",@progbits,_ZN4vllm31rms_norm_per_block_quant_kernelIfaLb0ELb0ELi128EEEvPT0_PfPKT_S6_PKffiiPS4_l,comdat
	.protected	_ZN4vllm31rms_norm_per_block_quant_kernelIfaLb0ELb0ELi128EEEvPT0_PfPKT_S6_PKffiiPS4_l ; -- Begin function _ZN4vllm31rms_norm_per_block_quant_kernelIfaLb0ELb0ELi128EEEvPT0_PfPKT_S6_PKffiiPS4_l
	.globl	_ZN4vllm31rms_norm_per_block_quant_kernelIfaLb0ELb0ELi128EEEvPT0_PfPKT_S6_PKffiiPS4_l
	.p2align	8
	.type	_ZN4vllm31rms_norm_per_block_quant_kernelIfaLb0ELb0ELi128EEEvPT0_PfPKT_S6_PKffiiPS4_l,@function
_ZN4vllm31rms_norm_per_block_quant_kernelIfaLb0ELb0ELi128EEEvPT0_PfPKT_S6_PKffiiPS4_l: ; @_ZN4vllm31rms_norm_per_block_quant_kernelIfaLb0ELb0ELi128EEEvPT0_PfPKT_S6_PKffiiPS4_l
; %bb.0:
	s_load_dwordx4 s[16:19], s[4:5], 0x28
	s_load_dwordx8 s[8:15], s[4:5], 0x0
	v_mov_b32_e32 v1, 0
	s_waitcnt lgkmcnt(0)
	s_ashr_i32 s0, s18, 31
	s_mul_hi_u32 s1, s18, s6
	s_mul_i32 s0, s0, s6
	s_add_i32 s1, s1, s0
	s_mul_i32 s0, s18, s6
	s_lshl_b64 s[0:1], s[0:1], 2
	s_add_u32 s33, s12, s0
	s_addc_u32 s44, s13, s1
	s_ashr_i32 s12, s17, 2
	s_add_u32 s2, s4, 0x48
	s_mov_b32 s20, s17
	v_cmp_gt_u32_e64 s[0:1], s12, v0
	s_addc_u32 s3, s5, 0
	s_and_saveexec_b64 s[18:19], s[0:1]
	s_cbranch_execz .LBB29_10
; %bb.1:
	s_load_dword s7, s[2:3], 0x0
	v_mov_b32_e32 v3, 0
	v_mov_b32_e32 v9, s44
	;; [unrolled: 1-line block ×3, first 2 shown]
                                        ; implicit-def: $sgpr24_sgpr25
	s_waitcnt lgkmcnt(0)
	s_cmp_lt_u32 s6, s7
	s_cselect_b32 s7, 12, 18
	s_add_u32 s22, s2, s7
	s_addc_u32 s23, s3, 0
	global_load_ushort v8, v3, s[22:23]
	s_mov_b64 s[22:23], 0
	s_waitcnt vmcnt(0)
	v_add_u32_e32 v1, v8, v8
	v_mul_lo_u32 v10, v8, 3
	v_lshlrev_b32_e32 v11, 1, v8
	v_add_u32_e32 v12, v1, v8
	v_mov_b32_e32 v1, v3
	s_branch .LBB29_5
.LBB29_2:                               ;   in Loop: Header=BB29_5 Depth=1
	s_or_b64 exec, exec, s[30:31]
	s_orn2_b64 s[30:31], s[34:35], exec
.LBB29_3:                               ;   in Loop: Header=BB29_5 Depth=1
	s_or_b64 exec, exec, s[28:29]
	s_andn2_b64 s[24:25], s[24:25], exec
	s_and_b64 s[28:29], s[30:31], exec
	s_or_b64 s[24:25], s[24:25], s[28:29]
.LBB29_4:                               ;   in Loop: Header=BB29_5 Depth=1
	s_or_b64 exec, exec, s[26:27]
	s_and_b64 s[26:27], exec, s[24:25]
	s_or_b64 s[22:23], s[26:27], s[22:23]
	s_andn2_b64 exec, exec, s[22:23]
	s_cbranch_execz .LBB29_9
.LBB29_5:                               ; =>This Inner Loop Header: Depth=1
	v_lshlrev_b64 v[4:5], 4, v[2:3]
	v_add_co_u32_e32 v4, vcc, s33, v4
	v_addc_co_u32_e32 v5, vcc, v9, v5, vcc
	global_load_dwordx4 v[14:17], v[4:5], off
	v_add_u32_e32 v4, v2, v8
	v_cmp_gt_u32_e32 vcc, s12, v4
	s_or_b64 s[24:25], s[24:25], exec
	s_waitcnt vmcnt(0)
	v_fmac_f32_e32 v1, v14, v14
	v_fmac_f32_e32 v1, v15, v15
	;; [unrolled: 1-line block ×4, first 2 shown]
	s_and_saveexec_b64 s[26:27], vcc
	s_cbranch_execz .LBB29_4
; %bb.6:                                ;   in Loop: Header=BB29_5 Depth=1
	v_mov_b32_e32 v5, v3
	v_lshlrev_b64 v[6:7], 4, v[4:5]
	v_add_co_u32_e32 v6, vcc, s33, v6
	v_addc_co_u32_e32 v7, vcc, v9, v7, vcc
	global_load_dwordx4 v[14:17], v[6:7], off
	v_add_u32_e32 v6, v11, v2
	v_cmp_gt_u32_e32 vcc, s12, v6
	s_mov_b64 s[30:31], -1
	s_waitcnt vmcnt(0)
	v_fmac_f32_e32 v1, v14, v14
	v_fmac_f32_e32 v1, v15, v15
	;; [unrolled: 1-line block ×4, first 2 shown]
	s_and_saveexec_b64 s[28:29], vcc
	s_cbranch_execz .LBB29_3
; %bb.7:                                ;   in Loop: Header=BB29_5 Depth=1
	v_mov_b32_e32 v7, v3
	v_lshlrev_b64 v[6:7], 4, v[6:7]
	v_add_co_u32_e32 v6, vcc, s33, v6
	v_addc_co_u32_e32 v7, vcc, v9, v7, vcc
	global_load_dwordx4 v[14:17], v[6:7], off
	v_add_u32_e32 v2, v10, v2
	v_cmp_gt_u32_e32 vcc, s12, v2
	s_mov_b64 s[34:35], -1
	s_waitcnt vmcnt(0)
	v_fmac_f32_e32 v1, v14, v14
	v_fmac_f32_e32 v1, v15, v15
	;; [unrolled: 1-line block ×4, first 2 shown]
	s_and_saveexec_b64 s[30:31], vcc
	s_xor_b64 s[30:31], exec, s[30:31]
	s_cbranch_execz .LBB29_2
; %bb.8:                                ;   in Loop: Header=BB29_5 Depth=1
	v_lshlrev_b64 v[6:7], 4, v[2:3]
	v_add_co_u32_e32 v6, vcc, s33, v6
	v_addc_co_u32_e32 v7, vcc, v9, v7, vcc
	global_load_dwordx4 v[14:17], v[6:7], off
	v_add_u32_e32 v2, v12, v4
	v_cmp_le_u32_e32 vcc, s12, v2
	s_orn2_b64 s[34:35], vcc, exec
	s_waitcnt vmcnt(0)
	v_fmac_f32_e32 v1, v14, v14
	v_fmac_f32_e32 v1, v15, v15
	;; [unrolled: 1-line block ×4, first 2 shown]
	s_branch .LBB29_2
.LBB29_9:
	s_or_b64 exec, exec, s[22:23]
.LBB29_10:
	s_or_b64 exec, exec, s[18:19]
	v_mbcnt_lo_u32_b32 v2, -1, 0
	v_mbcnt_hi_u32_b32 v2, -1, v2
	v_and_b32_e32 v3, 63, v2
	v_cmp_ne_u32_e32 vcc, 63, v3
	s_load_dword s2, s[2:3], 0xc
	v_addc_co_u32_e32 v4, vcc, 0, v2, vcc
	v_lshlrev_b32_e32 v4, 2, v4
	ds_bpermute_b32 v4, v4, v1
	s_waitcnt lgkmcnt(0)
	s_and_b32 s45, s2, 0xffff
	v_and_b32_e32 v5, 0x3c0, v0
	v_sub_u32_e64 v5, s45, v5 clamp
	v_add_u32_e32 v6, 1, v2
	v_add_f32_e32 v4, v1, v4
	v_cmp_lt_u32_e32 vcc, v6, v5
	v_cndmask_b32_e32 v1, v1, v4, vcc
	v_cmp_gt_u32_e32 vcc, 62, v3
	v_cndmask_b32_e64 v4, 0, 1, vcc
	v_lshlrev_b32_e32 v4, 1, v4
	v_add_lshl_u32 v4, v4, v2, 2
	ds_bpermute_b32 v4, v4, v1
	v_add_u32_e32 v6, 2, v2
	v_cmp_lt_u32_e32 vcc, v6, v5
	v_add_u32_e32 v6, 4, v2
	s_waitcnt lgkmcnt(0)
	v_add_f32_e32 v4, v1, v4
	v_cndmask_b32_e32 v1, v1, v4, vcc
	v_cmp_gt_u32_e32 vcc, 60, v3
	v_cndmask_b32_e64 v4, 0, 1, vcc
	v_lshlrev_b32_e32 v4, 2, v4
	v_add_lshl_u32 v4, v4, v2, 2
	ds_bpermute_b32 v4, v4, v1
	v_cmp_lt_u32_e32 vcc, v6, v5
	v_add_u32_e32 v6, 8, v2
	s_waitcnt lgkmcnt(0)
	v_add_f32_e32 v4, v1, v4
	v_cndmask_b32_e32 v1, v1, v4, vcc
	v_cmp_gt_u32_e32 vcc, 56, v3
	v_cndmask_b32_e64 v4, 0, 1, vcc
	v_lshlrev_b32_e32 v4, 3, v4
	v_add_lshl_u32 v4, v4, v2, 2
	ds_bpermute_b32 v4, v4, v1
	;; [unrolled: 10-line block ×3, first 2 shown]
	v_cmp_lt_u32_e32 vcc, v6, v5
	s_waitcnt lgkmcnt(0)
	v_add_f32_e32 v4, v1, v4
	v_cndmask_b32_e32 v1, v1, v4, vcc
	v_cmp_gt_u32_e32 vcc, 32, v3
	v_cndmask_b32_e64 v3, 0, 1, vcc
	v_lshlrev_b32_e32 v3, 5, v3
	v_add_lshl_u32 v3, v3, v2, 2
	ds_bpermute_b32 v3, v3, v1
	v_add_u32_e32 v4, 32, v2
	v_cmp_lt_u32_e32 vcc, v4, v5
	s_waitcnt lgkmcnt(0)
	v_add_f32_e32 v3, v1, v3
	v_cndmask_b32_e32 v1, v1, v3, vcc
	v_cmp_eq_u32_e32 vcc, 0, v2
	s_and_saveexec_b64 s[2:3], vcc
	s_cbranch_execz .LBB29_12
; %bb.11:
	v_lshrrev_b32_e32 v3, 4, v0
	v_and_b32_e32 v3, 60, v3
	ds_write_b32 v3, v1 offset:4096
.LBB29_12:
	s_or_b64 exec, exec, s[2:3]
	v_cmp_gt_u32_e32 vcc, 16, v0
	s_waitcnt lgkmcnt(0)
	s_barrier
	s_and_saveexec_b64 s[18:19], vcc
	s_cbranch_execz .LBB29_14
; %bb.13:
	v_lshlrev_b32_e32 v1, 2, v2
	ds_read_b32 v1, v1 offset:4096
	v_and_b32_e32 v3, 15, v2
	v_cmp_ne_u32_e32 vcc, 15, v3
	v_addc_co_u32_e32 v4, vcc, 0, v2, vcc
	v_lshlrev_b32_e32 v4, 2, v4
	s_waitcnt lgkmcnt(0)
	ds_bpermute_b32 v4, v4, v1
	s_add_i32 s2, s45, 63
	s_lshr_b32 s7, s2, 6
	v_add_u32_e32 v5, 1, v3
	v_cmp_gt_u32_e64 s[2:3], 14, v3
	v_cmp_gt_u32_e32 vcc, s7, v5
	v_cndmask_b32_e64 v5, 0, 1, s[2:3]
	s_waitcnt lgkmcnt(0)
	v_add_f32_e32 v4, v1, v4
	v_lshlrev_b32_e32 v5, 1, v5
	v_cndmask_b32_e32 v4, v1, v4, vcc
	v_add_lshl_u32 v5, v5, v2, 2
	ds_bpermute_b32 v5, v5, v4
	v_add_u32_e32 v6, 2, v3
	v_cmp_gt_u32_e64 s[2:3], s7, v6
	v_add_u32_e32 v6, 4, v3
	s_waitcnt lgkmcnt(0)
	v_add_f32_e32 v5, v4, v5
	v_cndmask_b32_e64 v4, v4, v5, s[2:3]
	v_cmp_gt_u32_e64 s[2:3], 12, v3
	v_cndmask_b32_e64 v5, 0, 1, s[2:3]
	v_lshlrev_b32_e32 v5, 2, v5
	v_add_lshl_u32 v5, v5, v2, 2
	ds_bpermute_b32 v5, v5, v4
	v_cmp_gt_u32_e64 s[2:3], s7, v6
	s_waitcnt lgkmcnt(0)
	v_add_f32_e32 v5, v4, v5
	v_cndmask_b32_e64 v4, v4, v5, s[2:3]
	v_cmp_gt_u32_e64 s[2:3], 8, v3
	v_cndmask_b32_e64 v5, 0, 1, s[2:3]
	v_lshlrev_b32_e32 v5, 3, v5
	v_add_lshl_u32 v2, v5, v2, 2
	ds_bpermute_b32 v2, v2, v4
	v_add_u32_e32 v3, 8, v3
	v_cmp_gt_u32_e64 s[2:3], s7, v3
	s_waitcnt lgkmcnt(0)
	v_add_f32_e32 v2, v4, v2
	v_cndmask_b32_e64 v2, v4, v2, s[2:3]
	v_cndmask_b32_e32 v1, v1, v2, vcc
.LBB29_14:
	s_or_b64 exec, exec, s[18:19]
	v_cmp_eq_u32_e32 vcc, 0, v0
	s_and_saveexec_b64 s[2:3], vcc
	s_cbranch_execz .LBB29_16
; %bb.15:
	v_cvt_f32_i32_e32 v2, s17
	s_mov_b32 s7, 0x800000
	v_div_scale_f32 v3, s[18:19], v2, v2, v1
	v_rcp_f32_e32 v4, v3
	v_div_scale_f32 v5, vcc, v1, v2, v1
	v_fma_f32 v6, -v3, v4, 1.0
	v_fmac_f32_e32 v4, v6, v4
	v_mul_f32_e32 v6, v5, v4
	v_fma_f32 v7, -v3, v6, v5
	v_fmac_f32_e32 v6, v7, v4
	v_fma_f32 v3, -v3, v6, v5
	v_div_fmas_f32 v3, v3, v4, v6
	v_div_fixup_f32 v1, v3, v2, v1
	v_add_f32_e32 v1, s16, v1
	v_mul_f32_e32 v2, 0x4b800000, v1
	v_cmp_gt_f32_e32 vcc, s7, v1
	v_cndmask_b32_e32 v1, v1, v2, vcc
	v_rsq_f32_e32 v1, v1
	v_mul_f32_e32 v2, 0x45800000, v1
	v_cndmask_b32_e32 v1, v1, v2, vcc
	v_mov_b32_e32 v2, 0
	ds_write_b32 v2, v1 offset:4160
.LBB29_16:
	s_or_b64 exec, exec, s[2:3]
	s_ashr_i32 s21, s17, 31
	s_lshr_b32 s2, s21, 25
	s_add_i32 s2, s17, s2
	s_ashr_i32 s18, s2, 7
	s_abs_i32 s3, s18
	v_cvt_f32_u32_e32 v1, s3
	s_sub_i32 s7, 0, s3
	s_ashr_i32 s2, s2, 31
	v_mov_b32_e32 v7, 0
	v_rcp_iflag_f32_e32 v1, v1
	s_waitcnt lgkmcnt(0)
	s_barrier
	v_mul_f32_e32 v1, 0x4f7ffffe, v1
	v_cvt_u32_f32_e32 v1, v1
	ds_read_b32 v2, v7 offset:4160
	v_readfirstlane_b32 s13, v1
	s_mul_i32 s7, s7, s13
	s_mul_hi_u32 s7, s13, s7
	s_add_i32 s13, s13, s7
	s_mul_hi_u32 s7, s45, s13
	s_mul_i32 s13, s7, s3
	s_sub_i32 s13, s45, s13
	s_add_i32 s16, s7, 1
	s_sub_i32 s19, s13, s3
	s_cmp_ge_u32 s13, s3
	s_cselect_b32 s7, s16, s7
	s_cselect_b32 s13, s19, s13
	s_add_i32 s16, s7, 1
	s_cmp_ge_u32 s13, s3
	s_cselect_b32 s3, s16, s7
	s_xor_b32 s3, s3, s2
	s_sub_i32 s2, s3, s2
	s_abs_i32 s7, s2
	v_cvt_f32_u32_e32 v1, s7
	s_sub_i32 s13, 0, s7
	s_ashr_i32 s3, s2, 31
	v_rcp_iflag_f32_e32 v1, v1
	v_mul_f32_e32 v1, 0x4f7ffffe, v1
	v_cvt_u32_f32_e32 v1, v1
	v_mul_lo_u32 v3, s13, v1
	v_mul_hi_u32 v3, v1, v3
	v_add_u32_e32 v1, v1, v3
	v_mul_hi_u32 v1, v0, v1
	v_mul_lo_u32 v3, v1, s7
	v_sub_u32_e32 v3, v0, v3
	v_add_u32_e32 v4, 1, v1
	v_cmp_le_u32_e32 vcc, s7, v3
	v_cndmask_b32_e32 v1, v1, v4, vcc
	v_subrev_u32_e32 v4, s7, v3
	v_cndmask_b32_e32 v3, v3, v4, vcc
	v_add_u32_e32 v4, 1, v1
	v_cmp_le_u32_e32 vcc, s7, v3
	v_cndmask_b32_e32 v1, v1, v4, vcc
	v_xor_b32_e32 v1, s3, v1
	v_subrev_u32_e32 v4, s3, v1
	v_mul_lo_u32 v1, v4, s2
	v_ashrrev_i32_e32 v5, 31, v4
	v_sub_u32_e32 v6, v0, v1
	v_lshlrev_b64 v[10:11], 5, v[4:5]
	v_add_co_u32_e32 v8, vcc, v10, v6
	v_addc_co_u32_e32 v9, vcc, 0, v11, vcc
	v_add_co_u32_e32 v10, vcc, 32, v10
	v_addc_co_u32_e32 v11, vcc, 0, v11, vcc
	s_ashr_i32 s13, s12, 31
	v_mov_b32_e32 v1, s13
	v_cmp_gt_i64_e32 vcc, s[12:13], v[10:11]
	v_cndmask_b32_e32 v11, v1, v11, vcc
	v_mov_b32_e32 v1, s12
	v_cndmask_b32_e32 v10, v1, v10, vcc
	v_ashrrev_i32_e32 v13, 31, v10
	v_mov_b32_e32 v12, v10
	v_cmp_lt_i64_e32 vcc, v[8:9], v[12:13]
	s_and_saveexec_b64 s[22:23], vcc
	s_cbranch_execz .LBB29_26
; %bb.17:
	v_lshlrev_b64 v[14:15], 9, v[4:5]
	v_lshlrev_b64 v[16:17], 4, v[6:7]
	v_add_co_u32_e32 v14, vcc, v14, v16
	v_addc_co_u32_e32 v1, vcc, v15, v17, vcc
	s_lshl_b64 s[24:25], s[2:3], 6
	s_mul_hi_i32 s7, s2, 3
	s_mul_i32 s13, s2, 3
	s_lshl_b64 s[26:27], s[2:3], 1
	s_lshl_b64 s[30:31], s[2:3], 4
	s_mov_b64 s[28:29], 0
	v_mov_b32_e32 v7, 0
	v_mov_b32_e32 v3, s44
	v_mov_b32_e32 v15, s15
	v_mov_b32_e32 v24, s3
	v_pk_mov_b32 v[16:17], v[8:9], v[8:9] op_sel:[0,1]
                                        ; implicit-def: $sgpr34_sgpr35
	s_branch .LBB29_21
.LBB29_18:                              ;   in Loop: Header=BB29_21 Depth=1
	s_or_b64 exec, exec, s[40:41]
	s_orn2_b64 s[40:41], s[42:43], exec
.LBB29_19:                              ;   in Loop: Header=BB29_21 Depth=1
	s_or_b64 exec, exec, s[38:39]
	s_andn2_b64 s[34:35], s[34:35], exec
	s_and_b64 s[38:39], s[40:41], exec
	s_or_b64 s[34:35], s[34:35], s[38:39]
.LBB29_20:                              ;   in Loop: Header=BB29_21 Depth=1
	s_or_b64 exec, exec, s[36:37]
	s_and_b64 s[36:37], exec, s[34:35]
	s_or_b64 s[28:29], s[36:37], s[28:29]
	s_andn2_b64 exec, exec, s[28:29]
	s_cbranch_execz .LBB29_25
.LBB29_21:                              ; =>This Inner Loop Header: Depth=1
	v_add_co_u32_e32 v20, vcc, s33, v14
	v_addc_co_u32_e32 v21, vcc, v3, v1, vcc
	v_add_co_u32_e32 v22, vcc, s14, v14
	global_load_dwordx4 v[26:29], v[20:21], off
	v_addc_co_u32_e32 v23, vcc, v15, v1, vcc
	global_load_dwordx4 v[30:33], v[22:23], off
	v_add_co_u32_e32 v18, vcc, s2, v16
	v_addc_co_u32_e32 v19, vcc, v17, v24, vcc
	v_cmp_lt_i64_e32 vcc, v[18:19], v[12:13]
	s_or_b64 s[34:35], s[34:35], exec
	s_waitcnt vmcnt(1) lgkmcnt(0)
	v_mul_f32_e32 v25, v2, v26
	v_mul_f32_e32 v26, v2, v27
	v_mul_f32_e32 v27, v2, v28
	v_mul_f32_e32 v28, v2, v29
	s_waitcnt vmcnt(0)
	v_mul_f32_e32 v25, v25, v30
	v_mul_f32_e32 v26, v26, v31
	v_mul_f32_e32 v27, v27, v32
	v_mul_f32_e32 v28, v28, v33
	v_max3_f32 v7, v7, |v25|, |v26|
	v_max3_f32 v7, v7, |v27|, |v28|
	s_and_saveexec_b64 s[36:37], vcc
	s_cbranch_execz .LBB29_20
; %bb.22:                               ;   in Loop: Header=BB29_21 Depth=1
	v_mov_b32_e32 v25, s31
	v_add_co_u32_e32 v20, vcc, s30, v20
	v_addc_co_u32_e32 v21, vcc, v21, v25, vcc
	v_add_co_u32_e32 v22, vcc, s30, v22
	global_load_dwordx4 v[26:29], v[20:21], off
	v_addc_co_u32_e32 v23, vcc, v23, v25, vcc
	global_load_dwordx4 v[30:33], v[22:23], off
	v_mov_b32_e32 v25, s27
	v_add_co_u32_e32 v34, vcc, s26, v16
	v_addc_co_u32_e32 v35, vcc, v25, v17, vcc
	v_cmp_lt_i64_e32 vcc, v[34:35], v[12:13]
	s_mov_b64 s[40:41], -1
	s_waitcnt vmcnt(1)
	v_mul_f32_e32 v25, v2, v26
	v_mul_f32_e32 v26, v2, v27
	;; [unrolled: 1-line block ×4, first 2 shown]
	s_waitcnt vmcnt(0)
	v_mul_f32_e32 v25, v25, v30
	v_mul_f32_e32 v26, v26, v31
	;; [unrolled: 1-line block ×4, first 2 shown]
	v_max3_f32 v7, v7, |v25|, |v26|
	v_max3_f32 v7, v7, |v27|, |v28|
	s_and_saveexec_b64 s[38:39], vcc
	s_cbranch_execz .LBB29_19
; %bb.23:                               ;   in Loop: Header=BB29_21 Depth=1
	v_mov_b32_e32 v25, s31
	v_add_co_u32_e32 v20, vcc, s30, v20
	v_addc_co_u32_e32 v21, vcc, v21, v25, vcc
	v_add_co_u32_e32 v22, vcc, s30, v22
	global_load_dwordx4 v[26:29], v[20:21], off
	v_addc_co_u32_e32 v23, vcc, v23, v25, vcc
	global_load_dwordx4 v[30:33], v[22:23], off
	v_mov_b32_e32 v25, s7
	v_add_co_u32_e32 v16, vcc, s13, v16
	v_addc_co_u32_e32 v17, vcc, v25, v17, vcc
	v_cmp_lt_i64_e32 vcc, v[16:17], v[12:13]
	s_mov_b64 s[42:43], -1
	s_waitcnt vmcnt(1)
	v_mul_f32_e32 v16, v2, v26
	v_mul_f32_e32 v17, v2, v27
	;; [unrolled: 1-line block ×4, first 2 shown]
	s_waitcnt vmcnt(0)
	v_mul_f32_e32 v16, v16, v30
	v_mul_f32_e32 v17, v17, v31
	;; [unrolled: 1-line block ×4, first 2 shown]
	v_max3_f32 v7, v7, |v16|, |v17|
	v_max3_f32 v7, v7, |v25|, |v26|
                                        ; implicit-def: $vgpr16_vgpr17
	s_and_saveexec_b64 s[40:41], vcc
	s_xor_b64 s[40:41], exec, s[40:41]
	s_cbranch_execz .LBB29_18
; %bb.24:                               ;   in Loop: Header=BB29_21 Depth=1
	v_mov_b32_e32 v25, s31
	v_add_co_u32_e32 v16, vcc, s30, v20
	v_addc_co_u32_e32 v17, vcc, v21, v25, vcc
	global_load_dwordx4 v[26:29], v[16:17], off
	v_add_co_u32_e32 v16, vcc, s30, v22
	v_addc_co_u32_e32 v17, vcc, v23, v25, vcc
	global_load_dwordx4 v[20:23], v[16:17], off
	s_add_u32 s16, s2, s2
	s_addc_u32 s19, s3, s3
	v_mov_b32_e32 v16, s25
	v_add_co_u32_e32 v14, vcc, s24, v14
	s_add_u32 s16, s16, s2
	v_addc_co_u32_e32 v1, vcc, v1, v16, vcc
	s_addc_u32 s19, s19, s3
	v_mov_b32_e32 v17, s19
	v_add_co_u32_e32 v16, vcc, s16, v18
	v_addc_co_u32_e32 v17, vcc, v17, v19, vcc
	v_cmp_ge_i64_e32 vcc, v[16:17], v[12:13]
	s_orn2_b64 s[42:43], vcc, exec
	s_waitcnt vmcnt(1)
	v_mul_f32_e32 v18, v2, v26
	v_mul_f32_e32 v19, v2, v27
	;; [unrolled: 1-line block ×4, first 2 shown]
	s_waitcnt vmcnt(0)
	v_mul_f32_e32 v18, v18, v20
	v_mul_f32_e32 v19, v19, v21
	;; [unrolled: 1-line block ×4, first 2 shown]
	v_max3_f32 v7, v7, |v18|, |v19|
	v_max3_f32 v7, v7, |v20|, |v21|
	s_branch .LBB29_18
.LBB29_25:
	s_or_b64 exec, exec, s[28:29]
.LBB29_26:
	s_or_b64 exec, exec, s[22:23]
	s_lshr_b32 s7, s45, 6
	v_cvt_f32_u32_e32 v3, s7
	s_sub_i32 s22, 0, s7
	s_add_i32 s13, s18, s7
	s_add_i32 s13, s13, -1
	v_rcp_iflag_f32_e32 v3, v3
	s_ashr_i32 s16, s13, 31
	s_abs_i32 s13, s13
	s_ashr_i32 s19, s18, 31
	v_mul_f32_e32 v3, 0x4f7ffffe, v3
	v_cvt_u32_f32_e32 v3, v3
	v_lshlrev_b32_e32 v1, 2, v0
	ds_write_b32 v1, v7
	s_waitcnt lgkmcnt(0)
	v_readfirstlane_b32 s23, v3
	s_mul_i32 s22, s22, s23
	s_mul_hi_u32 s22, s23, s22
	s_add_i32 s23, s23, s22
	s_mul_hi_u32 s22, s13, s23
	s_mul_i32 s23, s22, s7
	s_sub_i32 s13, s13, s23
	s_add_i32 s23, s22, 1
	s_sub_i32 s24, s13, s7
	s_cmp_ge_u32 s13, s7
	s_cselect_b32 s22, s23, s22
	s_cselect_b32 s13, s24, s13
	s_add_i32 s23, s22, 1
	s_cmp_ge_u32 s13, s7
	s_cselect_b32 s13, s23, s22
	s_xor_b32 s13, s13, s16
	s_sub_i32 s22, s13, s16
	s_ashr_i32 s23, s22, 31
	v_cmp_lt_i64_e64 s[24:25], s[22:23], 1
	s_and_b64 vcc, exec, s[24:25]
	s_barrier
	s_cbranch_vccnz .LBB29_48
; %bb.27:
	v_and_b32_e32 v14, 63, v0
	v_add_co_u32_e32 v16, vcc, 32, v14
	v_addc_co_u32_e64 v17, s[24:25], 0, 0, vcc
	v_add_co_u32_e32 v18, vcc, 16, v14
	v_addc_co_u32_e64 v19, s[24:25], 0, 0, vcc
	v_add_co_u32_e32 v20, vcc, 8, v14
	v_lshrrev_b32_e32 v12, 6, v0
	v_addc_co_u32_e64 v21, s[24:25], 0, 0, vcc
	v_add_co_u32_e32 v22, vcc, 4, v14
	v_addc_co_u32_e64 v23, s[24:25], 0, 0, vcc
	v_add_co_u32_e32 v24, vcc, 2, v14
	v_mul_lo_u32 v3, s2, v12
	v_addc_co_u32_e64 v25, s[24:25], 0, 0, vcc
	v_add_co_u32_e32 v26, vcc, 1, v14
	v_lshlrev_b32_e32 v3, 2, v3
	v_lshlrev_b32_e32 v7, 2, v14
	s_movk_i32 s13, 0x100
	v_mov_b32_e32 v13, 0
	v_addc_co_u32_e64 v27, s[24:25], 0, 0, vcc
	v_add3_u32 v3, v3, v7, s13
	s_mul_i32 s13, s2, s7
	v_mov_b32_e32 v15, v13
	s_lshl_b32 s13, s13, 2
	s_mov_b64 s[24:25], 0
	v_mov_b32_e32 v7, s7
	s_mov_b64 s[26:27], src_shared_base
	s_branch .LBB29_30
.LBB29_28:                              ;   in Loop: Header=BB29_30 Depth=1
	s_or_b64 exec, exec, s[30:31]
	v_mov_b32_e32 v29, s27
	flat_load_dword v28, v[28:29] glc
	s_waitcnt vmcnt(0)
.LBB29_29:                              ;   in Loop: Header=BB29_30 Depth=1
	s_or_b64 exec, exec, s[28:29]
	s_add_u32 s24, s24, 1
	s_addc_u32 s25, s25, 0
	s_cmp_eq_u64 s[24:25], s[22:23]
	v_add_u32_e32 v3, s13, v3
	s_cbranch_scc1 .LBB29_48
.LBB29_30:                              ; =>This Loop Header: Depth=1
                                        ;     Child Loop BB29_33 Depth 2
	v_mad_u64_u32 v[32:33], s[28:29], s24, v7, v[12:13]
	s_mul_i32 s16, s25, s7
	v_add_u32_e32 v33, s16, v33
	v_cmp_gt_i64_e32 vcc, s[18:19], v[32:33]
	s_and_saveexec_b64 s[28:29], vcc
	s_cbranch_execz .LBB29_29
; %bb.31:                               ;   in Loop: Header=BB29_30 Depth=1
	v_pk_mov_b32 v[34:35], s[2:3], s[2:3] op_sel:[0,1]
	v_mul_lo_u32 v31, v33, s2
	v_mul_lo_u32 v38, v32, s3
	v_mad_u64_u32 v[34:35], s[30:31], v32, s2, v[34:35]
	v_add3_u32 v35, v31, v35, v38
	v_mov_b32_e32 v30, s21
	v_cmp_gt_i64_e32 vcc, s[20:21], v[34:35]
	s_waitcnt lgkmcnt(0)
	v_mad_u64_u32 v[28:29], s[30:31], v32, s2, v[14:15]
	v_cndmask_b32_e32 v35, v30, v35, vcc
	v_mov_b32_e32 v30, s17
	v_add3_u32 v29, v31, v29, v38
	v_cndmask_b32_e32 v34, v30, v34, vcc
	v_add_co_u32_e32 v36, vcc, 64, v28
	v_addc_co_u32_e32 v37, vcc, 0, v29, vcc
	v_cmp_lt_i64_e32 vcc, v[36:37], v[34:35]
	v_lshlrev_b32_e32 v30, 2, v28
	s_and_saveexec_b64 s[30:31], vcc
	s_cbranch_execz .LBB29_34
; %bb.32:                               ;   in Loop: Header=BB29_30 Depth=1
	ds_read_b32 v33, v30
	s_mov_b64 s[34:35], 0
	v_mov_b32_e32 v29, v3
.LBB29_33:                              ;   Parent Loop BB29_30 Depth=1
                                        ; =>  This Inner Loop Header: Depth=2
	ds_read_b32 v39, v29
	v_add_co_u32_e32 v36, vcc, 64, v36
	v_addc_co_u32_e32 v37, vcc, 0, v37, vcc
	s_waitcnt lgkmcnt(1)
	v_max_f32_e32 v33, v33, v33
	v_cmp_ge_i64_e32 vcc, v[36:37], v[34:35]
	s_waitcnt lgkmcnt(0)
	v_max_f32_e32 v39, v39, v39
	v_add_u32_e32 v29, 0x100, v29
	s_or_b64 s[34:35], vcc, s[34:35]
	v_max_f32_e32 v33, v33, v39
	ds_write_b32 v30, v33
	s_andn2_b64 exec, exec, s[34:35]
	s_cbranch_execnz .LBB29_33
.LBB29_34:                              ;   in Loop: Header=BB29_30 Depth=1
	s_or_b64 exec, exec, s[30:31]
	v_mad_u64_u32 v[32:33], s[30:31], v32, s2, 0
	v_add3_u32 v29, v33, v38, v31
	v_sub_co_u32_e32 v32, vcc, v34, v32
	v_subb_co_u32_e32 v33, vcc, v35, v29, vcc
	v_cmp_gt_i64_e32 vcc, 64, v[32:33]
	v_cndmask_b32_e32 v33, 0, v33, vcc
	v_cndmask_b32_e32 v32, 64, v32, vcc
	v_cmp_lt_i64_e32 vcc, v[16:17], v[32:33]
	s_and_saveexec_b64 s[30:31], vcc
	s_cbranch_execnz .LBB29_46
; %bb.35:                               ;   in Loop: Header=BB29_30 Depth=1
	s_or_b64 exec, exec, s[30:31]
	v_cmp_lt_i64_e32 vcc, v[18:19], v[32:33]
	s_and_saveexec_b64 s[30:31], vcc
	s_cbranch_execnz .LBB29_47
.LBB29_36:                              ;   in Loop: Header=BB29_30 Depth=1
	s_or_b64 exec, exec, s[30:31]
	v_cmp_lt_i64_e32 vcc, v[20:21], v[32:33]
	s_and_saveexec_b64 s[30:31], vcc
	s_cbranch_execz .LBB29_38
.LBB29_37:                              ;   in Loop: Header=BB29_30 Depth=1
	v_mov_b32_e32 v31, s27
	v_add_u32_e32 v34, 32, v30
	v_mov_b32_e32 v35, s27
	flat_load_dword v29, v[30:31] glc
	s_waitcnt vmcnt(0)
	flat_load_dword v36, v[34:35] glc
	s_waitcnt vmcnt(0) lgkmcnt(0)
	v_max_f32_e32 v29, v29, v29
	v_max_f32_e32 v34, v36, v36
	;; [unrolled: 1-line block ×3, first 2 shown]
	flat_store_dword v[30:31], v29
	s_waitcnt vmcnt(0)
.LBB29_38:                              ;   in Loop: Header=BB29_30 Depth=1
	s_or_b64 exec, exec, s[30:31]
	v_cmp_ge_i64_e32 vcc, v[22:23], v[32:33]
	s_and_saveexec_b64 s[30:31], vcc
	s_xor_b64 s[30:31], exec, s[30:31]
; %bb.39:                               ;   in Loop: Header=BB29_30 Depth=1
                                        ; implicit-def: $vgpr30
; %bb.40:                               ;   in Loop: Header=BB29_30 Depth=1
	s_andn2_saveexec_b64 s[30:31], s[30:31]
	s_cbranch_execz .LBB29_42
; %bb.41:                               ;   in Loop: Header=BB29_30 Depth=1
	v_mov_b32_e32 v31, s27
	v_add_u32_e32 v34, 16, v30
	v_mov_b32_e32 v35, s27
	flat_load_dword v29, v[30:31] glc
	s_waitcnt vmcnt(0)
	flat_load_dword v36, v[34:35] glc
	s_waitcnt vmcnt(0) lgkmcnt(0)
	v_max_f32_e32 v29, v29, v29
	v_max_f32_e32 v34, v36, v36
	;; [unrolled: 1-line block ×3, first 2 shown]
	flat_store_dword v[30:31], v29
	s_waitcnt vmcnt(0)
.LBB29_42:                              ;   in Loop: Header=BB29_30 Depth=1
	s_or_b64 exec, exec, s[30:31]
	v_cmp_lt_i64_e32 vcc, v[24:25], v[32:33]
	v_lshlrev_b32_e32 v28, 2, v28
	s_and_saveexec_b64 s[30:31], vcc
	s_cbranch_execz .LBB29_44
; %bb.43:                               ;   in Loop: Header=BB29_30 Depth=1
	v_mov_b32_e32 v29, s27
	v_add_u32_e32 v30, 8, v28
	v_mov_b32_e32 v31, s27
	flat_load_dword v34, v[28:29] glc
	s_waitcnt vmcnt(0)
	flat_load_dword v35, v[30:31] glc
	s_waitcnt vmcnt(0) lgkmcnt(0)
	v_max_f32_e32 v30, v34, v34
	v_max_f32_e32 v31, v35, v35
	;; [unrolled: 1-line block ×3, first 2 shown]
	flat_store_dword v[28:29], v30
	s_waitcnt vmcnt(0)
.LBB29_44:                              ;   in Loop: Header=BB29_30 Depth=1
	s_or_b64 exec, exec, s[30:31]
	v_cmp_lt_i64_e32 vcc, v[26:27], v[32:33]
	s_and_saveexec_b64 s[30:31], vcc
	s_cbranch_execz .LBB29_28
; %bb.45:                               ;   in Loop: Header=BB29_30 Depth=1
	v_mov_b32_e32 v29, s27
	v_add_u32_e32 v30, 4, v28
	v_mov_b32_e32 v31, s27
	flat_load_dword v32, v[28:29] glc
	s_waitcnt vmcnt(0)
	flat_load_dword v33, v[30:31] glc
	s_waitcnt vmcnt(0) lgkmcnt(0)
	v_max_f32_e32 v30, v32, v32
	v_max_f32_e32 v31, v33, v33
	v_max_f32_e32 v30, v30, v31
	flat_store_dword v[28:29], v30
	s_waitcnt vmcnt(0)
	s_branch .LBB29_28
.LBB29_46:                              ;   in Loop: Header=BB29_30 Depth=1
	v_mov_b32_e32 v31, s27
	v_add_u32_e32 v34, 0x80, v30
	v_mov_b32_e32 v35, s27
	flat_load_dword v29, v[30:31] glc
	s_waitcnt vmcnt(0)
	flat_load_dword v36, v[34:35] glc
	s_waitcnt vmcnt(0) lgkmcnt(0)
	v_max_f32_e32 v29, v29, v29
	v_max_f32_e32 v34, v36, v36
	;; [unrolled: 1-line block ×3, first 2 shown]
	flat_store_dword v[30:31], v29
	s_waitcnt vmcnt(0)
	s_or_b64 exec, exec, s[30:31]
	v_cmp_lt_i64_e32 vcc, v[18:19], v[32:33]
	s_and_saveexec_b64 s[30:31], vcc
	s_cbranch_execz .LBB29_36
.LBB29_47:                              ;   in Loop: Header=BB29_30 Depth=1
	v_mov_b32_e32 v31, s27
	v_add_u32_e32 v34, 64, v30
	v_mov_b32_e32 v35, s27
	flat_load_dword v29, v[30:31] glc
	s_waitcnt vmcnt(0)
	flat_load_dword v36, v[34:35] glc
	s_waitcnt vmcnt(0) lgkmcnt(0)
	v_max_f32_e32 v29, v29, v29
	v_max_f32_e32 v34, v36, v36
	;; [unrolled: 1-line block ×3, first 2 shown]
	flat_store_dword v[30:31], v29
	s_waitcnt vmcnt(0)
	s_or_b64 exec, exec, s[30:31]
	v_cmp_lt_i64_e32 vcc, v[20:21], v[32:33]
	s_and_saveexec_b64 s[30:31], vcc
	s_cbranch_execnz .LBB29_37
	s_branch .LBB29_38
.LBB29_48:
	v_cmp_eq_u32_e32 vcc, 0, v6
	v_cmp_lt_i64_e64 s[2:3], v[8:9], v[10:11]
	s_and_b64 s[22:23], vcc, s[2:3]
	s_mul_i32 s7, s19, s6
	s_mul_hi_u32 s16, s18, s6
	s_mul_i32 s2, s18, s6
	s_waitcnt lgkmcnt(0)
	s_barrier
	s_and_saveexec_b64 s[18:19], s[22:23]
	s_cbranch_execz .LBB29_52
; %bb.49:
	s_load_dwordx2 s[4:5], s[4:5], 0x20
	ds_read_b32 v1, v1
	s_waitcnt lgkmcnt(0)
	s_cmp_eq_u64 s[4:5], 0
	s_cbranch_scc1 .LBB29_51
; %bb.50:
	s_load_dword s3, s[4:5], 0x0
	v_max_f32_e32 v1, v1, v1
	s_waitcnt lgkmcnt(0)
	v_max_f32_e64 v3, s3, s3
	v_min_f32_e32 v1, v1, v3
.LBB29_51:
	s_mov_b32 s3, 0x42fe0000
	v_div_scale_f32 v3, s[4:5], s3, s3, v1
	v_rcp_f32_e32 v6, v3
	v_div_scale_f32 v7, vcc, v1, s3, v1
	v_lshlrev_b64 v[4:5], 2, v[4:5]
	v_fma_f32 v8, -v3, v6, 1.0
	v_fmac_f32_e32 v6, v8, v6
	v_mul_f32_e32 v8, v7, v6
	v_fma_f32 v9, -v3, v8, v7
	v_fmac_f32_e32 v8, v9, v6
	v_fma_f32 v3, -v3, v8, v7
	v_div_fmas_f32 v3, v3, v6, v8
	v_div_fixup_f32 v1, v3, s3, v1
	s_add_i32 s3, s16, s7
	s_lshl_b64 s[4:5], s[2:3], 2
	s_add_u32 s3, s10, s4
	s_addc_u32 s4, s11, s5
	v_mov_b32_e32 v3, s4
	v_add_co_u32_e32 v4, vcc, s3, v4
	v_max_f32_e32 v1, 0x34000000, v1
	v_addc_co_u32_e32 v5, vcc, v3, v5, vcc
	global_store_dword v[4:5], v1, off
.LBB29_52:
	s_or_b64 exec, exec, s[18:19]
	s_barrier
	s_and_saveexec_b64 s[4:5], s[0:1]
	s_cbranch_execz .LBB29_61
; %bb.53:
	s_mul_i32 s0, s21, s6
	s_mul_hi_u32 s1, s17, s6
	s_add_i32 s1, s1, s0
	s_mul_i32 s0, s17, s6
	s_add_u32 s13, s8, s0
	s_addc_u32 s20, s9, s1
	s_add_i32 s3, s16, s7
	s_lshl_b64 s[0:1], s[2:3], 2
	s_add_u32 s2, s10, s0
	s_addc_u32 s3, s11, s1
	s_add_i32 s25, s45, s45
	v_mov_b32_e32 v3, v2
	s_mul_i32 s21, s45, 3
	s_lshl_b32 s22, s45, 1
	s_mov_b64 s[4:5], 0
	v_mov_b32_e32 v1, 0
	v_mov_b32_e32 v8, s44
	;; [unrolled: 1-line block ×3, first 2 shown]
	s_mov_b32 s23, 0x42fe0000
	v_mov_b32_e32 v10, 0x42fe0000
	s_mov_b32 s24, 0xc3000000
	v_mov_b32_e32 v11, 0xc3000000
	v_mov_b32_e32 v12, s20
	s_add_i32 s25, s25, s45
	v_mov_b32_e32 v13, 8
                                        ; implicit-def: $sgpr6_sgpr7
	s_branch .LBB29_57
.LBB29_54:                              ;   in Loop: Header=BB29_57 Depth=1
	s_or_b64 exec, exec, s[16:17]
	s_orn2_b64 s[16:17], s[18:19], exec
.LBB29_55:                              ;   in Loop: Header=BB29_57 Depth=1
	s_or_b64 exec, exec, s[10:11]
	s_andn2_b64 s[0:1], s[6:7], exec
	s_and_b64 s[6:7], s[16:17], exec
	s_or_b64 s[6:7], s[0:1], s[6:7]
.LBB29_56:                              ;   in Loop: Header=BB29_57 Depth=1
	s_or_b64 exec, exec, s[8:9]
	s_and_b64 s[0:1], exec, s[6:7]
	s_or_b64 s[4:5], s[0:1], s[4:5]
	s_andn2_b64 exec, exec, s[4:5]
	s_cbranch_execz .LBB29_61
.LBB29_57:                              ; =>This Inner Loop Header: Depth=1
	v_lshrrev_b32_e32 v6, 3, v0
	v_lshlrev_b64 v[4:5], 4, v[0:1]
	v_and_b32_e32 v6, 0x7fffffc, v6
	global_load_dword v22, v6, s[2:3]
	v_add_co_u32_e32 v6, vcc, s33, v4
	v_addc_co_u32_e32 v7, vcc, v8, v5, vcc
	global_load_dwordx4 v[14:17], v[6:7], off
	v_add_co_u32_e32 v4, vcc, s14, v4
	v_addc_co_u32_e32 v5, vcc, v9, v5, vcc
	global_load_dwordx4 v[18:21], v[4:5], off
	v_lshlrev_b64 v[6:7], 2, v[0:1]
	v_add_co_u32_e32 v6, vcc, s13, v6
	v_addc_co_u32_e32 v7, vcc, v12, v7, vcc
	v_add_u32_e32 v4, s45, v0
	v_cmp_gt_u32_e64 s[0:1], s12, v4
	s_or_b64 s[6:7], s[6:7], exec
	s_waitcnt vmcnt(2)
	v_div_scale_f32 v5, s[8:9], v22, v22, 1.0
	v_div_scale_f32 v23, vcc, 1.0, v22, 1.0
	s_waitcnt vmcnt(1)
	v_mul_f32_e32 v24, v2, v14
	v_mul_f32_e32 v25, v2, v15
	v_pk_mul_f32 v[14:15], v[2:3], v[16:17]
	v_rcp_f32_e32 v16, v5
	s_waitcnt vmcnt(0)
	v_mul_f32_e32 v17, v24, v18
	v_mul_f32_e32 v18, v25, v19
	v_fma_f32 v19, -v5, v16, 1.0
	v_fmac_f32_e32 v16, v19, v16
	v_mul_f32_e32 v19, v23, v16
	v_pk_mul_f32 v[14:15], v[14:15], v[20:21]
	v_fma_f32 v20, -v5, v19, v23
	v_fmac_f32_e32 v19, v20, v16
	v_fma_f32 v5, -v5, v19, v23
	v_div_fmas_f32 v5, v5, v16, v19
	v_div_fixup_f32 v16, v5, v22, 1.0
	v_mul_f32_e32 v5, v17, v16
	v_mul_f32_e32 v17, v18, v16
	v_rndne_f32_e32 v5, v5
	v_pk_mul_f32 v[14:15], v[14:15], v[16:17] op_sel_hi:[1,0]
	v_rndne_f32_e32 v16, v17
	v_cmp_nlt_f32_e32 vcc, s23, v5
	v_rndne_f32_e32 v15, v15
	v_cndmask_b32_e32 v17, v10, v5, vcc
	v_cmp_nlt_f32_e32 vcc, s23, v16
	v_rndne_f32_e32 v14, v14
	v_cndmask_b32_e32 v18, v10, v16, vcc
	v_cmp_nlt_f32_e32 vcc, s23, v15
	v_cndmask_b32_e32 v19, v10, v15, vcc
	v_cmp_nlt_f32_e32 vcc, s23, v14
	v_cndmask_b32_e32 v20, v10, v14, vcc
	v_cmp_ngt_f32_e32 vcc, s24, v5
	v_cndmask_b32_e32 v5, v11, v17, vcc
	v_cmp_ngt_f32_e32 vcc, s24, v16
	v_cndmask_b32_e32 v16, v11, v18, vcc
	v_cmp_ngt_f32_e32 vcc, s24, v14
	v_cndmask_b32_e32 v14, v11, v20, vcc
	v_cmp_ngt_f32_e32 vcc, s24, v15
	v_cvt_i32_f32_e32 v14, v14
	v_cndmask_b32_e32 v15, v11, v19, vcc
	v_cvt_i32_f32_e32 v16, v16
	v_cvt_i32_f32_e32 v5, v5
	;; [unrolled: 1-line block ×3, first 2 shown]
	v_and_b32_e32 v14, 0xff, v14
	v_lshlrev_b32_e32 v14, 16, v14
	v_lshlrev_b32_sdwa v16, v13, v16 dst_sel:DWORD dst_unused:UNUSED_PAD src0_sel:DWORD src1_sel:BYTE_0
	v_and_b32_e32 v5, 0xff, v5
	v_lshl_or_b32 v14, v15, 24, v14
	v_or3_b32 v5, v14, v16, v5
	global_store_dword v[6:7], v5, off
	s_and_saveexec_b64 s[8:9], s[0:1]
	s_cbranch_execz .LBB29_56
; %bb.58:                               ;   in Loop: Header=BB29_57 Depth=1
	v_lshrrev_b32_e32 v14, 3, v4
	v_and_b32_e32 v14, 0x7fffffc, v14
	global_load_dword v24, v14, s[2:3]
	v_mov_b32_e32 v5, v1
	v_lshlrev_b64 v[6:7], 4, v[4:5]
	v_add_co_u32_e32 v14, vcc, s33, v6
	v_addc_co_u32_e32 v15, vcc, v8, v7, vcc
	global_load_dwordx4 v[14:17], v[14:15], off
	v_add_co_u32_e32 v6, vcc, s14, v6
	v_addc_co_u32_e32 v7, vcc, v9, v7, vcc
	global_load_dwordx4 v[18:21], v[6:7], off
	v_lshlrev_b64 v[22:23], 2, v[4:5]
	v_add_co_u32_e32 v22, vcc, s13, v22
	v_addc_co_u32_e32 v23, vcc, v12, v23, vcc
	v_add_u32_e32 v6, s22, v0
	v_cmp_gt_u32_e64 s[0:1], s12, v6
	s_mov_b64 s[16:17], -1
	s_waitcnt vmcnt(2)
	v_div_scale_f32 v5, s[10:11], v24, v24, 1.0
	v_rcp_f32_e32 v25, v5
	v_div_scale_f32 v7, vcc, 1.0, v24, 1.0
	s_waitcnt vmcnt(1)
	v_mul_f32_e32 v26, v2, v14
	v_mul_f32_e32 v27, v2, v15
	v_pk_mul_f32 v[14:15], v[2:3], v[16:17]
	v_fma_f32 v16, -v5, v25, 1.0
	v_fmac_f32_e32 v25, v16, v25
	v_mul_f32_e32 v16, v7, v25
	s_waitcnt vmcnt(0)
	v_mul_f32_e32 v17, v26, v18
	v_mul_f32_e32 v18, v27, v19
	v_fma_f32 v19, -v5, v16, v7
	v_fmac_f32_e32 v16, v19, v25
	v_fma_f32 v5, -v5, v16, v7
	v_div_fmas_f32 v5, v5, v25, v16
	v_div_fixup_f32 v16, v5, v24, 1.0
	v_mul_f32_e32 v5, v17, v16
	v_pk_mul_f32 v[14:15], v[14:15], v[20:21]
	v_mul_f32_e32 v7, v18, v16
	v_rndne_f32_e32 v5, v5
	v_pk_mul_f32 v[14:15], v[14:15], v[16:17] op_sel_hi:[1,0]
	v_rndne_f32_e32 v7, v7
	v_cmp_nlt_f32_e32 vcc, s23, v5
	v_rndne_f32_e32 v15, v15
	v_cndmask_b32_e32 v16, v10, v5, vcc
	v_cmp_nlt_f32_e32 vcc, s23, v7
	v_rndne_f32_e32 v14, v14
	v_cndmask_b32_e32 v17, v10, v7, vcc
	v_cmp_nlt_f32_e32 vcc, s23, v15
	v_cndmask_b32_e32 v18, v10, v15, vcc
	v_cmp_nlt_f32_e32 vcc, s23, v14
	v_cndmask_b32_e32 v19, v10, v14, vcc
	v_cmp_ngt_f32_e32 vcc, s24, v5
	v_cndmask_b32_e32 v5, v11, v16, vcc
	v_cmp_ngt_f32_e32 vcc, s24, v7
	;; [unrolled: 2-line block ×4, first 2 shown]
	v_cvt_i32_f32_e32 v14, v14
	v_cndmask_b32_e32 v15, v11, v18, vcc
	v_cvt_i32_f32_e32 v7, v7
	v_cvt_i32_f32_e32 v5, v5
	;; [unrolled: 1-line block ×3, first 2 shown]
	v_and_b32_e32 v14, 0xff, v14
	v_lshlrev_b32_e32 v14, 16, v14
	v_lshlrev_b32_sdwa v7, v13, v7 dst_sel:DWORD dst_unused:UNUSED_PAD src0_sel:DWORD src1_sel:BYTE_0
	v_and_b32_e32 v5, 0xff, v5
	v_lshl_or_b32 v14, v15, 24, v14
	v_or3_b32 v5, v14, v7, v5
	global_store_dword v[22:23], v5, off
	s_and_saveexec_b64 s[10:11], s[0:1]
	s_cbranch_execz .LBB29_55
; %bb.59:                               ;   in Loop: Header=BB29_57 Depth=1
	v_mov_b32_e32 v7, v1
	v_lshlrev_b64 v[18:19], 4, v[6:7]
	v_mov_b32_e32 v5, s44
	v_add_co_u32_e32 v20, vcc, s33, v18
	v_addc_co_u32_e32 v21, vcc, v5, v19, vcc
	v_lshrrev_b32_e32 v5, 3, v6
	v_and_b32_e32 v5, 0x7fffffc, v5
	global_load_dword v22, v5, s[2:3]
	global_load_dwordx4 v[14:17], v[20:21], off
	v_mov_b32_e32 v5, s15
	v_add_co_u32_e32 v18, vcc, s14, v18
	v_addc_co_u32_e32 v19, vcc, v5, v19, vcc
	global_load_dwordx4 v[18:21], v[18:19], off
	v_lshlrev_b64 v[6:7], 2, v[6:7]
	v_mov_b32_e32 v5, s20
	v_add_co_u32_e32 v6, vcc, s13, v6
	v_addc_co_u32_e32 v7, vcc, v5, v7, vcc
	v_add_u32_e32 v0, s21, v0
	v_cmp_gt_u32_e64 s[0:1], s12, v0
	s_mov_b64 s[18:19], -1
	s_waitcnt vmcnt(2)
	v_div_scale_f32 v5, s[16:17], v22, v22, 1.0
	v_rcp_f32_e32 v24, v5
	s_waitcnt vmcnt(1)
	v_mul_f32_e32 v25, v2, v14
	v_mul_f32_e32 v26, v2, v15
	v_pk_mul_f32 v[14:15], v[2:3], v[16:17]
	v_fma_f32 v16, -v5, v24, 1.0
	v_div_scale_f32 v23, vcc, 1.0, v22, 1.0
	v_fmac_f32_e32 v24, v16, v24
	v_mul_f32_e32 v16, v23, v24
	s_waitcnt vmcnt(0)
	v_mul_f32_e32 v17, v25, v18
	v_mul_f32_e32 v18, v26, v19
	v_fma_f32 v19, -v5, v16, v23
	v_fmac_f32_e32 v16, v19, v24
	v_fma_f32 v5, -v5, v16, v23
	v_div_fmas_f32 v5, v5, v24, v16
	v_div_fixup_f32 v16, v5, v22, 1.0
	v_mul_f32_e32 v5, v17, v16
	v_pk_mul_f32 v[14:15], v[14:15], v[20:21]
	v_mul_f32_e32 v17, v18, v16
	v_rndne_f32_e32 v5, v5
	v_pk_mul_f32 v[14:15], v[14:15], v[16:17] op_sel_hi:[1,0]
	v_rndne_f32_e32 v16, v17
	v_cmp_nlt_f32_e32 vcc, s23, v5
	v_rndne_f32_e32 v15, v15
	v_cndmask_b32_e32 v17, v10, v5, vcc
	v_cmp_nlt_f32_e32 vcc, s23, v16
	v_rndne_f32_e32 v14, v14
	v_cndmask_b32_e32 v18, v10, v16, vcc
	v_cmp_nlt_f32_e32 vcc, s23, v15
	v_cndmask_b32_e32 v19, v10, v15, vcc
	v_cmp_nlt_f32_e32 vcc, s23, v14
	v_cndmask_b32_e32 v20, v10, v14, vcc
	v_cmp_ngt_f32_e32 vcc, s24, v5
	v_cndmask_b32_e32 v5, v11, v17, vcc
	v_cmp_ngt_f32_e32 vcc, s24, v16
	;; [unrolled: 2-line block ×4, first 2 shown]
	v_cvt_i32_f32_e32 v14, v14
	v_cndmask_b32_e32 v15, v11, v19, vcc
	v_cvt_i32_f32_e32 v16, v16
	v_cvt_i32_f32_e32 v5, v5
	;; [unrolled: 1-line block ×3, first 2 shown]
	v_and_b32_e32 v14, 0xff, v14
	v_lshlrev_b32_e32 v14, 16, v14
	v_lshlrev_b32_sdwa v16, v13, v16 dst_sel:DWORD dst_unused:UNUSED_PAD src0_sel:DWORD src1_sel:BYTE_0
	v_and_b32_e32 v5, 0xff, v5
	v_lshl_or_b32 v14, v15, 24, v14
	v_or3_b32 v5, v14, v16, v5
	global_store_dword v[6:7], v5, off
	s_and_saveexec_b64 s[16:17], s[0:1]
	s_cbranch_execz .LBB29_54
; %bb.60:                               ;   in Loop: Header=BB29_57 Depth=1
	v_lshlrev_b64 v[6:7], 4, v[0:1]
	v_mov_b32_e32 v5, s44
	v_add_co_u32_e32 v18, vcc, s33, v6
	v_addc_co_u32_e32 v19, vcc, v5, v7, vcc
	v_lshrrev_b32_e32 v5, 3, v0
	v_and_b32_e32 v5, 0x7fffffc, v5
	global_load_dword v22, v5, s[2:3]
	global_load_dwordx4 v[14:17], v[18:19], off
	v_mov_b32_e32 v5, s15
	v_add_co_u32_e32 v6, vcc, s14, v6
	v_addc_co_u32_e32 v7, vcc, v5, v7, vcc
	global_load_dwordx4 v[18:21], v[6:7], off
	v_lshlrev_b64 v[6:7], 2, v[0:1]
	v_mov_b32_e32 v5, s20
	v_add_u32_e32 v0, s25, v4
	v_add_co_u32_e32 v4, vcc, s13, v6
	v_addc_co_u32_e32 v5, vcc, v5, v7, vcc
	v_cmp_le_u32_e64 s[0:1], s12, v0
	s_waitcnt vmcnt(2)
	v_div_scale_f32 v23, s[18:19], v22, v22, 1.0
	s_waitcnt vmcnt(1)
	v_pk_mul_f32 v[6:7], v[2:3], v[16:17]
	v_rcp_f32_e32 v16, v23
	v_mul_f32_e32 v14, v2, v14
	v_div_scale_f32 v24, vcc, 1.0, v22, 1.0
	s_waitcnt vmcnt(0)
	v_mul_f32_e32 v17, v14, v18
	v_fma_f32 v14, -v23, v16, 1.0
	v_fmac_f32_e32 v16, v14, v16
	v_mul_f32_e32 v14, v24, v16
	v_fma_f32 v18, -v23, v14, v24
	v_fmac_f32_e32 v14, v18, v16
	v_fma_f32 v18, -v23, v14, v24
	v_mul_f32_e32 v15, v2, v15
	v_div_fmas_f32 v14, v18, v16, v14
	v_mul_f32_e32 v15, v15, v19
	v_div_fixup_f32 v14, v14, v22, 1.0
	v_pk_mul_f32 v[6:7], v[6:7], v[20:21]
	v_mul_f32_e32 v16, v17, v14
	v_mul_f32_e32 v15, v15, v14
	v_pk_mul_f32 v[6:7], v[6:7], v[14:15] op_sel_hi:[1,0]
	v_rndne_f32_e32 v14, v16
	v_rndne_f32_e32 v15, v15
	v_cmp_nlt_f32_e32 vcc, s23, v14
	v_rndne_f32_e32 v7, v7
	v_cndmask_b32_e32 v16, v10, v14, vcc
	v_cmp_nlt_f32_e32 vcc, s23, v15
	v_rndne_f32_e32 v6, v6
	v_cndmask_b32_e32 v17, v10, v15, vcc
	v_cmp_nlt_f32_e32 vcc, s23, v7
	v_cndmask_b32_e32 v18, v10, v7, vcc
	v_cmp_nlt_f32_e32 vcc, s23, v6
	v_cndmask_b32_e32 v19, v10, v6, vcc
	v_cmp_ngt_f32_e32 vcc, s24, v14
	v_cndmask_b32_e32 v14, v11, v16, vcc
	v_cmp_ngt_f32_e32 vcc, s24, v15
	;; [unrolled: 2-line block ×4, first 2 shown]
	v_cvt_i32_f32_e32 v6, v6
	v_cndmask_b32_e32 v7, v11, v18, vcc
	v_cvt_i32_f32_e32 v15, v15
	v_cvt_i32_f32_e32 v14, v14
	;; [unrolled: 1-line block ×3, first 2 shown]
	v_and_b32_e32 v6, 0xff, v6
	v_lshlrev_b32_e32 v6, 16, v6
	v_lshlrev_b32_sdwa v15, v13, v15 dst_sel:DWORD dst_unused:UNUSED_PAD src0_sel:DWORD src1_sel:BYTE_0
	v_and_b32_e32 v14, 0xff, v14
	v_lshl_or_b32 v6, v7, 24, v6
	v_or3_b32 v6, v6, v15, v14
	s_orn2_b64 s[18:19], s[0:1], exec
	global_store_dword v[4:5], v6, off
	s_branch .LBB29_54
.LBB29_61:
	s_endpgm
	.section	.rodata,"a",@progbits
	.p2align	6, 0x0
	.amdhsa_kernel _ZN4vllm31rms_norm_per_block_quant_kernelIfaLb0ELb0ELi128EEEvPT0_PfPKT_S6_PKffiiPS4_l
		.amdhsa_group_segment_fixed_size 4164
		.amdhsa_private_segment_fixed_size 0
		.amdhsa_kernarg_size 328
		.amdhsa_user_sgpr_count 6
		.amdhsa_user_sgpr_private_segment_buffer 1
		.amdhsa_user_sgpr_dispatch_ptr 0
		.amdhsa_user_sgpr_queue_ptr 0
		.amdhsa_user_sgpr_kernarg_segment_ptr 1
		.amdhsa_user_sgpr_dispatch_id 0
		.amdhsa_user_sgpr_flat_scratch_init 0
		.amdhsa_user_sgpr_kernarg_preload_length 0
		.amdhsa_user_sgpr_kernarg_preload_offset 0
		.amdhsa_user_sgpr_private_segment_size 0
		.amdhsa_uses_dynamic_stack 0
		.amdhsa_system_sgpr_private_segment_wavefront_offset 0
		.amdhsa_system_sgpr_workgroup_id_x 1
		.amdhsa_system_sgpr_workgroup_id_y 0
		.amdhsa_system_sgpr_workgroup_id_z 0
		.amdhsa_system_sgpr_workgroup_info 0
		.amdhsa_system_vgpr_workitem_id 0
		.amdhsa_next_free_vgpr 40
		.amdhsa_next_free_sgpr 46
		.amdhsa_accum_offset 40
		.amdhsa_reserve_vcc 1
		.amdhsa_reserve_flat_scratch 0
		.amdhsa_float_round_mode_32 0
		.amdhsa_float_round_mode_16_64 0
		.amdhsa_float_denorm_mode_32 3
		.amdhsa_float_denorm_mode_16_64 3
		.amdhsa_dx10_clamp 1
		.amdhsa_ieee_mode 1
		.amdhsa_fp16_overflow 0
		.amdhsa_tg_split 0
		.amdhsa_exception_fp_ieee_invalid_op 0
		.amdhsa_exception_fp_denorm_src 0
		.amdhsa_exception_fp_ieee_div_zero 0
		.amdhsa_exception_fp_ieee_overflow 0
		.amdhsa_exception_fp_ieee_underflow 0
		.amdhsa_exception_fp_ieee_inexact 0
		.amdhsa_exception_int_div_zero 0
	.end_amdhsa_kernel
	.section	.text._ZN4vllm31rms_norm_per_block_quant_kernelIfaLb0ELb0ELi128EEEvPT0_PfPKT_S6_PKffiiPS4_l,"axG",@progbits,_ZN4vllm31rms_norm_per_block_quant_kernelIfaLb0ELb0ELi128EEEvPT0_PfPKT_S6_PKffiiPS4_l,comdat
.Lfunc_end29:
	.size	_ZN4vllm31rms_norm_per_block_quant_kernelIfaLb0ELb0ELi128EEEvPT0_PfPKT_S6_PKffiiPS4_l, .Lfunc_end29-_ZN4vllm31rms_norm_per_block_quant_kernelIfaLb0ELb0ELi128EEEvPT0_PfPKT_S6_PKffiiPS4_l
                                        ; -- End function
	.section	.AMDGPU.csdata,"",@progbits
; Kernel info:
; codeLenInByte = 5340
; NumSgprs: 50
; NumVgprs: 40
; NumAgprs: 0
; TotalNumVgprs: 40
; ScratchSize: 0
; MemoryBound: 0
; FloatMode: 240
; IeeeMode: 1
; LDSByteSize: 4164 bytes/workgroup (compile time only)
; SGPRBlocks: 6
; VGPRBlocks: 4
; NumSGPRsForWavesPerEU: 50
; NumVGPRsForWavesPerEU: 40
; AccumOffset: 40
; Occupancy: 8
; WaveLimiterHint : 0
; COMPUTE_PGM_RSRC2:SCRATCH_EN: 0
; COMPUTE_PGM_RSRC2:USER_SGPR: 6
; COMPUTE_PGM_RSRC2:TRAP_HANDLER: 0
; COMPUTE_PGM_RSRC2:TGID_X_EN: 1
; COMPUTE_PGM_RSRC2:TGID_Y_EN: 0
; COMPUTE_PGM_RSRC2:TGID_Z_EN: 0
; COMPUTE_PGM_RSRC2:TIDIG_COMP_CNT: 0
; COMPUTE_PGM_RSRC3_GFX90A:ACCUM_OFFSET: 9
; COMPUTE_PGM_RSRC3_GFX90A:TG_SPLIT: 0
	.section	.text._ZN4vllm31rms_norm_per_block_quant_kernelIfN3c1013Float8_e4m3fnELb1ELb1ELi64EEEvPT0_PfPKT_S8_PKffiiPS6_l,"axG",@progbits,_ZN4vllm31rms_norm_per_block_quant_kernelIfN3c1013Float8_e4m3fnELb1ELb1ELi64EEEvPT0_PfPKT_S8_PKffiiPS6_l,comdat
	.protected	_ZN4vllm31rms_norm_per_block_quant_kernelIfN3c1013Float8_e4m3fnELb1ELb1ELi64EEEvPT0_PfPKT_S8_PKffiiPS6_l ; -- Begin function _ZN4vllm31rms_norm_per_block_quant_kernelIfN3c1013Float8_e4m3fnELb1ELb1ELi64EEEvPT0_PfPKT_S8_PKffiiPS6_l
	.globl	_ZN4vllm31rms_norm_per_block_quant_kernelIfN3c1013Float8_e4m3fnELb1ELb1ELi64EEEvPT0_PfPKT_S8_PKffiiPS6_l
	.p2align	8
	.type	_ZN4vllm31rms_norm_per_block_quant_kernelIfN3c1013Float8_e4m3fnELb1ELb1ELi64EEEvPT0_PfPKT_S8_PKffiiPS6_l,@function
_ZN4vllm31rms_norm_per_block_quant_kernelIfN3c1013Float8_e4m3fnELb1ELb1ELi64EEEvPT0_PfPKT_S8_PKffiiPS6_l: ; @_ZN4vllm31rms_norm_per_block_quant_kernelIfN3c1013Float8_e4m3fnELb1ELb1ELi64EEEvPT0_PfPKT_S8_PKffiiPS6_l
; %bb.0:
	s_load_dwordx4 s[16:19], s[4:5], 0x28
	s_load_dwordx8 s[8:15], s[4:5], 0x0
	s_load_dwordx2 s[0:1], s[4:5], 0x38
	s_load_dword s48, s[4:5], 0x48
	s_mov_b32 s7, 0
	s_waitcnt lgkmcnt(0)
	s_ashr_i32 s2, s18, 31
	s_mul_hi_u32 s3, s18, s6
	s_mul_i32 s2, s2, s6
	s_ashr_i32 s21, s17, 31
	s_add_i32 s3, s3, s2
	s_mul_i32 s2, s18, s6
	s_mul_hi_u32 s18, s17, s6
	s_mul_i32 s19, s21, s6
	s_add_i32 s19, s18, s19
	s_lshl_b64 s[2:3], s[2:3], 2
	s_mul_i32 s18, s17, s6
	s_add_u32 s33, s12, s2
	s_addc_u32 s44, s13, s3
	s_lshl_b64 s[2:3], s[18:19], 2
	s_add_u32 s45, s0, s2
	s_addc_u32 s46, s1, s3
	s_ashr_i32 s12, s17, 2
	s_add_u32 s22, s4, 0x48
	s_mov_b32 s20, s17
	v_cmp_gt_u32_e64 s[0:1], s12, v0
	s_addc_u32 s23, s5, 0
	v_mov_b32_e32 v1, 0
	s_and_saveexec_b64 s[2:3], s[0:1]
	s_cbranch_execz .LBB30_10
; %bb.1:
	s_cmp_lt_u32 s6, s48
	s_cselect_b32 s13, 12, 18
	s_add_u32 s24, s22, s13
	s_addc_u32 s25, s23, 0
	v_mov_b32_e32 v3, 0
	global_load_ushort v8, v3, s[24:25]
	s_mov_b64 s[24:25], 0
	v_mov_b32_e32 v9, s44
	v_mov_b32_e32 v10, s46
	;; [unrolled: 1-line block ×4, first 2 shown]
                                        ; implicit-def: $sgpr26_sgpr27
	s_waitcnt vmcnt(0)
	v_mul_lo_u32 v11, v8, 3
	v_lshlrev_b32_e32 v12, 1, v8
	s_branch .LBB30_5
.LBB30_2:                               ;   in Loop: Header=BB30_5 Depth=1
	s_or_b64 exec, exec, s[34:35]
	s_orn2_b64 s[34:35], s[36:37], exec
.LBB30_3:                               ;   in Loop: Header=BB30_5 Depth=1
	s_or_b64 exec, exec, s[30:31]
	s_andn2_b64 s[26:27], s[26:27], exec
	s_and_b64 s[30:31], s[34:35], exec
	s_or_b64 s[26:27], s[26:27], s[30:31]
.LBB30_4:                               ;   in Loop: Header=BB30_5 Depth=1
	s_or_b64 exec, exec, s[28:29]
	s_and_b64 s[28:29], exec, s[26:27]
	s_or_b64 s[24:25], s[28:29], s[24:25]
	s_andn2_b64 exec, exec, s[24:25]
	s_cbranch_execz .LBB30_9
.LBB30_5:                               ; =>This Inner Loop Header: Depth=1
	v_lshlrev_b64 v[4:5], 4, v[2:3]
	v_add_co_u32_e32 v6, vcc, s33, v4
	v_addc_co_u32_e32 v7, vcc, v9, v5, vcc
	v_add_co_u32_e32 v4, vcc, s45, v4
	v_addc_co_u32_e32 v5, vcc, v10, v5, vcc
	global_load_dwordx4 v[14:17], v[6:7], off
	global_load_dwordx4 v[18:21], v[4:5], off
	v_add_u32_e32 v4, v2, v8
	v_cmp_gt_u32_e32 vcc, s12, v4
	s_or_b64 s[26:27], s[26:27], exec
	s_waitcnt vmcnt(0)
	v_pk_add_f32 v[6:7], v[14:15], v[18:19]
	v_pk_mul_f32 v[6:7], v[6:7], v[6:7]
	v_pk_add_f32 v[14:15], v[16:17], v[20:21]
	v_add_f32_e32 v1, v1, v6
	v_pk_mul_f32 v[14:15], v[14:15], v[14:15]
	v_add_f32_e32 v1, v1, v7
	v_add_f32_e32 v1, v1, v14
	;; [unrolled: 1-line block ×3, first 2 shown]
	s_and_saveexec_b64 s[28:29], vcc
	s_cbranch_execz .LBB30_4
; %bb.6:                                ;   in Loop: Header=BB30_5 Depth=1
	v_mov_b32_e32 v5, v3
	v_lshlrev_b64 v[6:7], 4, v[4:5]
	v_add_co_u32_e32 v22, vcc, s33, v6
	v_addc_co_u32_e32 v23, vcc, v9, v7, vcc
	v_add_co_u32_e32 v6, vcc, s45, v6
	v_addc_co_u32_e32 v7, vcc, v10, v7, vcc
	global_load_dwordx4 v[14:17], v[22:23], off
	global_load_dwordx4 v[18:21], v[6:7], off
	v_add_u32_e32 v6, v12, v2
	v_cmp_gt_u32_e32 vcc, s12, v6
	s_mov_b64 s[34:35], -1
	s_waitcnt vmcnt(0)
	v_pk_add_f32 v[14:15], v[14:15], v[18:19]
	v_pk_mul_f32 v[14:15], v[14:15], v[14:15]
	v_pk_add_f32 v[16:17], v[16:17], v[20:21]
	v_add_f32_e32 v1, v1, v14
	v_pk_mul_f32 v[16:17], v[16:17], v[16:17]
	v_add_f32_e32 v1, v1, v15
	v_add_f32_e32 v1, v1, v16
	;; [unrolled: 1-line block ×3, first 2 shown]
	s_and_saveexec_b64 s[30:31], vcc
	s_cbranch_execz .LBB30_3
; %bb.7:                                ;   in Loop: Header=BB30_5 Depth=1
	v_mov_b32_e32 v7, v3
	v_lshlrev_b64 v[6:7], 4, v[6:7]
	v_add_co_u32_e32 v22, vcc, s33, v6
	v_addc_co_u32_e32 v23, vcc, v9, v7, vcc
	v_add_co_u32_e32 v6, vcc, s45, v6
	v_addc_co_u32_e32 v7, vcc, v10, v7, vcc
	global_load_dwordx4 v[14:17], v[22:23], off
	global_load_dwordx4 v[18:21], v[6:7], off
	v_add_u32_e32 v2, v11, v2
	v_cmp_gt_u32_e32 vcc, s12, v2
	s_mov_b64 s[36:37], -1
	s_waitcnt vmcnt(0)
	v_pk_add_f32 v[6:7], v[14:15], v[18:19]
	v_pk_mul_f32 v[6:7], v[6:7], v[6:7]
	v_pk_add_f32 v[14:15], v[16:17], v[20:21]
	v_add_f32_e32 v1, v1, v6
	v_pk_mul_f32 v[14:15], v[14:15], v[14:15]
	v_add_f32_e32 v1, v1, v7
	v_add_f32_e32 v1, v1, v14
	;; [unrolled: 1-line block ×3, first 2 shown]
	s_and_saveexec_b64 s[34:35], vcc
	s_xor_b64 s[34:35], exec, s[34:35]
	s_cbranch_execz .LBB30_2
; %bb.8:                                ;   in Loop: Header=BB30_5 Depth=1
	v_lshlrev_b64 v[6:7], 4, v[2:3]
	v_mov_b32_e32 v2, s44
	v_add_co_u32_e32 v22, vcc, s33, v6
	v_addc_co_u32_e32 v23, vcc, v2, v7, vcc
	v_mov_b32_e32 v2, s46
	v_add_co_u32_e32 v6, vcc, s45, v6
	v_addc_co_u32_e32 v7, vcc, v2, v7, vcc
	global_load_dwordx4 v[14:17], v[22:23], off
	global_load_dwordx4 v[18:21], v[6:7], off
	v_add_u32_e32 v2, v8, v8
	v_add_u32_e32 v2, v2, v8
	;; [unrolled: 1-line block ×3, first 2 shown]
	v_cmp_le_u32_e32 vcc, s12, v2
	s_orn2_b64 s[36:37], vcc, exec
	s_waitcnt vmcnt(0)
	v_pk_add_f32 v[4:5], v[14:15], v[18:19]
	v_pk_mul_f32 v[4:5], v[4:5], v[4:5]
	v_pk_add_f32 v[6:7], v[16:17], v[20:21]
	v_add_f32_e32 v1, v1, v4
	v_pk_mul_f32 v[6:7], v[6:7], v[6:7]
	v_add_f32_e32 v1, v1, v5
	v_add_f32_e32 v1, v1, v6
	;; [unrolled: 1-line block ×3, first 2 shown]
	s_branch .LBB30_2
.LBB30_9:
	s_or_b64 exec, exec, s[24:25]
.LBB30_10:
	s_or_b64 exec, exec, s[2:3]
	v_mbcnt_lo_u32_b32 v2, -1, 0
	v_mbcnt_hi_u32_b32 v2, -1, v2
	v_and_b32_e32 v3, 63, v2
	v_cmp_ne_u32_e32 vcc, 63, v3
	s_load_dword s2, s[22:23], 0xc
	v_addc_co_u32_e32 v4, vcc, 0, v2, vcc
	v_lshlrev_b32_e32 v4, 2, v4
	ds_bpermute_b32 v4, v4, v1
	s_waitcnt lgkmcnt(0)
	s_and_b32 s13, s2, 0xffff
	v_and_b32_e32 v5, 0x3c0, v0
	v_sub_u32_e64 v5, s13, v5 clamp
	v_add_u32_e32 v6, 1, v2
	v_add_f32_e32 v4, v1, v4
	v_cmp_lt_u32_e32 vcc, v6, v5
	v_cndmask_b32_e32 v1, v1, v4, vcc
	v_cmp_gt_u32_e32 vcc, 62, v3
	v_cndmask_b32_e64 v4, 0, 1, vcc
	v_lshlrev_b32_e32 v4, 1, v4
	v_add_lshl_u32 v4, v4, v2, 2
	ds_bpermute_b32 v4, v4, v1
	v_add_u32_e32 v6, 2, v2
	v_cmp_lt_u32_e32 vcc, v6, v5
	v_add_u32_e32 v6, 4, v2
	s_waitcnt lgkmcnt(0)
	v_add_f32_e32 v4, v1, v4
	v_cndmask_b32_e32 v1, v1, v4, vcc
	v_cmp_gt_u32_e32 vcc, 60, v3
	v_cndmask_b32_e64 v4, 0, 1, vcc
	v_lshlrev_b32_e32 v4, 2, v4
	v_add_lshl_u32 v4, v4, v2, 2
	ds_bpermute_b32 v4, v4, v1
	v_cmp_lt_u32_e32 vcc, v6, v5
	v_add_u32_e32 v6, 8, v2
	s_waitcnt lgkmcnt(0)
	v_add_f32_e32 v4, v1, v4
	v_cndmask_b32_e32 v1, v1, v4, vcc
	v_cmp_gt_u32_e32 vcc, 56, v3
	v_cndmask_b32_e64 v4, 0, 1, vcc
	v_lshlrev_b32_e32 v4, 3, v4
	v_add_lshl_u32 v4, v4, v2, 2
	ds_bpermute_b32 v4, v4, v1
	;; [unrolled: 10-line block ×3, first 2 shown]
	v_cmp_lt_u32_e32 vcc, v6, v5
	s_waitcnt lgkmcnt(0)
	v_add_f32_e32 v4, v1, v4
	v_cndmask_b32_e32 v1, v1, v4, vcc
	v_cmp_gt_u32_e32 vcc, 32, v3
	v_cndmask_b32_e64 v3, 0, 1, vcc
	v_lshlrev_b32_e32 v3, 5, v3
	v_add_lshl_u32 v3, v3, v2, 2
	ds_bpermute_b32 v3, v3, v1
	v_add_u32_e32 v4, 32, v2
	v_cmp_lt_u32_e32 vcc, v4, v5
	s_waitcnt lgkmcnt(0)
	v_add_f32_e32 v3, v1, v3
	v_cndmask_b32_e32 v1, v1, v3, vcc
	v_cmp_eq_u32_e32 vcc, 0, v2
	s_and_saveexec_b64 s[2:3], vcc
	s_cbranch_execz .LBB30_12
; %bb.11:
	v_lshrrev_b32_e32 v3, 4, v0
	v_and_b32_e32 v3, 60, v3
	ds_write_b32 v3, v1 offset:4096
.LBB30_12:
	s_or_b64 exec, exec, s[2:3]
	v_cmp_gt_u32_e32 vcc, 16, v0
	s_waitcnt lgkmcnt(0)
	s_barrier
	s_and_saveexec_b64 s[24:25], vcc
	s_cbranch_execz .LBB30_14
; %bb.13:
	v_lshlrev_b32_e32 v1, 2, v2
	ds_read_b32 v1, v1 offset:4096
	v_and_b32_e32 v3, 15, v2
	v_cmp_ne_u32_e32 vcc, 15, v3
	v_addc_co_u32_e32 v4, vcc, 0, v2, vcc
	v_lshlrev_b32_e32 v4, 2, v4
	s_waitcnt lgkmcnt(0)
	ds_bpermute_b32 v4, v4, v1
	s_add_i32 s13, s13, 63
	s_lshr_b32 s13, s13, 6
	v_add_u32_e32 v5, 1, v3
	v_cmp_gt_u32_e64 s[2:3], 14, v3
	v_cmp_gt_u32_e32 vcc, s13, v5
	v_cndmask_b32_e64 v5, 0, 1, s[2:3]
	s_waitcnt lgkmcnt(0)
	v_add_f32_e32 v4, v1, v4
	v_lshlrev_b32_e32 v5, 1, v5
	v_cndmask_b32_e32 v4, v1, v4, vcc
	v_add_lshl_u32 v5, v5, v2, 2
	ds_bpermute_b32 v5, v5, v4
	v_add_u32_e32 v6, 2, v3
	v_cmp_gt_u32_e64 s[2:3], s13, v6
	v_add_u32_e32 v6, 4, v3
	s_waitcnt lgkmcnt(0)
	v_add_f32_e32 v5, v4, v5
	v_cndmask_b32_e64 v4, v4, v5, s[2:3]
	v_cmp_gt_u32_e64 s[2:3], 12, v3
	v_cndmask_b32_e64 v5, 0, 1, s[2:3]
	v_lshlrev_b32_e32 v5, 2, v5
	v_add_lshl_u32 v5, v5, v2, 2
	ds_bpermute_b32 v5, v5, v4
	v_cmp_gt_u32_e64 s[2:3], s13, v6
	s_waitcnt lgkmcnt(0)
	v_add_f32_e32 v5, v4, v5
	v_cndmask_b32_e64 v4, v4, v5, s[2:3]
	v_cmp_gt_u32_e64 s[2:3], 8, v3
	v_cndmask_b32_e64 v5, 0, 1, s[2:3]
	v_lshlrev_b32_e32 v5, 3, v5
	v_add_lshl_u32 v2, v5, v2, 2
	ds_bpermute_b32 v2, v2, v4
	v_add_u32_e32 v3, 8, v3
	v_cmp_gt_u32_e64 s[2:3], s13, v3
	s_waitcnt lgkmcnt(0)
	v_add_f32_e32 v2, v4, v2
	v_cndmask_b32_e64 v2, v4, v2, s[2:3]
	v_cndmask_b32_e32 v1, v1, v2, vcc
.LBB30_14:
	s_or_b64 exec, exec, s[24:25]
	v_cmp_eq_u32_e32 vcc, 0, v0
	s_and_saveexec_b64 s[2:3], vcc
	s_cbranch_execz .LBB30_16
; %bb.15:
	v_cvt_f32_i32_e32 v2, s20
	s_mov_b32 s13, 0x800000
	v_div_scale_f32 v3, s[24:25], v2, v2, v1
	v_rcp_f32_e32 v4, v3
	v_div_scale_f32 v5, vcc, v1, v2, v1
	v_fma_f32 v6, -v3, v4, 1.0
	v_fmac_f32_e32 v4, v6, v4
	v_mul_f32_e32 v6, v5, v4
	v_fma_f32 v7, -v3, v6, v5
	v_fmac_f32_e32 v6, v7, v4
	v_fma_f32 v3, -v3, v6, v5
	v_div_fmas_f32 v3, v3, v4, v6
	v_div_fixup_f32 v1, v3, v2, v1
	v_add_f32_e32 v1, s16, v1
	v_mul_f32_e32 v2, 0x4b800000, v1
	v_cmp_gt_f32_e32 vcc, s13, v1
	v_cndmask_b32_e32 v1, v1, v2, vcc
	v_rsq_f32_e32 v1, v1
	v_mul_f32_e32 v2, 0x45800000, v1
	v_cndmask_b32_e32 v1, v1, v2, vcc
	v_mov_b32_e32 v2, 0
	ds_write_b32 v2, v1 offset:4160
.LBB30_16:
	s_or_b64 exec, exec, s[2:3]
	s_ashr_i32 s2, s20, 31
	s_lshr_b32 s2, s2, 26
	s_add_i32 s3, s20, s2
	s_ashr_i32 s2, s3, 6
	s_cmp_lt_u32 s6, s48
	s_cselect_b32 s13, 12, 18
	s_add_u32 s16, s22, s13
	v_mov_b32_e32 v5, 0
	s_addc_u32 s17, s23, 0
	s_waitcnt lgkmcnt(0)
	s_barrier
	global_load_ushort v1, v5, s[16:17]
	ds_read_b32 v36, v5 offset:4160
	s_abs_i32 s13, s2
	v_cvt_f32_u32_e32 v2, s13
	s_sub_i32 s16, 0, s13
	s_ashr_i32 s3, s3, 31
	v_mov_b32_e32 v10, s12
	v_rcp_iflag_f32_e32 v2, v2
	v_mul_f32_e32 v2, 0x4f7ffffe, v2
	v_cvt_u32_f32_e32 v2, v2
	v_readfirstlane_b32 s17, v2
	s_mul_i32 s16, s16, s17
	s_mul_hi_u32 s16, s17, s16
	s_add_i32 s17, s17, s16
	s_waitcnt vmcnt(0)
	v_readfirstlane_b32 s47, v1
	s_mul_hi_u32 s16, s47, s17
	s_mul_i32 s17, s16, s13
	s_sub_i32 s17, s47, s17
	s_add_i32 s22, s16, 1
	s_sub_i32 s23, s17, s13
	s_cmp_ge_u32 s17, s13
	s_cselect_b32 s16, s22, s16
	s_cselect_b32 s17, s23, s17
	s_add_i32 s22, s16, 1
	s_cmp_ge_u32 s17, s13
	s_cselect_b32 s13, s22, s16
	s_xor_b32 s13, s13, s3
	s_sub_i32 s16, s13, s3
	s_abs_i32 s3, s16
	v_cvt_f32_u32_e32 v1, s3
	s_sub_i32 s22, 0, s3
	s_ashr_i32 s17, s16, 31
	s_ashr_i32 s13, s12, 31
	v_rcp_iflag_f32_e32 v1, v1
	v_mov_b32_e32 v11, s13
	v_mul_f32_e32 v1, 0x4f7ffffe, v1
	v_cvt_u32_f32_e32 v1, v1
	v_mul_lo_u32 v2, s22, v1
	v_mul_hi_u32 v2, v1, v2
	v_add_u32_e32 v1, v1, v2
	v_mul_hi_u32 v1, v0, v1
	v_mul_lo_u32 v2, v1, s3
	v_sub_u32_e32 v2, v0, v2
	v_add_u32_e32 v3, 1, v1
	v_cmp_le_u32_e32 vcc, s3, v2
	v_cndmask_b32_e32 v1, v1, v3, vcc
	v_subrev_u32_e32 v3, s3, v2
	v_cndmask_b32_e32 v2, v2, v3, vcc
	v_add_u32_e32 v3, 1, v1
	v_cmp_le_u32_e32 vcc, s3, v2
	v_cndmask_b32_e32 v1, v1, v3, vcc
	v_xor_b32_e32 v1, s17, v1
	v_subrev_u32_e32 v2, s17, v1
	v_mul_lo_u32 v1, v2, s16
	v_ashrrev_i32_e32 v3, 31, v2
	v_sub_u32_e32 v4, v0, v1
	v_lshlrev_b64 v[8:9], 4, v[2:3]
	v_add_co_u32_e32 v6, vcc, v8, v4
	v_addc_co_u32_e32 v7, vcc, 0, v9, vcc
	v_add_co_u32_e32 v8, vcc, 16, v8
	v_addc_co_u32_e32 v9, vcc, 0, v9, vcc
	v_cmp_gt_i64_e32 vcc, s[12:13], v[8:9]
	v_cndmask_b32_e32 v8, v10, v8, vcc
	v_cndmask_b32_e32 v9, v11, v9, vcc
	v_ashrrev_i32_e32 v11, 31, v8
	v_mov_b32_e32 v10, v8
	v_cmp_lt_i64_e32 vcc, v[6:7], v[10:11]
	s_and_saveexec_b64 s[22:23], vcc
	s_cbranch_execz .LBB30_26
; %bb.17:
	v_lshlrev_b64 v[12:13], 8, v[2:3]
	v_lshlrev_b64 v[14:15], 4, v[4:5]
	v_add_co_u32_e32 v12, vcc, v12, v14
	v_addc_co_u32_e32 v1, vcc, v13, v15, vcc
	s_lshl_b64 s[24:25], s[16:17], 6
	s_mul_hi_i32 s3, s16, 3
	s_mul_i32 s13, s16, 3
	s_lshl_b64 s[26:27], s[16:17], 1
	s_lshl_b64 s[30:31], s[16:17], 4
	s_mov_b64 s[28:29], 0
	v_mov_b32_e32 v5, 0
	v_mov_b32_e32 v13, s44
	;; [unrolled: 1-line block ×5, first 2 shown]
	v_pk_mov_b32 v[14:15], v[6:7], v[6:7] op_sel:[0,1]
                                        ; implicit-def: $sgpr34_sgpr35
	s_branch .LBB30_21
.LBB30_18:                              ;   in Loop: Header=BB30_21 Depth=1
	s_or_b64 exec, exec, s[40:41]
	s_orn2_b64 s[40:41], s[42:43], exec
.LBB30_19:                              ;   in Loop: Header=BB30_21 Depth=1
	s_or_b64 exec, exec, s[38:39]
	s_andn2_b64 s[34:35], s[34:35], exec
	s_and_b64 s[38:39], s[40:41], exec
	s_or_b64 s[34:35], s[34:35], s[38:39]
.LBB30_20:                              ;   in Loop: Header=BB30_21 Depth=1
	s_or_b64 exec, exec, s[36:37]
	s_and_b64 s[36:37], exec, s[34:35]
	s_or_b64 s[28:29], s[36:37], s[28:29]
	s_andn2_b64 exec, exec, s[28:29]
	s_cbranch_execz .LBB30_25
.LBB30_21:                              ; =>This Inner Loop Header: Depth=1
	v_add_co_u32_e32 v18, vcc, s33, v12
	v_addc_co_u32_e32 v19, vcc, v13, v1, vcc
	v_add_co_u32_e32 v22, vcc, s45, v12
	v_addc_co_u32_e32 v23, vcc, v25, v1, vcc
	global_load_dwordx4 v[28:31], v[18:19], off
	global_load_dwordx4 v[32:35], v[22:23], off
	v_add_co_u32_e32 v20, vcc, s14, v12
	v_addc_co_u32_e32 v21, vcc, v24, v1, vcc
	global_load_dwordx4 v[38:41], v[20:21], off
	v_add_co_u32_e32 v16, vcc, s16, v14
	v_addc_co_u32_e32 v17, vcc, v15, v26, vcc
	v_cmp_lt_i64_e32 vcc, v[16:17], v[10:11]
	s_or_b64 s[34:35], s[34:35], exec
	s_waitcnt vmcnt(1)
	v_add_f32_e32 v27, v28, v32
	v_add_f32_e32 v28, v29, v33
	;; [unrolled: 1-line block ×4, first 2 shown]
	s_waitcnt lgkmcnt(0)
	v_mul_f32_e32 v27, v36, v27
	v_mul_f32_e32 v28, v36, v28
	;; [unrolled: 1-line block ×4, first 2 shown]
	s_waitcnt vmcnt(0)
	v_mul_f32_e32 v27, v38, v27
	v_mul_f32_e32 v28, v39, v28
	;; [unrolled: 1-line block ×4, first 2 shown]
	v_max3_f32 v5, v5, |v27|, |v28|
	v_max3_f32 v5, v5, |v29|, |v30|
	s_and_saveexec_b64 s[36:37], vcc
	s_cbranch_execz .LBB30_20
; %bb.22:                               ;   in Loop: Header=BB30_21 Depth=1
	v_mov_b32_e32 v27, s31
	v_add_co_u32_e32 v18, vcc, s30, v18
	v_addc_co_u32_e32 v19, vcc, v19, v27, vcc
	v_add_co_u32_e32 v22, vcc, s30, v22
	v_addc_co_u32_e32 v23, vcc, v23, v27, vcc
	global_load_dwordx4 v[28:31], v[18:19], off
	global_load_dwordx4 v[32:35], v[22:23], off
	v_add_co_u32_e32 v20, vcc, s30, v20
	v_addc_co_u32_e32 v21, vcc, v21, v27, vcc
	global_load_dwordx4 v[38:41], v[20:21], off
	v_mov_b32_e32 v27, s27
	v_add_co_u32_e32 v42, vcc, s26, v14
	v_addc_co_u32_e32 v43, vcc, v27, v15, vcc
	v_cmp_lt_i64_e32 vcc, v[42:43], v[10:11]
	s_mov_b64 s[40:41], -1
	s_waitcnt vmcnt(1)
	v_add_f32_e32 v27, v28, v32
	v_add_f32_e32 v28, v29, v33
	;; [unrolled: 1-line block ×4, first 2 shown]
	v_mul_f32_e32 v27, v36, v27
	v_mul_f32_e32 v28, v36, v28
	;; [unrolled: 1-line block ×4, first 2 shown]
	s_waitcnt vmcnt(0)
	v_mul_f32_e32 v27, v38, v27
	v_mul_f32_e32 v28, v39, v28
	v_mul_f32_e32 v29, v40, v29
	v_mul_f32_e32 v30, v41, v30
	v_max3_f32 v5, v5, |v27|, |v28|
	v_max3_f32 v5, v5, |v29|, |v30|
	s_and_saveexec_b64 s[38:39], vcc
	s_cbranch_execz .LBB30_19
; %bb.23:                               ;   in Loop: Header=BB30_21 Depth=1
	v_mov_b32_e32 v27, s31
	v_add_co_u32_e32 v18, vcc, s30, v18
	v_addc_co_u32_e32 v19, vcc, v19, v27, vcc
	v_add_co_u32_e32 v22, vcc, s30, v22
	v_addc_co_u32_e32 v23, vcc, v23, v27, vcc
	global_load_dwordx4 v[28:31], v[18:19], off
	global_load_dwordx4 v[32:35], v[22:23], off
	v_add_co_u32_e32 v20, vcc, s30, v20
	v_addc_co_u32_e32 v21, vcc, v21, v27, vcc
	global_load_dwordx4 v[38:41], v[20:21], off
	v_mov_b32_e32 v27, s3
	v_add_co_u32_e32 v14, vcc, s13, v14
	v_addc_co_u32_e32 v15, vcc, v27, v15, vcc
	v_cmp_lt_i64_e32 vcc, v[14:15], v[10:11]
	s_mov_b64 s[42:43], -1
	s_waitcnt vmcnt(1)
	v_add_f32_e32 v14, v28, v32
	v_add_f32_e32 v15, v29, v33
	;; [unrolled: 1-line block ×4, first 2 shown]
	v_mul_f32_e32 v14, v36, v14
	v_mul_f32_e32 v15, v36, v15
	;; [unrolled: 1-line block ×4, first 2 shown]
	s_waitcnt vmcnt(0)
	v_mul_f32_e32 v14, v38, v14
	v_mul_f32_e32 v15, v39, v15
	;; [unrolled: 1-line block ×4, first 2 shown]
	v_max3_f32 v5, v5, |v14|, |v15|
	v_max3_f32 v5, v5, |v27|, |v28|
                                        ; implicit-def: $vgpr14_vgpr15
	s_and_saveexec_b64 s[40:41], vcc
	s_xor_b64 s[40:41], exec, s[40:41]
	s_cbranch_execz .LBB30_18
; %bb.24:                               ;   in Loop: Header=BB30_21 Depth=1
	v_mov_b32_e32 v27, s31
	v_add_co_u32_e32 v14, vcc, s30, v18
	v_addc_co_u32_e32 v15, vcc, v19, v27, vcc
	global_load_dwordx4 v[28:31], v[14:15], off
	v_add_co_u32_e32 v14, vcc, s30, v22
	v_addc_co_u32_e32 v15, vcc, v23, v27, vcc
	global_load_dwordx4 v[32:35], v[14:15], off
	v_add_co_u32_e32 v14, vcc, s30, v20
	v_addc_co_u32_e32 v15, vcc, v21, v27, vcc
	global_load_dwordx4 v[18:21], v[14:15], off
	s_add_u32 s42, s16, s16
	s_addc_u32 s43, s17, s17
	v_mov_b32_e32 v14, s25
	v_add_co_u32_e32 v12, vcc, s24, v12
	s_add_u32 s42, s42, s16
	v_addc_co_u32_e32 v1, vcc, v1, v14, vcc
	s_addc_u32 s43, s43, s17
	v_mov_b32_e32 v15, s43
	v_add_co_u32_e32 v14, vcc, s42, v16
	v_addc_co_u32_e32 v15, vcc, v15, v17, vcc
	v_cmp_ge_i64_e32 vcc, v[14:15], v[10:11]
	s_orn2_b64 s[42:43], vcc, exec
	s_waitcnt vmcnt(1)
	v_add_f32_e32 v16, v28, v32
	v_add_f32_e32 v17, v29, v33
	;; [unrolled: 1-line block ×4, first 2 shown]
	v_mul_f32_e32 v16, v36, v16
	v_mul_f32_e32 v17, v36, v17
	;; [unrolled: 1-line block ×4, first 2 shown]
	s_waitcnt vmcnt(0)
	v_mul_f32_e32 v16, v18, v16
	v_mul_f32_e32 v17, v19, v17
	;; [unrolled: 1-line block ×4, first 2 shown]
	v_max3_f32 v5, v5, |v16|, |v17|
	v_max3_f32 v5, v5, |v18|, |v19|
	s_branch .LBB30_18
.LBB30_25:
	s_or_b64 exec, exec, s[28:29]
.LBB30_26:
	s_or_b64 exec, exec, s[22:23]
	s_lshr_b32 s13, s47, 6
	v_cvt_f32_u32_e32 v10, s13
	v_lshlrev_b32_e32 v1, 2, v0
	ds_write_b32 v1, v5
	s_sub_i32 s23, 0, s13
	v_rcp_iflag_f32_e32 v5, v10
	s_add_i32 s3, s2, s13
	s_add_i32 s3, s3, -1
	s_ashr_i32 s22, s3, 31
	v_mul_f32_e32 v5, 0x4f7ffffe, v5
	v_cvt_u32_f32_e32 v5, v5
	s_abs_i32 s3, s3
	s_waitcnt lgkmcnt(0)
	s_barrier
	v_readfirstlane_b32 s24, v5
	s_mul_i32 s23, s23, s24
	s_mul_hi_u32 s23, s24, s23
	s_add_i32 s24, s24, s23
	s_mul_hi_u32 s23, s3, s24
	s_mul_i32 s24, s23, s13
	s_sub_i32 s3, s3, s24
	s_add_i32 s24, s23, 1
	s_sub_i32 s25, s3, s13
	s_cmp_ge_u32 s3, s13
	s_cselect_b32 s23, s24, s23
	s_cselect_b32 s3, s25, s3
	s_add_i32 s24, s23, 1
	s_cmp_ge_u32 s3, s13
	s_cselect_b32 s3, s24, s23
	s_xor_b32 s3, s3, s22
	s_sub_i32 s22, s3, s22
	s_ashr_i32 s23, s22, 31
	v_cmp_lt_i64_e64 s[24:25], s[22:23], 1
	s_and_b64 vcc, exec, s[24:25]
	s_cbranch_vccnz .LBB30_48
; %bb.27:
	v_and_b32_e32 v12, 63, v0
	v_add_co_u32_e32 v14, vcc, 32, v12
	v_addc_co_u32_e64 v15, s[24:25], 0, 0, vcc
	v_add_co_u32_e32 v16, vcc, 16, v12
	v_addc_co_u32_e64 v17, s[24:25], 0, 0, vcc
	;; [unrolled: 2-line block ×4, first 2 shown]
	v_add_co_u32_e32 v22, vcc, 2, v12
	v_lshrrev_b32_e32 v10, 6, v0
	v_addc_co_u32_e64 v23, s[24:25], 0, 0, vcc
	v_add_co_u32_e32 v24, vcc, 1, v12
	v_addc_co_u32_e64 v25, s[24:25], 0, 0, vcc
	v_mul_lo_u32 v5, s16, v10
	v_lshlrev_b32_e32 v5, 2, v5
	v_lshlrev_b32_e32 v26, 2, v12
	s_movk_i32 s24, 0x100
	v_mov_b32_e32 v11, 0
	v_add3_u32 v5, v5, v26, s24
	s_mul_i32 s24, s16, s13
	s_ashr_i32 s3, s2, 31
	v_mov_b32_e32 v13, v11
	s_lshl_b32 s36, s24, 2
	s_mov_b64 s[24:25], 0
	v_mov_b32_e32 v37, s13
	s_mov_b64 s[26:27], src_shared_base
	s_branch .LBB30_30
.LBB30_28:                              ;   in Loop: Header=BB30_30 Depth=1
	s_or_b64 exec, exec, s[30:31]
	v_mov_b32_e32 v27, s27
	flat_load_dword v26, v[26:27] glc
	s_waitcnt vmcnt(0)
.LBB30_29:                              ;   in Loop: Header=BB30_30 Depth=1
	s_or_b64 exec, exec, s[28:29]
	s_add_u32 s24, s24, 1
	s_addc_u32 s25, s25, 0
	s_cmp_eq_u64 s[24:25], s[22:23]
	v_add_u32_e32 v5, s36, v5
	s_cbranch_scc1 .LBB30_48
.LBB30_30:                              ; =>This Loop Header: Depth=1
                                        ;     Child Loop BB30_33 Depth 2
	v_mad_u64_u32 v[30:31], s[28:29], s24, v37, v[10:11]
	s_mul_i32 s26, s25, s13
	v_add_u32_e32 v31, s26, v31
	v_cmp_gt_i64_e32 vcc, s[2:3], v[30:31]
	s_and_saveexec_b64 s[28:29], vcc
	s_cbranch_execz .LBB30_29
; %bb.31:                               ;   in Loop: Header=BB30_30 Depth=1
	v_pk_mov_b32 v[32:33], s[16:17], s[16:17] op_sel:[0,1]
	v_mul_lo_u32 v29, v31, s16
	v_mul_lo_u32 v38, v30, s17
	v_mad_u64_u32 v[32:33], s[30:31], v30, s16, v[32:33]
	v_add3_u32 v33, v29, v33, v38
	v_mov_b32_e32 v28, s21
	v_cmp_gt_i64_e32 vcc, s[20:21], v[32:33]
	s_waitcnt lgkmcnt(0)
	v_mad_u64_u32 v[26:27], s[30:31], v30, s16, v[12:13]
	v_cndmask_b32_e32 v33, v28, v33, vcc
	v_mov_b32_e32 v28, s20
	v_add3_u32 v27, v29, v27, v38
	v_cndmask_b32_e32 v32, v28, v32, vcc
	v_add_co_u32_e32 v34, vcc, 64, v26
	v_addc_co_u32_e32 v35, vcc, 0, v27, vcc
	v_cmp_lt_i64_e32 vcc, v[34:35], v[32:33]
	v_lshlrev_b32_e32 v28, 2, v26
	s_and_saveexec_b64 s[30:31], vcc
	s_cbranch_execz .LBB30_34
; %bb.32:                               ;   in Loop: Header=BB30_30 Depth=1
	ds_read_b32 v31, v28
	s_mov_b64 s[34:35], 0
	v_mov_b32_e32 v27, v5
.LBB30_33:                              ;   Parent Loop BB30_30 Depth=1
                                        ; =>  This Inner Loop Header: Depth=2
	ds_read_b32 v39, v27
	v_add_co_u32_e32 v34, vcc, 64, v34
	v_addc_co_u32_e32 v35, vcc, 0, v35, vcc
	s_waitcnt lgkmcnt(1)
	v_max_f32_e32 v31, v31, v31
	v_cmp_ge_i64_e32 vcc, v[34:35], v[32:33]
	s_waitcnt lgkmcnt(0)
	v_max_f32_e32 v39, v39, v39
	v_add_u32_e32 v27, 0x100, v27
	s_or_b64 s[34:35], vcc, s[34:35]
	v_max_f32_e32 v31, v31, v39
	ds_write_b32 v28, v31
	s_andn2_b64 exec, exec, s[34:35]
	s_cbranch_execnz .LBB30_33
.LBB30_34:                              ;   in Loop: Header=BB30_30 Depth=1
	s_or_b64 exec, exec, s[30:31]
	v_mad_u64_u32 v[30:31], s[30:31], v30, s16, 0
	v_add3_u32 v27, v31, v38, v29
	v_sub_co_u32_e32 v30, vcc, v32, v30
	v_subb_co_u32_e32 v31, vcc, v33, v27, vcc
	v_cmp_gt_i64_e32 vcc, 64, v[30:31]
	v_cndmask_b32_e32 v31, 0, v31, vcc
	v_cndmask_b32_e32 v30, 64, v30, vcc
	v_cmp_lt_i64_e32 vcc, v[14:15], v[30:31]
	s_and_saveexec_b64 s[30:31], vcc
	s_cbranch_execnz .LBB30_46
; %bb.35:                               ;   in Loop: Header=BB30_30 Depth=1
	s_or_b64 exec, exec, s[30:31]
	v_cmp_lt_i64_e32 vcc, v[16:17], v[30:31]
	s_and_saveexec_b64 s[30:31], vcc
	s_cbranch_execnz .LBB30_47
.LBB30_36:                              ;   in Loop: Header=BB30_30 Depth=1
	s_or_b64 exec, exec, s[30:31]
	v_cmp_lt_i64_e32 vcc, v[18:19], v[30:31]
	s_and_saveexec_b64 s[30:31], vcc
	s_cbranch_execz .LBB30_38
.LBB30_37:                              ;   in Loop: Header=BB30_30 Depth=1
	v_mov_b32_e32 v29, s27
	v_add_u32_e32 v32, 32, v28
	v_mov_b32_e32 v33, s27
	flat_load_dword v27, v[28:29] glc
	s_waitcnt vmcnt(0)
	flat_load_dword v34, v[32:33] glc
	s_waitcnt vmcnt(0) lgkmcnt(0)
	v_max_f32_e32 v27, v27, v27
	v_max_f32_e32 v32, v34, v34
	v_max_f32_e32 v27, v27, v32
	flat_store_dword v[28:29], v27
	s_waitcnt vmcnt(0)
.LBB30_38:                              ;   in Loop: Header=BB30_30 Depth=1
	s_or_b64 exec, exec, s[30:31]
	v_cmp_ge_i64_e32 vcc, v[20:21], v[30:31]
	s_and_saveexec_b64 s[30:31], vcc
	s_xor_b64 s[30:31], exec, s[30:31]
; %bb.39:                               ;   in Loop: Header=BB30_30 Depth=1
                                        ; implicit-def: $vgpr28
; %bb.40:                               ;   in Loop: Header=BB30_30 Depth=1
	s_andn2_saveexec_b64 s[30:31], s[30:31]
	s_cbranch_execz .LBB30_42
; %bb.41:                               ;   in Loop: Header=BB30_30 Depth=1
	v_mov_b32_e32 v29, s27
	v_add_u32_e32 v32, 16, v28
	v_mov_b32_e32 v33, s27
	flat_load_dword v27, v[28:29] glc
	s_waitcnt vmcnt(0)
	flat_load_dword v34, v[32:33] glc
	s_waitcnt vmcnt(0) lgkmcnt(0)
	v_max_f32_e32 v27, v27, v27
	v_max_f32_e32 v32, v34, v34
	;; [unrolled: 1-line block ×3, first 2 shown]
	flat_store_dword v[28:29], v27
	s_waitcnt vmcnt(0)
.LBB30_42:                              ;   in Loop: Header=BB30_30 Depth=1
	s_or_b64 exec, exec, s[30:31]
	v_cmp_lt_i64_e32 vcc, v[22:23], v[30:31]
	v_lshlrev_b32_e32 v26, 2, v26
	s_and_saveexec_b64 s[30:31], vcc
	s_cbranch_execz .LBB30_44
; %bb.43:                               ;   in Loop: Header=BB30_30 Depth=1
	v_mov_b32_e32 v27, s27
	v_add_u32_e32 v28, 8, v26
	v_mov_b32_e32 v29, s27
	flat_load_dword v32, v[26:27] glc
	s_waitcnt vmcnt(0)
	flat_load_dword v33, v[28:29] glc
	s_waitcnt vmcnt(0) lgkmcnt(0)
	v_max_f32_e32 v28, v32, v32
	v_max_f32_e32 v29, v33, v33
	;; [unrolled: 1-line block ×3, first 2 shown]
	flat_store_dword v[26:27], v28
	s_waitcnt vmcnt(0)
.LBB30_44:                              ;   in Loop: Header=BB30_30 Depth=1
	s_or_b64 exec, exec, s[30:31]
	v_cmp_lt_i64_e32 vcc, v[24:25], v[30:31]
	s_and_saveexec_b64 s[30:31], vcc
	s_cbranch_execz .LBB30_28
; %bb.45:                               ;   in Loop: Header=BB30_30 Depth=1
	v_mov_b32_e32 v27, s27
	v_add_u32_e32 v28, 4, v26
	v_mov_b32_e32 v29, s27
	flat_load_dword v30, v[26:27] glc
	s_waitcnt vmcnt(0)
	flat_load_dword v31, v[28:29] glc
	s_waitcnt vmcnt(0) lgkmcnt(0)
	v_max_f32_e32 v28, v30, v30
	v_max_f32_e32 v29, v31, v31
	;; [unrolled: 1-line block ×3, first 2 shown]
	flat_store_dword v[26:27], v28
	s_waitcnt vmcnt(0)
	s_branch .LBB30_28
.LBB30_46:                              ;   in Loop: Header=BB30_30 Depth=1
	v_mov_b32_e32 v29, s27
	v_add_u32_e32 v32, 0x80, v28
	v_mov_b32_e32 v33, s27
	flat_load_dword v27, v[28:29] glc
	s_waitcnt vmcnt(0)
	flat_load_dword v34, v[32:33] glc
	s_waitcnt vmcnt(0) lgkmcnt(0)
	v_max_f32_e32 v27, v27, v27
	v_max_f32_e32 v32, v34, v34
	;; [unrolled: 1-line block ×3, first 2 shown]
	flat_store_dword v[28:29], v27
	s_waitcnt vmcnt(0)
	s_or_b64 exec, exec, s[30:31]
	v_cmp_lt_i64_e32 vcc, v[16:17], v[30:31]
	s_and_saveexec_b64 s[30:31], vcc
	s_cbranch_execz .LBB30_36
.LBB30_47:                              ;   in Loop: Header=BB30_30 Depth=1
	v_mov_b32_e32 v29, s27
	v_add_u32_e32 v32, 64, v28
	v_mov_b32_e32 v33, s27
	flat_load_dword v27, v[28:29] glc
	s_waitcnt vmcnt(0)
	flat_load_dword v34, v[32:33] glc
	s_waitcnt vmcnt(0) lgkmcnt(0)
	v_max_f32_e32 v27, v27, v27
	v_max_f32_e32 v32, v34, v34
	;; [unrolled: 1-line block ×3, first 2 shown]
	flat_store_dword v[28:29], v27
	s_waitcnt vmcnt(0)
	s_or_b64 exec, exec, s[30:31]
	v_cmp_lt_i64_e32 vcc, v[18:19], v[30:31]
	s_and_saveexec_b64 s[30:31], vcc
	s_cbranch_execnz .LBB30_37
	s_branch .LBB30_38
.LBB30_48:
	s_load_dwordx2 s[16:17], s[4:5], 0x40
	v_cmp_eq_u32_e32 vcc, 0, v4
	v_cmp_lt_i64_e64 s[2:3], v[6:7], v[8:9]
	s_and_b64 s[2:3], vcc, s[2:3]
	s_waitcnt lgkmcnt(0)
	s_barrier
	s_and_saveexec_b64 s[20:21], s[2:3]
	s_cbranch_execz .LBB30_55
; %bb.49:
	s_load_dwordx2 s[2:3], s[4:5], 0x20
	ds_read_b32 v1, v1
	s_waitcnt lgkmcnt(0)
	s_cmp_eq_u64 s[2:3], 0
	s_cbranch_scc1 .LBB30_51
; %bb.50:
	s_load_dword s2, s[2:3], 0x0
	v_max_f32_e32 v1, v1, v1
	s_waitcnt lgkmcnt(0)
	v_max_f32_e64 v4, s2, s2
	v_min_f32_e32 v1, v1, v4
.LBB30_51:
	s_add_u32 s3, s16, s48
	s_addc_u32 s4, s17, 0
	s_add_u32 s22, s3, -1
	s_addc_u32 s23, s4, -1
	s_or_b64 s[4:5], s[22:23], s[16:17]
	s_mov_b32 s2, 0
	s_mov_b32 s3, s5
	s_cmp_lg_u64 s[2:3], 0
	s_mov_b64 s[24:25], -1
	s_cbranch_scc0 .LBB30_164
; %bb.52:
	s_ashr_i32 s2, s17, 31
	s_add_u32 s4, s16, s2
	s_mov_b32 s3, s2
	s_addc_u32 s5, s17, s2
	s_xor_b64 s[26:27], s[4:5], s[2:3]
	v_cvt_f32_u32_e32 v4, s26
	v_cvt_f32_u32_e32 v5, s27
	s_sub_u32 s2, 0, s26
	s_subb_u32 s3, 0, s27
	v_madmk_f32 v4, v5, 0x4f800000, v4
	v_rcp_f32_e32 v4, v4
	v_mul_f32_e32 v4, 0x5f7ffffc, v4
	v_mul_f32_e32 v5, 0x2f800000, v4
	v_trunc_f32_e32 v5, v5
	v_madmk_f32 v4, v5, 0xcf800000, v4
	v_cvt_u32_f32_e32 v5, v5
	v_cvt_u32_f32_e32 v4, v4
	v_readfirstlane_b32 s4, v5
	v_readfirstlane_b32 s5, v4
	s_mul_i32 s13, s2, s4
	s_mul_hi_u32 s29, s2, s5
	s_mul_i32 s28, s3, s5
	s_add_i32 s13, s29, s13
	s_add_i32 s13, s13, s28
	s_mul_i32 s30, s2, s5
	s_mul_hi_u32 s28, s5, s13
	s_mul_i32 s29, s5, s13
	s_mul_hi_u32 s5, s5, s30
	s_add_u32 s5, s5, s29
	s_addc_u32 s28, 0, s28
	s_mul_hi_u32 s31, s4, s30
	s_mul_i32 s30, s4, s30
	s_add_u32 s5, s5, s30
	s_mul_hi_u32 s29, s4, s13
	s_addc_u32 s5, s28, s31
	s_addc_u32 s28, s29, 0
	s_mul_i32 s13, s4, s13
	s_add_u32 s5, s5, s13
	s_addc_u32 s13, 0, s28
	v_add_co_u32_e32 v4, vcc, s5, v4
	s_cmp_lg_u64 vcc, 0
	s_addc_u32 s4, s4, s13
	v_readfirstlane_b32 s13, v4
	s_mul_i32 s5, s2, s4
	s_mul_hi_u32 s28, s2, s13
	s_add_i32 s5, s28, s5
	s_mul_i32 s3, s3, s13
	s_add_i32 s5, s5, s3
	s_mul_i32 s2, s2, s13
	s_mul_hi_u32 s28, s4, s2
	s_mul_i32 s29, s4, s2
	s_mul_i32 s31, s13, s5
	s_mul_hi_u32 s2, s13, s2
	s_mul_hi_u32 s30, s13, s5
	s_add_u32 s2, s2, s31
	s_addc_u32 s13, 0, s30
	s_add_u32 s2, s2, s29
	s_mul_hi_u32 s3, s4, s5
	s_addc_u32 s2, s13, s28
	s_addc_u32 s3, s3, 0
	s_mul_i32 s5, s4, s5
	s_add_u32 s2, s2, s5
	s_addc_u32 s3, 0, s3
	v_add_co_u32_e32 v4, vcc, s2, v4
	s_cmp_lg_u64 vcc, 0
	s_addc_u32 s4, s4, s3
	s_ashr_i32 s28, s23, 31
	s_add_u32 s2, s22, s28
	s_mov_b32 s29, s28
	s_addc_u32 s3, s23, s28
	s_xor_b64 s[30:31], s[2:3], s[28:29]
	v_readfirstlane_b32 s5, v4
	s_mul_i32 s3, s30, s4
	s_mul_hi_u32 s13, s30, s5
	s_mul_hi_u32 s2, s30, s4
	s_add_u32 s3, s13, s3
	s_addc_u32 s2, 0, s2
	s_mul_hi_u32 s29, s31, s5
	s_mul_i32 s5, s31, s5
	s_add_u32 s3, s3, s5
	s_mul_hi_u32 s13, s31, s4
	s_addc_u32 s2, s2, s29
	s_addc_u32 s3, s13, 0
	s_mul_i32 s4, s31, s4
	s_add_u32 s2, s2, s4
	s_addc_u32 s3, 0, s3
	s_mul_i32 s3, s26, s3
	s_mul_hi_u32 s4, s26, s2
	s_add_i32 s3, s4, s3
	s_mul_i32 s4, s27, s2
	s_mul_i32 s2, s26, s2
	s_add_i32 s13, s3, s4
	v_mov_b32_e32 v4, s2
	s_sub_i32 s3, s31, s13
	v_sub_co_u32_e32 v4, vcc, s30, v4
	s_cmp_lg_u64 vcc, 0
	s_subb_u32 s29, s3, s27
	v_subrev_co_u32_e64 v5, s[2:3], s26, v4
	s_cmp_lg_u64 s[2:3], 0
	s_subb_u32 s30, s29, 0
	s_cmp_ge_u32 s30, s27
	s_cselect_b32 s34, -1, 0
	v_cmp_le_u32_e64 s[4:5], s26, v5
	s_cmp_eq_u32 s30, s27
	v_cndmask_b32_e64 v6, 0, -1, s[4:5]
	v_mov_b32_e32 v7, s34
	s_cselect_b64 s[4:5], -1, 0
	s_cmp_lg_u64 s[2:3], 0
	v_cndmask_b32_e64 v6, v7, v6, s[4:5]
	s_subb_u32 s4, s29, s27
	v_subrev_co_u32_e64 v7, s[2:3], s26, v5
	s_cmp_lg_u64 s[2:3], 0
	s_subb_u32 s4, s4, 0
	v_cmp_ne_u32_e64 s[2:3], 0, v6
	v_cndmask_b32_e64 v5, v5, v7, s[2:3]
	v_mov_b32_e32 v6, s30
	v_mov_b32_e32 v7, s4
	s_cmp_lg_u64 vcc, 0
	v_cndmask_b32_e64 v6, v6, v7, s[2:3]
	s_subb_u32 s2, s31, s13
	s_cmp_ge_u32 s2, s27
	s_cselect_b32 s3, -1, 0
	v_cmp_le_u32_e32 vcc, s26, v4
	s_cmp_eq_u32 s2, s27
	v_cndmask_b32_e64 v7, 0, -1, vcc
	v_mov_b32_e32 v8, s3
	s_cselect_b64 vcc, -1, 0
	v_cndmask_b32_e32 v7, v8, v7, vcc
	v_cmp_ne_u32_e32 vcc, 0, v7
	v_mov_b32_e32 v8, s2
	v_cndmask_b32_e32 v4, v4, v5, vcc
	v_cndmask_b32_e32 v6, v8, v6, vcc
	v_xor_b32_e32 v4, s28, v4
	v_xor_b32_e32 v5, s28, v6
	v_mov_b32_e32 v6, s28
	v_subrev_co_u32_e32 v4, vcc, s28, v4
	v_subb_co_u32_e32 v5, vcc, v5, v6, vcc
	s_cbranch_execnz .LBB30_54
.LBB30_53:
	v_cvt_f32_u32_e32 v4, s16
	s_sub_i32 s2, 0, s16
	v_rcp_iflag_f32_e32 v4, v4
	v_mul_f32_e32 v4, 0x4f7ffffe, v4
	v_cvt_u32_f32_e32 v4, v4
	v_mul_lo_u32 v5, s2, v4
	v_mul_hi_u32 v5, v4, v5
	v_add_u32_e32 v4, v4, v5
	v_mul_hi_u32 v4, s22, v4
	v_mul_lo_u32 v4, v4, s16
	v_sub_u32_e32 v4, s22, v4
	v_subrev_u32_e32 v5, s16, v4
	v_cmp_le_u32_e32 vcc, s16, v4
	v_cndmask_b32_e32 v4, v4, v5, vcc
	v_subrev_u32_e32 v5, s16, v4
	v_cmp_le_u32_e32 vcc, s16, v4
	v_cndmask_b32_e32 v4, v4, v5, vcc
	v_mov_b32_e32 v5, 0
.LBB30_54:
	s_mov_b32 s4, 0x43e00000
	v_div_scale_f32 v6, s[2:3], s4, s4, v1
	v_rcp_f32_e32 v7, v6
	v_div_scale_f32 v8, vcc, v1, s4, v1
	v_fma_f32 v9, -v6, v7, 1.0
	v_fmac_f32_e32 v7, v9, v7
	v_mul_f32_e32 v9, v8, v7
	v_fma_f32 v10, -v6, v9, v8
	v_fmac_f32_e32 v9, v10, v7
	v_fma_f32 v6, -v6, v9, v8
	v_div_fmas_f32 v6, v6, v7, v9
	v_div_fixup_f32 v1, v6, s4, v1
	v_mov_b32_e32 v6, s23
	v_sub_co_u32_e32 v4, vcc, s22, v4
	v_subb_co_u32_e32 v5, vcc, v6, v5, vcc
	v_mul_lo_u32 v5, v5, v2
	v_mul_lo_u32 v6, v4, v3
	v_mad_u64_u32 v[2:3], s[2:3], v4, v2, 0
	s_lshl_b64 s[2:3], s[6:7], 2
	v_add3_u32 v3, v3, v6, v5
	s_add_u32 s2, s2, s10
	v_lshlrev_b64 v[2:3], 2, v[2:3]
	s_addc_u32 s3, s3, s11
	v_mov_b32_e32 v4, s3
	v_add_co_u32_e32 v2, vcc, s2, v2
	v_max_f32_e32 v1, 0x36924925, v1
	v_addc_co_u32_e32 v3, vcc, v4, v3, vcc
	global_store_dword v[2:3], v1, off
.LBB30_55:
	s_or_b64 exec, exec, s[20:21]
	s_barrier
	s_and_saveexec_b64 s[2:3], s[0:1]
	s_cbranch_execz .LBB30_163
; %bb.56:
	s_add_u32 s1, s16, s48
	s_addc_u32 s2, s17, 0
	s_add_u32 s4, s1, -1
	s_addc_u32 s5, s2, -1
	s_or_b64 s[2:3], s[4:5], s[16:17]
	s_mov_b32 s0, 0
	s_mov_b32 s1, s3
	s_cmp_lg_u64 s[0:1], 0
	s_mov_b64 s[20:21], -1
	s_cbranch_scc0 .LBB30_165
; %bb.57:
	s_ashr_i32 s0, s17, 31
	s_add_u32 s2, s16, s0
	s_mov_b32 s1, s0
	s_addc_u32 s3, s17, s0
	s_xor_b64 s[22:23], s[2:3], s[0:1]
	v_cvt_f32_u32_e32 v1, s22
	v_cvt_f32_u32_e32 v2, s23
	s_sub_u32 s0, 0, s22
	s_subb_u32 s1, 0, s23
	v_madmk_f32 v1, v2, 0x4f800000, v1
	v_rcp_f32_e32 v1, v1
	v_mul_f32_e32 v1, 0x5f7ffffc, v1
	v_mul_f32_e32 v2, 0x2f800000, v1
	v_trunc_f32_e32 v2, v2
	v_madmk_f32 v1, v2, 0xcf800000, v1
	v_cvt_u32_f32_e32 v2, v2
	v_cvt_u32_f32_e32 v1, v1
	v_readfirstlane_b32 s2, v2
	v_readfirstlane_b32 s3, v1
	s_mul_i32 s13, s0, s2
	s_mul_hi_u32 s24, s0, s3
	s_mul_i32 s17, s1, s3
	s_add_i32 s13, s24, s13
	s_add_i32 s13, s13, s17
	s_mul_i32 s25, s0, s3
	s_mul_hi_u32 s17, s3, s13
	s_mul_i32 s24, s3, s13
	s_mul_hi_u32 s3, s3, s25
	s_add_u32 s3, s3, s24
	s_addc_u32 s17, 0, s17
	s_mul_hi_u32 s26, s2, s25
	s_mul_i32 s25, s2, s25
	s_add_u32 s3, s3, s25
	s_mul_hi_u32 s24, s2, s13
	s_addc_u32 s3, s17, s26
	s_addc_u32 s17, s24, 0
	s_mul_i32 s13, s2, s13
	s_add_u32 s3, s3, s13
	s_addc_u32 s13, 0, s17
	v_add_co_u32_e32 v1, vcc, s3, v1
	s_cmp_lg_u64 vcc, 0
	s_addc_u32 s2, s2, s13
	v_readfirstlane_b32 s13, v1
	s_mul_i32 s3, s0, s2
	s_mul_hi_u32 s17, s0, s13
	s_add_i32 s3, s17, s3
	s_mul_i32 s1, s1, s13
	s_add_i32 s3, s3, s1
	s_mul_i32 s0, s0, s13
	s_mul_hi_u32 s17, s2, s0
	s_mul_i32 s24, s2, s0
	s_mul_i32 s26, s13, s3
	s_mul_hi_u32 s0, s13, s0
	s_mul_hi_u32 s25, s13, s3
	s_add_u32 s0, s0, s26
	s_addc_u32 s13, 0, s25
	s_add_u32 s0, s0, s24
	s_mul_hi_u32 s1, s2, s3
	s_addc_u32 s0, s13, s17
	s_addc_u32 s1, s1, 0
	s_mul_i32 s3, s2, s3
	s_add_u32 s0, s0, s3
	s_addc_u32 s1, 0, s1
	v_add_co_u32_e32 v1, vcc, s0, v1
	s_cmp_lg_u64 vcc, 0
	s_addc_u32 s2, s2, s1
	s_ashr_i32 s24, s5, 31
	s_add_u32 s0, s4, s24
	s_mov_b32 s25, s24
	s_addc_u32 s1, s5, s24
	s_xor_b64 s[26:27], s[0:1], s[24:25]
	v_readfirstlane_b32 s3, v1
	s_mul_i32 s1, s26, s2
	s_mul_hi_u32 s13, s26, s3
	s_mul_hi_u32 s0, s26, s2
	s_add_u32 s1, s13, s1
	s_addc_u32 s0, 0, s0
	s_mul_hi_u32 s17, s27, s3
	s_mul_i32 s3, s27, s3
	s_add_u32 s1, s1, s3
	s_mul_hi_u32 s13, s27, s2
	s_addc_u32 s0, s0, s17
	s_addc_u32 s1, s13, 0
	s_mul_i32 s2, s27, s2
	s_add_u32 s0, s0, s2
	s_addc_u32 s1, 0, s1
	s_mul_i32 s1, s22, s1
	s_mul_hi_u32 s2, s22, s0
	s_add_i32 s1, s2, s1
	s_mul_i32 s2, s23, s0
	s_mul_i32 s0, s22, s0
	s_add_i32 s13, s1, s2
	v_mov_b32_e32 v1, s0
	s_sub_i32 s1, s27, s13
	v_sub_co_u32_e32 v1, vcc, s26, v1
	s_cmp_lg_u64 vcc, 0
	s_subb_u32 s17, s1, s23
	v_subrev_co_u32_e64 v2, s[0:1], s22, v1
	s_cmp_lg_u64 s[0:1], 0
	s_subb_u32 s25, s17, 0
	s_cmp_ge_u32 s25, s23
	s_cselect_b32 s26, -1, 0
	v_cmp_le_u32_e64 s[2:3], s22, v2
	s_cmp_eq_u32 s25, s23
	v_cndmask_b32_e64 v3, 0, -1, s[2:3]
	v_mov_b32_e32 v4, s26
	s_cselect_b64 s[2:3], -1, 0
	s_cmp_lg_u64 s[0:1], 0
	v_cndmask_b32_e64 v3, v4, v3, s[2:3]
	s_subb_u32 s2, s17, s23
	v_subrev_co_u32_e64 v4, s[0:1], s22, v2
	s_cmp_lg_u64 s[0:1], 0
	s_subb_u32 s2, s2, 0
	v_cmp_ne_u32_e64 s[0:1], 0, v3
	v_cndmask_b32_e64 v2, v2, v4, s[0:1]
	v_mov_b32_e32 v3, s25
	v_mov_b32_e32 v4, s2
	s_cmp_lg_u64 vcc, 0
	v_cndmask_b32_e64 v3, v3, v4, s[0:1]
	s_subb_u32 s0, s27, s13
	s_cmp_ge_u32 s0, s23
	s_cselect_b32 s1, -1, 0
	v_cmp_le_u32_e32 vcc, s22, v1
	s_cmp_eq_u32 s0, s23
	v_cndmask_b32_e64 v4, 0, -1, vcc
	v_mov_b32_e32 v5, s1
	s_cselect_b64 vcc, -1, 0
	v_cndmask_b32_e32 v4, v5, v4, vcc
	v_cmp_ne_u32_e32 vcc, 0, v4
	v_mov_b32_e32 v5, s0
	v_cndmask_b32_e32 v1, v1, v2, vcc
	v_cndmask_b32_e32 v3, v5, v3, vcc
	v_xor_b32_e32 v1, s24, v1
	v_xor_b32_e32 v3, s24, v3
	v_mov_b32_e32 v4, s24
	v_subrev_co_u32_e32 v2, vcc, s24, v1
	v_subb_co_u32_e32 v3, vcc, v3, v4, vcc
	s_cbranch_execnz .LBB30_59
.LBB30_58:
	v_cvt_f32_u32_e32 v1, s16
	s_sub_i32 s0, 0, s16
	v_mov_b32_e32 v3, 0
	v_rcp_iflag_f32_e32 v1, v1
	v_mul_f32_e32 v1, 0x4f7ffffe, v1
	v_cvt_u32_f32_e32 v1, v1
	v_mul_lo_u32 v2, s0, v1
	v_mul_hi_u32 v2, v1, v2
	v_add_u32_e32 v1, v1, v2
	v_mul_hi_u32 v1, s4, v1
	v_mul_lo_u32 v1, v1, s16
	v_sub_u32_e32 v1, s4, v1
	v_subrev_u32_e32 v2, s16, v1
	v_cmp_le_u32_e32 vcc, s16, v1
	v_cndmask_b32_e32 v1, v1, v2, vcc
	v_subrev_u32_e32 v2, s16, v1
	v_cmp_le_u32_e32 vcc, s16, v1
	v_cndmask_b32_e32 v2, v1, v2, vcc
.LBB30_59:
	s_add_u32 s13, s8, s18
	s_addc_u32 s16, s9, s19
	s_lshl_b64 s[0:1], s[6:7], 2
	s_add_u32 s17, s10, s0
	s_addc_u32 s18, s11, s1
	v_mov_b32_e32 v1, s5
	v_sub_co_u32_e32 v14, vcc, s4, v2
	v_subb_co_u32_e32 v15, vcc, v1, v3, vcc
	s_mul_i32 s19, s47, 3
	s_lshl_b32 s20, s47, 1
	s_mov_b64 s[0:1], 0
	v_mov_b32_e32 v1, 0
	v_mov_b32_e32 v16, s44
	v_mov_b32_e32 v17, s15
	v_mov_b32_e32 v18, s46
	v_mov_b32_e32 v19, s18
	s_mov_b32 s21, 0x43f00000
	s_mov_b32 s22, 0x3c7fffff
	;; [unrolled: 1-line block ×4, first 2 shown]
	s_movk_i32 s25, 0x80
	s_movk_i32 s26, 0xff
	s_branch .LBB30_65
.LBB30_60:                              ;   in Loop: Header=BB30_65 Depth=1
	s_or_b64 exec, exec, s[10:11]
.LBB30_61:                              ;   in Loop: Header=BB30_65 Depth=1
	s_or_b64 exec, exec, s[8:9]
	v_and_b32_sdwa v12, v8, s25 dst_sel:DWORD dst_unused:UNUSED_PAD src0_sel:BYTE_3 src1_sel:DWORD
	v_lshlrev_b64 v[8:9], 2, v[0:1]
	v_and_b32_sdwa v3, v3, s25 dst_sel:DWORD dst_unused:UNUSED_PAD src0_sel:BYTE_3 src1_sel:DWORD
	v_mov_b32_e32 v0, s16
	v_add_co_u32_e32 v8, vcc, s13, v8
	v_and_or_b32 v4, v4, s26, v12
	v_lshrrev_b32_e32 v6, 24, v6
	v_addc_co_u32_e32 v9, vcc, v0, v9, vcc
	v_lshlrev_b32_e32 v0, 24, v7
	v_and_b32_e32 v5, 0x80000000, v5
	v_lshlrev_b32_e32 v4, 16, v4
	v_and_or_b32 v3, v11, s26, v3
	v_and_b32_e32 v2, 0xff, v2
	v_or3_b32 v0, v5, v0, v4
	v_lshlrev_b32_e32 v3, 8, v3
	v_and_or_b32 v2, v6, s25, v2
	s_add_i32 s8, s47, s47
	v_or3_b32 v0, v0, v3, v2
	s_add_i32 s8, s8, s47
	global_store_dword v[8:9], v0, off
	v_add_u32_e32 v0, s8, v10
	v_cmp_le_u32_e32 vcc, s12, v0
	s_orn2_b64 s[8:9], vcc, exec
.LBB30_62:                              ;   in Loop: Header=BB30_65 Depth=1
	s_or_b64 exec, exec, s[6:7]
	s_orn2_b64 s[6:7], s[8:9], exec
.LBB30_63:                              ;   in Loop: Header=BB30_65 Depth=1
	s_or_b64 exec, exec, s[4:5]
	s_orn2_b64 s[4:5], s[6:7], exec
.LBB30_64:                              ;   in Loop: Header=BB30_65 Depth=1
	s_or_b64 exec, exec, s[2:3]
	s_and_b64 s[2:3], exec, s[4:5]
	s_or_b64 s[0:1], s[2:3], s[0:1]
	s_andn2_b64 exec, exec, s[0:1]
	s_cbranch_execz .LBB30_163
.LBB30_65:                              ; =>This Inner Loop Header: Depth=1
	v_lshlrev_b64 v[6:7], 4, v[0:1]
	v_add_co_u32_e32 v10, vcc, s33, v6
	v_addc_co_u32_e32 v11, vcc, v16, v7, vcc
	v_add_co_u32_e32 v2, vcc, s14, v6
	v_addc_co_u32_e32 v3, vcc, v17, v7, vcc
	v_add_co_u32_e32 v12, vcc, s45, v6
	v_bfe_u32 v25, v0, 4, 26
	global_load_dwordx4 v[2:5], v[2:3], off
	v_addc_co_u32_e32 v13, vcc, v18, v7, vcc
	global_load_dwordx4 v[6:9], v[10:11], off
	global_load_dwordx4 v[20:23], v[12:13], off
	v_mad_u64_u32 v[10:11], s[2:3], v14, v25, 0
	v_mov_b32_e32 v24, v11
	v_mad_u64_u32 v[24:25], s[2:3], v15, v25, v[24:25]
	v_mov_b32_e32 v11, v24
	v_lshlrev_b64 v[10:11], 2, v[10:11]
	v_add_co_u32_e32 v10, vcc, s17, v10
	v_addc_co_u32_e32 v11, vcc, v19, v11, vcc
	global_load_dword v11, v[10:11], off
	v_mov_b32_e32 v10, 0x7f
	s_waitcnt vmcnt(1)
	v_pk_add_f32 v[6:7], v[6:7], v[20:21]
	v_mul_f32_e32 v20, v36, v6
	v_mul_f32_e32 v2, v2, v20
	v_pk_add_f32 v[8:9], v[8:9], v[22:23]
	global_store_dwordx4 v[12:13], v[6:9], off
	s_waitcnt vmcnt(1)
	v_div_scale_f32 v20, s[2:3], v11, v11, v2
	v_rcp_f32_e32 v21, v20
	v_div_scale_f32 v6, vcc, v2, v11, v2
	v_fma_f32 v12, -v20, v21, 1.0
	v_fmac_f32_e32 v21, v12, v21
	v_mul_f32_e32 v12, v6, v21
	v_fma_f32 v13, -v20, v12, v6
	v_fmac_f32_e32 v12, v13, v21
	v_fma_f32 v6, -v20, v12, v6
	v_div_fmas_f32 v6, v6, v21, v12
	v_div_fixup_f32 v2, v6, v11, v2
	v_min_f32_e32 v2, 0x43e00000, v2
	v_max_f32_e32 v6, 0xc3e00000, v2
	v_and_b32_e32 v12, 0x7fffffff, v6
	v_cmp_gt_u32_e32 vcc, s21, v12
	v_mov_b32_e32 v2, 0x7f
	s_and_saveexec_b64 s[2:3], vcc
	s_cbranch_execz .LBB30_71
; %bb.66:                               ;   in Loop: Header=BB30_65 Depth=1
	v_cmp_lt_u32_e32 vcc, s22, v12
                                        ; implicit-def: $vgpr2
	s_and_saveexec_b64 s[4:5], vcc
	s_xor_b64 s[4:5], exec, s[4:5]
; %bb.67:                               ;   in Loop: Header=BB30_65 Depth=1
	v_bfe_u32 v2, v6, 20, 1
	v_add3_u32 v2, v6, v2, s23
	v_lshrrev_b32_e32 v2, 20, v2
; %bb.68:                               ;   in Loop: Header=BB30_65 Depth=1
	s_andn2_saveexec_b64 s[4:5], s[4:5]
; %bb.69:                               ;   in Loop: Header=BB30_65 Depth=1
	v_add_f32_e64 v2, |v6|, s24
; %bb.70:                               ;   in Loop: Header=BB30_65 Depth=1
	s_or_b64 exec, exec, s[4:5]
.LBB30_71:                              ;   in Loop: Header=BB30_65 Depth=1
	s_or_b64 exec, exec, s[2:3]
	v_mul_f32_e32 v7, v36, v7
	v_mul_f32_e32 v3, v3, v7
	v_div_scale_f32 v7, s[2:3], v11, v11, v3
	v_rcp_f32_e32 v12, v7
	v_div_scale_f32 v13, vcc, v3, v11, v3
	v_fma_f32 v20, -v7, v12, 1.0
	v_fmac_f32_e32 v12, v20, v12
	v_mul_f32_e32 v20, v13, v12
	v_fma_f32 v21, -v7, v20, v13
	v_fmac_f32_e32 v20, v21, v12
	v_fma_f32 v7, -v7, v20, v13
	v_div_fmas_f32 v7, v7, v12, v20
	v_div_fixup_f32 v3, v7, v11, v3
	v_min_f32_e32 v3, 0x43e00000, v3
	v_max_f32_e32 v3, 0xc3e00000, v3
	v_and_b32_e32 v7, 0x7fffffff, v3
	v_cmp_gt_u32_e32 vcc, s21, v7
	s_and_saveexec_b64 s[2:3], vcc
	s_cbranch_execz .LBB30_77
; %bb.72:                               ;   in Loop: Header=BB30_65 Depth=1
	v_cmp_lt_u32_e32 vcc, s22, v7
                                        ; implicit-def: $vgpr10
	s_and_saveexec_b64 s[4:5], vcc
	s_xor_b64 s[4:5], exec, s[4:5]
; %bb.73:                               ;   in Loop: Header=BB30_65 Depth=1
	v_bfe_u32 v7, v3, 20, 1
	v_add3_u32 v7, v3, v7, s23
	v_lshrrev_b32_e32 v10, 20, v7
; %bb.74:                               ;   in Loop: Header=BB30_65 Depth=1
	s_andn2_saveexec_b64 s[4:5], s[4:5]
; %bb.75:                               ;   in Loop: Header=BB30_65 Depth=1
	v_add_f32_e64 v10, |v3|, s24
; %bb.76:                               ;   in Loop: Header=BB30_65 Depth=1
	s_or_b64 exec, exec, s[4:5]
.LBB30_77:                              ;   in Loop: Header=BB30_65 Depth=1
	s_or_b64 exec, exec, s[2:3]
	v_mul_f32_e32 v7, v36, v8
	v_mul_f32_e32 v4, v4, v7
	v_div_scale_f32 v7, s[2:3], v11, v11, v4
	v_rcp_f32_e32 v8, v7
	v_div_scale_f32 v12, vcc, v4, v11, v4
	v_fma_f32 v13, -v7, v8, 1.0
	v_fmac_f32_e32 v8, v13, v8
	v_mul_f32_e32 v13, v12, v8
	v_fma_f32 v20, -v7, v13, v12
	v_fmac_f32_e32 v13, v20, v8
	v_fma_f32 v7, -v7, v13, v12
	v_div_fmas_f32 v7, v7, v8, v13
	v_div_fixup_f32 v4, v7, v11, v4
	v_min_f32_e32 v4, 0x43e00000, v4
	v_max_f32_e32 v8, 0xc3e00000, v4
	v_and_b32_e32 v12, 0x7fffffff, v8
	v_cmp_gt_u32_e32 vcc, s21, v12
	v_mov_b32_e32 v7, 0x7f
	v_mov_b32_e32 v4, 0x7f
	s_and_saveexec_b64 s[2:3], vcc
	s_cbranch_execz .LBB30_83
; %bb.78:                               ;   in Loop: Header=BB30_65 Depth=1
	v_cmp_lt_u32_e32 vcc, s22, v12
                                        ; implicit-def: $vgpr4
	s_and_saveexec_b64 s[4:5], vcc
	s_xor_b64 s[4:5], exec, s[4:5]
; %bb.79:                               ;   in Loop: Header=BB30_65 Depth=1
	v_bfe_u32 v4, v8, 20, 1
	v_add3_u32 v4, v8, v4, s23
	v_lshrrev_b32_e32 v4, 20, v4
; %bb.80:                               ;   in Loop: Header=BB30_65 Depth=1
	s_andn2_saveexec_b64 s[4:5], s[4:5]
; %bb.81:                               ;   in Loop: Header=BB30_65 Depth=1
	v_add_f32_e64 v4, |v8|, s24
; %bb.82:                               ;   in Loop: Header=BB30_65 Depth=1
	s_or_b64 exec, exec, s[4:5]
.LBB30_83:                              ;   in Loop: Header=BB30_65 Depth=1
	s_or_b64 exec, exec, s[2:3]
	v_mul_f32_e32 v9, v36, v9
	v_mul_f32_e32 v5, v5, v9
	v_div_scale_f32 v9, s[2:3], v11, v11, v5
	v_rcp_f32_e32 v12, v9
	v_div_scale_f32 v13, vcc, v5, v11, v5
	v_fma_f32 v20, -v9, v12, 1.0
	v_fmac_f32_e32 v12, v20, v12
	v_mul_f32_e32 v20, v13, v12
	v_fma_f32 v21, -v9, v20, v13
	v_fmac_f32_e32 v20, v21, v12
	v_fma_f32 v9, -v9, v20, v13
	v_div_fmas_f32 v9, v9, v12, v20
	v_div_fixup_f32 v5, v9, v11, v5
	v_min_f32_e32 v5, 0x43e00000, v5
	v_max_f32_e32 v5, 0xc3e00000, v5
	v_and_b32_e32 v9, 0x7fffffff, v5
	v_cmp_gt_u32_e32 vcc, s21, v9
	s_and_saveexec_b64 s[2:3], vcc
	s_cbranch_execz .LBB30_89
; %bb.84:                               ;   in Loop: Header=BB30_65 Depth=1
	v_cmp_lt_u32_e32 vcc, s22, v9
                                        ; implicit-def: $vgpr7
	s_and_saveexec_b64 s[4:5], vcc
	s_xor_b64 s[4:5], exec, s[4:5]
; %bb.85:                               ;   in Loop: Header=BB30_65 Depth=1
	v_bfe_u32 v7, v5, 20, 1
	v_add3_u32 v7, v5, v7, s23
	v_lshrrev_b32_e32 v7, 20, v7
; %bb.86:                               ;   in Loop: Header=BB30_65 Depth=1
	s_andn2_saveexec_b64 s[4:5], s[4:5]
; %bb.87:                               ;   in Loop: Header=BB30_65 Depth=1
	v_add_f32_e64 v7, |v5|, s24
; %bb.88:                               ;   in Loop: Header=BB30_65 Depth=1
	s_or_b64 exec, exec, s[4:5]
.LBB30_89:                              ;   in Loop: Header=BB30_65 Depth=1
	s_or_b64 exec, exec, s[2:3]
	v_and_b32_sdwa v11, v8, s25 dst_sel:DWORD dst_unused:UNUSED_PAD src0_sel:BYTE_3 src1_sel:DWORD
	v_and_b32_sdwa v3, v3, s25 dst_sel:DWORD dst_unused:UNUSED_PAD src0_sel:BYTE_3 src1_sel:DWORD
	v_lshlrev_b64 v[8:9], 2, v[0:1]
	v_and_or_b32 v4, v4, s26, v11
	v_lshrrev_b32_e32 v6, 24, v6
	v_mov_b32_e32 v12, s16
	v_add_co_u32_e32 v8, vcc, s13, v8
	v_lshlrev_b32_e32 v7, 24, v7
	v_and_b32_e32 v5, 0x80000000, v5
	v_lshlrev_b32_e32 v4, 16, v4
	v_and_or_b32 v3, v10, s26, v3
	v_and_b32_e32 v2, 0xff, v2
	v_addc_co_u32_e32 v9, vcc, v12, v9, vcc
	v_or3_b32 v4, v5, v7, v4
	v_lshlrev_b32_e32 v3, 8, v3
	v_and_or_b32 v2, v6, s25, v2
	v_add_u32_e32 v10, s47, v0
	v_or3_b32 v2, v4, v3, v2
	v_cmp_gt_u32_e32 vcc, s12, v10
	s_mov_b64 s[4:5], -1
	global_store_dword v[8:9], v2, off
	s_and_saveexec_b64 s[2:3], vcc
	s_cbranch_execz .LBB30_64
; %bb.90:                               ;   in Loop: Header=BB30_65 Depth=1
	v_mov_b32_e32 v11, v1
	v_lshlrev_b64 v[6:7], 4, v[10:11]
	v_mov_b32_e32 v2, s44
	v_add_co_u32_e32 v12, vcc, s33, v6
	v_addc_co_u32_e32 v13, vcc, v2, v7, vcc
	v_mov_b32_e32 v3, s15
	v_add_co_u32_e32 v2, vcc, s14, v6
	v_addc_co_u32_e32 v3, vcc, v3, v7, vcc
	v_mov_b32_e32 v8, s46
	v_add_co_u32_e32 v24, vcc, s45, v6
	v_bfe_u32 v27, v10, 4, 26
	global_load_dwordx4 v[2:5], v[2:3], off
	v_addc_co_u32_e32 v25, vcc, v8, v7, vcc
	global_load_dwordx4 v[6:9], v[12:13], off
	global_load_dwordx4 v[20:23], v[24:25], off
	v_mad_u64_u32 v[12:13], s[4:5], v14, v27, 0
	v_mov_b32_e32 v26, v13
	v_mad_u64_u32 v[26:27], s[4:5], v15, v27, v[26:27]
	v_mov_b32_e32 v13, v26
	v_lshlrev_b64 v[12:13], 2, v[12:13]
	v_mov_b32_e32 v26, s18
	v_add_co_u32_e32 v12, vcc, s17, v12
	v_addc_co_u32_e32 v13, vcc, v26, v13, vcc
	global_load_dword v13, v[12:13], off
	v_mov_b32_e32 v12, 0x7f
	s_waitcnt vmcnt(1)
	v_pk_add_f32 v[6:7], v[6:7], v[20:21]
	v_mul_f32_e32 v20, v36, v6
	v_mul_f32_e32 v2, v2, v20
	v_pk_add_f32 v[8:9], v[8:9], v[22:23]
	global_store_dwordx4 v[24:25], v[6:9], off
	s_waitcnt vmcnt(1)
	v_div_scale_f32 v20, s[4:5], v13, v13, v2
	v_rcp_f32_e32 v21, v20
	v_div_scale_f32 v6, vcc, v2, v13, v2
	v_fma_f32 v22, -v20, v21, 1.0
	v_fmac_f32_e32 v21, v22, v21
	v_mul_f32_e32 v22, v6, v21
	v_fma_f32 v23, -v20, v22, v6
	v_fmac_f32_e32 v22, v23, v21
	v_fma_f32 v6, -v20, v22, v6
	v_div_fmas_f32 v6, v6, v21, v22
	v_div_fixup_f32 v2, v6, v13, v2
	v_min_f32_e32 v2, 0x43e00000, v2
	v_max_f32_e32 v6, 0xc3e00000, v2
	v_and_b32_e32 v20, 0x7fffffff, v6
	v_cmp_gt_u32_e32 vcc, s21, v20
	v_mov_b32_e32 v2, 0x7f
	s_and_saveexec_b64 s[4:5], vcc
	s_cbranch_execz .LBB30_96
; %bb.91:                               ;   in Loop: Header=BB30_65 Depth=1
	v_cmp_lt_u32_e32 vcc, s22, v20
                                        ; implicit-def: $vgpr2
	s_and_saveexec_b64 s[6:7], vcc
	s_xor_b64 s[6:7], exec, s[6:7]
; %bb.92:                               ;   in Loop: Header=BB30_65 Depth=1
	v_bfe_u32 v2, v6, 20, 1
	v_add3_u32 v2, v6, v2, s23
	v_lshrrev_b32_e32 v2, 20, v2
; %bb.93:                               ;   in Loop: Header=BB30_65 Depth=1
	s_andn2_saveexec_b64 s[6:7], s[6:7]
; %bb.94:                               ;   in Loop: Header=BB30_65 Depth=1
	v_add_f32_e64 v2, |v6|, s24
; %bb.95:                               ;   in Loop: Header=BB30_65 Depth=1
	s_or_b64 exec, exec, s[6:7]
.LBB30_96:                              ;   in Loop: Header=BB30_65 Depth=1
	s_or_b64 exec, exec, s[4:5]
	v_mul_f32_e32 v7, v36, v7
	v_mul_f32_e32 v3, v3, v7
	v_div_scale_f32 v7, s[4:5], v13, v13, v3
	v_rcp_f32_e32 v20, v7
	v_div_scale_f32 v21, vcc, v3, v13, v3
	v_fma_f32 v22, -v7, v20, 1.0
	v_fmac_f32_e32 v20, v22, v20
	v_mul_f32_e32 v22, v21, v20
	v_fma_f32 v23, -v7, v22, v21
	v_fmac_f32_e32 v22, v23, v20
	v_fma_f32 v7, -v7, v22, v21
	v_div_fmas_f32 v7, v7, v20, v22
	v_div_fixup_f32 v3, v7, v13, v3
	v_min_f32_e32 v3, 0x43e00000, v3
	v_max_f32_e32 v3, 0xc3e00000, v3
	v_and_b32_e32 v7, 0x7fffffff, v3
	v_cmp_gt_u32_e32 vcc, s21, v7
	s_and_saveexec_b64 s[4:5], vcc
	s_cbranch_execz .LBB30_102
; %bb.97:                               ;   in Loop: Header=BB30_65 Depth=1
	v_cmp_lt_u32_e32 vcc, s22, v7
                                        ; implicit-def: $vgpr12
	s_and_saveexec_b64 s[6:7], vcc
	s_xor_b64 s[6:7], exec, s[6:7]
; %bb.98:                               ;   in Loop: Header=BB30_65 Depth=1
	v_bfe_u32 v7, v3, 20, 1
	v_add3_u32 v7, v3, v7, s23
	v_lshrrev_b32_e32 v12, 20, v7
; %bb.99:                               ;   in Loop: Header=BB30_65 Depth=1
	s_andn2_saveexec_b64 s[6:7], s[6:7]
; %bb.100:                              ;   in Loop: Header=BB30_65 Depth=1
	v_add_f32_e64 v12, |v3|, s24
; %bb.101:                              ;   in Loop: Header=BB30_65 Depth=1
	s_or_b64 exec, exec, s[6:7]
.LBB30_102:                             ;   in Loop: Header=BB30_65 Depth=1
	s_or_b64 exec, exec, s[4:5]
	v_mul_f32_e32 v7, v36, v8
	v_mul_f32_e32 v4, v4, v7
	v_div_scale_f32 v7, s[4:5], v13, v13, v4
	v_rcp_f32_e32 v8, v7
	v_div_scale_f32 v20, vcc, v4, v13, v4
	v_fma_f32 v21, -v7, v8, 1.0
	v_fmac_f32_e32 v8, v21, v8
	v_mul_f32_e32 v21, v20, v8
	v_fma_f32 v22, -v7, v21, v20
	v_fmac_f32_e32 v21, v22, v8
	v_fma_f32 v7, -v7, v21, v20
	v_div_fmas_f32 v7, v7, v8, v21
	v_div_fixup_f32 v4, v7, v13, v4
	v_min_f32_e32 v4, 0x43e00000, v4
	v_max_f32_e32 v8, 0xc3e00000, v4
	v_and_b32_e32 v20, 0x7fffffff, v8
	v_cmp_gt_u32_e32 vcc, s21, v20
	v_mov_b32_e32 v7, 0x7f
	v_mov_b32_e32 v4, 0x7f
	s_and_saveexec_b64 s[4:5], vcc
	s_cbranch_execz .LBB30_108
; %bb.103:                              ;   in Loop: Header=BB30_65 Depth=1
	v_cmp_lt_u32_e32 vcc, s22, v20
                                        ; implicit-def: $vgpr4
	s_and_saveexec_b64 s[6:7], vcc
	s_xor_b64 s[6:7], exec, s[6:7]
; %bb.104:                              ;   in Loop: Header=BB30_65 Depth=1
	v_bfe_u32 v4, v8, 20, 1
	v_add3_u32 v4, v8, v4, s23
	v_lshrrev_b32_e32 v4, 20, v4
; %bb.105:                              ;   in Loop: Header=BB30_65 Depth=1
	s_andn2_saveexec_b64 s[6:7], s[6:7]
; %bb.106:                              ;   in Loop: Header=BB30_65 Depth=1
	v_add_f32_e64 v4, |v8|, s24
; %bb.107:                              ;   in Loop: Header=BB30_65 Depth=1
	s_or_b64 exec, exec, s[6:7]
.LBB30_108:                             ;   in Loop: Header=BB30_65 Depth=1
	s_or_b64 exec, exec, s[4:5]
	v_mul_f32_e32 v9, v36, v9
	v_mul_f32_e32 v5, v5, v9
	v_div_scale_f32 v9, s[4:5], v13, v13, v5
	v_rcp_f32_e32 v20, v9
	v_div_scale_f32 v21, vcc, v5, v13, v5
	v_fma_f32 v22, -v9, v20, 1.0
	v_fmac_f32_e32 v20, v22, v20
	v_mul_f32_e32 v22, v21, v20
	v_fma_f32 v23, -v9, v22, v21
	v_fmac_f32_e32 v22, v23, v20
	v_fma_f32 v9, -v9, v22, v21
	v_div_fmas_f32 v9, v9, v20, v22
	v_div_fixup_f32 v5, v9, v13, v5
	v_min_f32_e32 v5, 0x43e00000, v5
	v_max_f32_e32 v5, 0xc3e00000, v5
	v_and_b32_e32 v9, 0x7fffffff, v5
	v_cmp_gt_u32_e32 vcc, s21, v9
	s_and_saveexec_b64 s[4:5], vcc
	s_cbranch_execz .LBB30_114
; %bb.109:                              ;   in Loop: Header=BB30_65 Depth=1
	v_cmp_lt_u32_e32 vcc, s22, v9
                                        ; implicit-def: $vgpr7
	s_and_saveexec_b64 s[6:7], vcc
	s_xor_b64 s[6:7], exec, s[6:7]
; %bb.110:                              ;   in Loop: Header=BB30_65 Depth=1
	v_bfe_u32 v7, v5, 20, 1
	v_add3_u32 v7, v5, v7, s23
	v_lshrrev_b32_e32 v7, 20, v7
; %bb.111:                              ;   in Loop: Header=BB30_65 Depth=1
	s_andn2_saveexec_b64 s[6:7], s[6:7]
; %bb.112:                              ;   in Loop: Header=BB30_65 Depth=1
	v_add_f32_e64 v7, |v5|, s24
; %bb.113:                              ;   in Loop: Header=BB30_65 Depth=1
	s_or_b64 exec, exec, s[6:7]
.LBB30_114:                             ;   in Loop: Header=BB30_65 Depth=1
	s_or_b64 exec, exec, s[4:5]
	v_and_b32_sdwa v13, v8, s25 dst_sel:DWORD dst_unused:UNUSED_PAD src0_sel:BYTE_3 src1_sel:DWORD
	v_and_b32_sdwa v3, v3, s25 dst_sel:DWORD dst_unused:UNUSED_PAD src0_sel:BYTE_3 src1_sel:DWORD
	v_lshlrev_b64 v[8:9], 2, v[10:11]
	v_and_or_b32 v4, v4, s26, v13
	v_lshrrev_b32_e32 v6, 24, v6
	v_mov_b32_e32 v11, s16
	v_add_co_u32_e32 v8, vcc, s13, v8
	v_lshlrev_b32_e32 v7, 24, v7
	v_and_b32_e32 v5, 0x80000000, v5
	v_lshlrev_b32_e32 v4, 16, v4
	v_and_or_b32 v3, v12, s26, v3
	v_and_b32_e32 v2, 0xff, v2
	v_addc_co_u32_e32 v9, vcc, v11, v9, vcc
	v_or3_b32 v4, v5, v7, v4
	v_lshlrev_b32_e32 v3, 8, v3
	v_and_or_b32 v2, v6, s25, v2
	v_add_u32_e32 v12, s20, v0
	v_or3_b32 v2, v4, v3, v2
	v_cmp_gt_u32_e32 vcc, s12, v12
	s_mov_b64 s[6:7], -1
	global_store_dword v[8:9], v2, off
	s_and_saveexec_b64 s[4:5], vcc
	s_cbranch_execz .LBB30_63
; %bb.115:                              ;   in Loop: Header=BB30_65 Depth=1
	v_mov_b32_e32 v13, v1
	v_lshlrev_b64 v[6:7], 4, v[12:13]
	v_mov_b32_e32 v2, s44
	v_add_co_u32_e32 v20, vcc, s33, v6
	v_addc_co_u32_e32 v21, vcc, v2, v7, vcc
	v_mov_b32_e32 v3, s15
	v_add_co_u32_e32 v2, vcc, s14, v6
	v_addc_co_u32_e32 v3, vcc, v3, v7, vcc
	v_mov_b32_e32 v8, s46
	v_add_co_u32_e32 v26, vcc, s45, v6
	v_bfe_u32 v11, v12, 4, 26
	global_load_dwordx4 v[2:5], v[2:3], off
	v_addc_co_u32_e32 v27, vcc, v8, v7, vcc
	global_load_dwordx4 v[6:9], v[20:21], off
	global_load_dwordx4 v[22:25], v[26:27], off
	v_mad_u64_u32 v[20:21], s[6:7], v14, v11, 0
	v_mov_b32_e32 v28, v21
	v_mad_u64_u32 v[28:29], s[6:7], v15, v11, v[28:29]
	v_mov_b32_e32 v21, v28
	v_lshlrev_b64 v[20:21], 2, v[20:21]
	v_mov_b32_e32 v11, s18
	v_add_co_u32_e32 v20, vcc, s17, v20
	v_addc_co_u32_e32 v21, vcc, v11, v21, vcc
	global_load_dword v20, v[20:21], off
	v_mov_b32_e32 v11, 0x7f
	s_waitcnt vmcnt(1)
	v_pk_add_f32 v[6:7], v[6:7], v[22:23]
	v_mul_f32_e32 v21, v36, v6
	v_mul_f32_e32 v2, v2, v21
	v_pk_add_f32 v[8:9], v[8:9], v[24:25]
	global_store_dwordx4 v[26:27], v[6:9], off
	s_waitcnt vmcnt(1)
	v_div_scale_f32 v21, s[6:7], v20, v20, v2
	v_rcp_f32_e32 v22, v21
	v_div_scale_f32 v6, vcc, v2, v20, v2
	v_fma_f32 v23, -v21, v22, 1.0
	v_fmac_f32_e32 v22, v23, v22
	v_mul_f32_e32 v23, v6, v22
	v_fma_f32 v24, -v21, v23, v6
	v_fmac_f32_e32 v23, v24, v22
	v_fma_f32 v6, -v21, v23, v6
	v_div_fmas_f32 v6, v6, v22, v23
	v_div_fixup_f32 v2, v6, v20, v2
	v_min_f32_e32 v2, 0x43e00000, v2
	v_max_f32_e32 v6, 0xc3e00000, v2
	v_and_b32_e32 v21, 0x7fffffff, v6
	v_cmp_gt_u32_e32 vcc, s21, v21
	v_mov_b32_e32 v2, 0x7f
	s_and_saveexec_b64 s[6:7], vcc
	s_cbranch_execz .LBB30_121
; %bb.116:                              ;   in Loop: Header=BB30_65 Depth=1
	v_cmp_lt_u32_e32 vcc, s22, v21
                                        ; implicit-def: $vgpr2
	s_and_saveexec_b64 s[8:9], vcc
	s_xor_b64 s[8:9], exec, s[8:9]
; %bb.117:                              ;   in Loop: Header=BB30_65 Depth=1
	v_bfe_u32 v2, v6, 20, 1
	v_add3_u32 v2, v6, v2, s23
	v_lshrrev_b32_e32 v2, 20, v2
; %bb.118:                              ;   in Loop: Header=BB30_65 Depth=1
	s_andn2_saveexec_b64 s[8:9], s[8:9]
; %bb.119:                              ;   in Loop: Header=BB30_65 Depth=1
	v_add_f32_e64 v2, |v6|, s24
; %bb.120:                              ;   in Loop: Header=BB30_65 Depth=1
	s_or_b64 exec, exec, s[8:9]
.LBB30_121:                             ;   in Loop: Header=BB30_65 Depth=1
	s_or_b64 exec, exec, s[6:7]
	v_mul_f32_e32 v7, v36, v7
	v_mul_f32_e32 v3, v3, v7
	v_div_scale_f32 v7, s[6:7], v20, v20, v3
	v_rcp_f32_e32 v21, v7
	v_div_scale_f32 v22, vcc, v3, v20, v3
	v_fma_f32 v23, -v7, v21, 1.0
	v_fmac_f32_e32 v21, v23, v21
	v_mul_f32_e32 v23, v22, v21
	v_fma_f32 v24, -v7, v23, v22
	v_fmac_f32_e32 v23, v24, v21
	v_fma_f32 v7, -v7, v23, v22
	v_div_fmas_f32 v7, v7, v21, v23
	v_div_fixup_f32 v3, v7, v20, v3
	v_min_f32_e32 v3, 0x43e00000, v3
	v_max_f32_e32 v3, 0xc3e00000, v3
	v_and_b32_e32 v7, 0x7fffffff, v3
	v_cmp_gt_u32_e32 vcc, s21, v7
	s_and_saveexec_b64 s[6:7], vcc
	s_cbranch_execz .LBB30_127
; %bb.122:                              ;   in Loop: Header=BB30_65 Depth=1
	v_cmp_lt_u32_e32 vcc, s22, v7
                                        ; implicit-def: $vgpr11
	s_and_saveexec_b64 s[8:9], vcc
	s_xor_b64 s[8:9], exec, s[8:9]
; %bb.123:                              ;   in Loop: Header=BB30_65 Depth=1
	v_bfe_u32 v7, v3, 20, 1
	v_add3_u32 v7, v3, v7, s23
	v_lshrrev_b32_e32 v11, 20, v7
; %bb.124:                              ;   in Loop: Header=BB30_65 Depth=1
	s_andn2_saveexec_b64 s[8:9], s[8:9]
; %bb.125:                              ;   in Loop: Header=BB30_65 Depth=1
	v_add_f32_e64 v11, |v3|, s24
; %bb.126:                              ;   in Loop: Header=BB30_65 Depth=1
	s_or_b64 exec, exec, s[8:9]
.LBB30_127:                             ;   in Loop: Header=BB30_65 Depth=1
	s_or_b64 exec, exec, s[6:7]
	v_mul_f32_e32 v7, v36, v8
	v_mul_f32_e32 v4, v4, v7
	v_div_scale_f32 v7, s[6:7], v20, v20, v4
	v_rcp_f32_e32 v8, v7
	v_div_scale_f32 v21, vcc, v4, v20, v4
	v_fma_f32 v22, -v7, v8, 1.0
	v_fmac_f32_e32 v8, v22, v8
	v_mul_f32_e32 v22, v21, v8
	v_fma_f32 v23, -v7, v22, v21
	v_fmac_f32_e32 v22, v23, v8
	v_fma_f32 v7, -v7, v22, v21
	v_div_fmas_f32 v7, v7, v8, v22
	v_div_fixup_f32 v4, v7, v20, v4
	v_min_f32_e32 v4, 0x43e00000, v4
	v_max_f32_e32 v8, 0xc3e00000, v4
	v_and_b32_e32 v21, 0x7fffffff, v8
	v_cmp_gt_u32_e32 vcc, s21, v21
	v_mov_b32_e32 v7, 0x7f
	v_mov_b32_e32 v4, 0x7f
	s_and_saveexec_b64 s[6:7], vcc
	s_cbranch_execz .LBB30_133
; %bb.128:                              ;   in Loop: Header=BB30_65 Depth=1
	v_cmp_lt_u32_e32 vcc, s22, v21
                                        ; implicit-def: $vgpr4
	s_and_saveexec_b64 s[8:9], vcc
	s_xor_b64 s[8:9], exec, s[8:9]
; %bb.129:                              ;   in Loop: Header=BB30_65 Depth=1
	v_bfe_u32 v4, v8, 20, 1
	v_add3_u32 v4, v8, v4, s23
	v_lshrrev_b32_e32 v4, 20, v4
; %bb.130:                              ;   in Loop: Header=BB30_65 Depth=1
	s_andn2_saveexec_b64 s[8:9], s[8:9]
; %bb.131:                              ;   in Loop: Header=BB30_65 Depth=1
	v_add_f32_e64 v4, |v8|, s24
; %bb.132:                              ;   in Loop: Header=BB30_65 Depth=1
	s_or_b64 exec, exec, s[8:9]
.LBB30_133:                             ;   in Loop: Header=BB30_65 Depth=1
	s_or_b64 exec, exec, s[6:7]
	v_mul_f32_e32 v9, v36, v9
	v_mul_f32_e32 v5, v5, v9
	v_div_scale_f32 v9, s[6:7], v20, v20, v5
	v_rcp_f32_e32 v21, v9
	v_div_scale_f32 v22, vcc, v5, v20, v5
	v_fma_f32 v23, -v9, v21, 1.0
	v_fmac_f32_e32 v21, v23, v21
	v_mul_f32_e32 v23, v22, v21
	v_fma_f32 v24, -v9, v23, v22
	v_fmac_f32_e32 v23, v24, v21
	v_fma_f32 v9, -v9, v23, v22
	v_div_fmas_f32 v9, v9, v21, v23
	v_div_fixup_f32 v5, v9, v20, v5
	v_min_f32_e32 v5, 0x43e00000, v5
	v_max_f32_e32 v5, 0xc3e00000, v5
	v_and_b32_e32 v9, 0x7fffffff, v5
	v_cmp_gt_u32_e32 vcc, s21, v9
	s_and_saveexec_b64 s[6:7], vcc
	s_cbranch_execz .LBB30_139
; %bb.134:                              ;   in Loop: Header=BB30_65 Depth=1
	v_cmp_lt_u32_e32 vcc, s22, v9
                                        ; implicit-def: $vgpr7
	s_and_saveexec_b64 s[8:9], vcc
	s_xor_b64 s[8:9], exec, s[8:9]
; %bb.135:                              ;   in Loop: Header=BB30_65 Depth=1
	v_bfe_u32 v7, v5, 20, 1
	v_add3_u32 v7, v5, v7, s23
	v_lshrrev_b32_e32 v7, 20, v7
; %bb.136:                              ;   in Loop: Header=BB30_65 Depth=1
	s_andn2_saveexec_b64 s[8:9], s[8:9]
; %bb.137:                              ;   in Loop: Header=BB30_65 Depth=1
	v_add_f32_e64 v7, |v5|, s24
; %bb.138:                              ;   in Loop: Header=BB30_65 Depth=1
	s_or_b64 exec, exec, s[8:9]
.LBB30_139:                             ;   in Loop: Header=BB30_65 Depth=1
	s_or_b64 exec, exec, s[6:7]
	v_and_b32_sdwa v20, v8, s25 dst_sel:DWORD dst_unused:UNUSED_PAD src0_sel:BYTE_3 src1_sel:DWORD
	v_and_b32_sdwa v3, v3, s25 dst_sel:DWORD dst_unused:UNUSED_PAD src0_sel:BYTE_3 src1_sel:DWORD
	v_lshlrev_b64 v[8:9], 2, v[12:13]
	v_and_or_b32 v4, v4, s26, v20
	v_lshrrev_b32_e32 v6, 24, v6
	v_mov_b32_e32 v12, s16
	v_add_co_u32_e32 v8, vcc, s13, v8
	v_lshlrev_b32_e32 v7, 24, v7
	v_and_b32_e32 v5, 0x80000000, v5
	v_lshlrev_b32_e32 v4, 16, v4
	v_and_or_b32 v3, v11, s26, v3
	v_and_b32_e32 v2, 0xff, v2
	v_addc_co_u32_e32 v9, vcc, v12, v9, vcc
	v_or3_b32 v4, v5, v7, v4
	v_lshlrev_b32_e32 v3, 8, v3
	v_and_or_b32 v2, v6, s25, v2
	v_add_u32_e32 v0, s19, v0
	v_or3_b32 v2, v4, v3, v2
	v_cmp_gt_u32_e32 vcc, s12, v0
	s_mov_b64 s[8:9], -1
	global_store_dword v[8:9], v2, off
	s_and_saveexec_b64 s[6:7], vcc
	s_cbranch_execz .LBB30_62
; %bb.140:                              ;   in Loop: Header=BB30_65 Depth=1
	v_lshlrev_b64 v[6:7], 4, v[0:1]
	v_mov_b32_e32 v2, s44
	v_add_co_u32_e32 v12, vcc, s33, v6
	v_addc_co_u32_e32 v13, vcc, v2, v7, vcc
	v_mov_b32_e32 v3, s15
	v_add_co_u32_e32 v2, vcc, s14, v6
	v_addc_co_u32_e32 v3, vcc, v3, v7, vcc
	v_mov_b32_e32 v8, s46
	v_add_co_u32_e32 v24, vcc, s45, v6
	v_bfe_u32 v11, v0, 4, 26
	global_load_dwordx4 v[2:5], v[2:3], off
	v_addc_co_u32_e32 v25, vcc, v8, v7, vcc
	global_load_dwordx4 v[6:9], v[12:13], off
	global_load_dwordx4 v[20:23], v[24:25], off
	v_mad_u64_u32 v[12:13], s[8:9], v14, v11, 0
	v_mov_b32_e32 v26, v13
	v_mad_u64_u32 v[26:27], s[8:9], v15, v11, v[26:27]
	v_mov_b32_e32 v13, v26
	v_lshlrev_b64 v[12:13], 2, v[12:13]
	v_mov_b32_e32 v11, s18
	v_add_co_u32_e32 v12, vcc, s17, v12
	v_addc_co_u32_e32 v13, vcc, v11, v13, vcc
	global_load_dword v12, v[12:13], off
	v_mov_b32_e32 v11, 0x7f
	s_waitcnt vmcnt(1)
	v_pk_add_f32 v[6:7], v[6:7], v[20:21]
	v_mul_f32_e32 v13, v36, v6
	v_mul_f32_e32 v2, v2, v13
	v_pk_add_f32 v[8:9], v[8:9], v[22:23]
	global_store_dwordx4 v[24:25], v[6:9], off
	s_waitcnt vmcnt(1)
	v_div_scale_f32 v13, s[8:9], v12, v12, v2
	v_rcp_f32_e32 v20, v13
	v_div_scale_f32 v6, vcc, v2, v12, v2
	v_fma_f32 v21, -v13, v20, 1.0
	v_fmac_f32_e32 v20, v21, v20
	v_mul_f32_e32 v21, v6, v20
	v_fma_f32 v22, -v13, v21, v6
	v_fmac_f32_e32 v21, v22, v20
	v_fma_f32 v6, -v13, v21, v6
	v_div_fmas_f32 v6, v6, v20, v21
	v_div_fixup_f32 v2, v6, v12, v2
	v_min_f32_e32 v2, 0x43e00000, v2
	v_max_f32_e32 v6, 0xc3e00000, v2
	v_and_b32_e32 v13, 0x7fffffff, v6
	v_cmp_gt_u32_e32 vcc, s21, v13
	v_mov_b32_e32 v2, 0x7f
	s_and_saveexec_b64 s[8:9], vcc
	s_cbranch_execz .LBB30_146
; %bb.141:                              ;   in Loop: Header=BB30_65 Depth=1
	v_cmp_lt_u32_e32 vcc, s22, v13
                                        ; implicit-def: $vgpr2
	s_and_saveexec_b64 s[10:11], vcc
	s_xor_b64 s[10:11], exec, s[10:11]
; %bb.142:                              ;   in Loop: Header=BB30_65 Depth=1
	v_bfe_u32 v2, v6, 20, 1
	v_add3_u32 v2, v6, v2, s23
	v_lshrrev_b32_e32 v2, 20, v2
; %bb.143:                              ;   in Loop: Header=BB30_65 Depth=1
	s_andn2_saveexec_b64 s[10:11], s[10:11]
; %bb.144:                              ;   in Loop: Header=BB30_65 Depth=1
	v_add_f32_e64 v2, |v6|, s24
; %bb.145:                              ;   in Loop: Header=BB30_65 Depth=1
	s_or_b64 exec, exec, s[10:11]
.LBB30_146:                             ;   in Loop: Header=BB30_65 Depth=1
	s_or_b64 exec, exec, s[8:9]
	v_mul_f32_e32 v7, v36, v7
	v_mul_f32_e32 v3, v3, v7
	v_div_scale_f32 v7, s[8:9], v12, v12, v3
	v_rcp_f32_e32 v13, v7
	v_div_scale_f32 v20, vcc, v3, v12, v3
	v_fma_f32 v21, -v7, v13, 1.0
	v_fmac_f32_e32 v13, v21, v13
	v_mul_f32_e32 v21, v20, v13
	v_fma_f32 v22, -v7, v21, v20
	v_fmac_f32_e32 v21, v22, v13
	v_fma_f32 v7, -v7, v21, v20
	v_div_fmas_f32 v7, v7, v13, v21
	v_div_fixup_f32 v3, v7, v12, v3
	v_min_f32_e32 v3, 0x43e00000, v3
	v_max_f32_e32 v3, 0xc3e00000, v3
	v_and_b32_e32 v7, 0x7fffffff, v3
	v_cmp_gt_u32_e32 vcc, s21, v7
	s_and_saveexec_b64 s[8:9], vcc
	s_cbranch_execz .LBB30_152
; %bb.147:                              ;   in Loop: Header=BB30_65 Depth=1
	v_cmp_lt_u32_e32 vcc, s22, v7
                                        ; implicit-def: $vgpr11
	s_and_saveexec_b64 s[10:11], vcc
	s_xor_b64 s[10:11], exec, s[10:11]
; %bb.148:                              ;   in Loop: Header=BB30_65 Depth=1
	v_bfe_u32 v7, v3, 20, 1
	v_add3_u32 v7, v3, v7, s23
	v_lshrrev_b32_e32 v11, 20, v7
; %bb.149:                              ;   in Loop: Header=BB30_65 Depth=1
	s_andn2_saveexec_b64 s[10:11], s[10:11]
; %bb.150:                              ;   in Loop: Header=BB30_65 Depth=1
	v_add_f32_e64 v11, |v3|, s24
; %bb.151:                              ;   in Loop: Header=BB30_65 Depth=1
	s_or_b64 exec, exec, s[10:11]
.LBB30_152:                             ;   in Loop: Header=BB30_65 Depth=1
	s_or_b64 exec, exec, s[8:9]
	v_mul_f32_e32 v7, v36, v8
	v_mul_f32_e32 v4, v4, v7
	v_div_scale_f32 v7, s[8:9], v12, v12, v4
	v_rcp_f32_e32 v8, v7
	v_div_scale_f32 v13, vcc, v4, v12, v4
	v_fma_f32 v20, -v7, v8, 1.0
	v_fmac_f32_e32 v8, v20, v8
	v_mul_f32_e32 v20, v13, v8
	v_fma_f32 v21, -v7, v20, v13
	v_fmac_f32_e32 v20, v21, v8
	v_fma_f32 v7, -v7, v20, v13
	v_div_fmas_f32 v7, v7, v8, v20
	v_div_fixup_f32 v4, v7, v12, v4
	v_min_f32_e32 v4, 0x43e00000, v4
	v_max_f32_e32 v8, 0xc3e00000, v4
	v_and_b32_e32 v13, 0x7fffffff, v8
	v_cmp_gt_u32_e32 vcc, s21, v13
	v_mov_b32_e32 v7, 0x7f
	v_mov_b32_e32 v4, 0x7f
	s_and_saveexec_b64 s[8:9], vcc
	s_cbranch_execz .LBB30_158
; %bb.153:                              ;   in Loop: Header=BB30_65 Depth=1
	v_cmp_lt_u32_e32 vcc, s22, v13
                                        ; implicit-def: $vgpr4
	s_and_saveexec_b64 s[10:11], vcc
	s_xor_b64 s[10:11], exec, s[10:11]
; %bb.154:                              ;   in Loop: Header=BB30_65 Depth=1
	v_bfe_u32 v4, v8, 20, 1
	v_add3_u32 v4, v8, v4, s23
	v_lshrrev_b32_e32 v4, 20, v4
; %bb.155:                              ;   in Loop: Header=BB30_65 Depth=1
	s_andn2_saveexec_b64 s[10:11], s[10:11]
; %bb.156:                              ;   in Loop: Header=BB30_65 Depth=1
	v_add_f32_e64 v4, |v8|, s24
; %bb.157:                              ;   in Loop: Header=BB30_65 Depth=1
	s_or_b64 exec, exec, s[10:11]
.LBB30_158:                             ;   in Loop: Header=BB30_65 Depth=1
	s_or_b64 exec, exec, s[8:9]
	v_mul_f32_e32 v9, v36, v9
	v_mul_f32_e32 v5, v5, v9
	v_div_scale_f32 v9, s[8:9], v12, v12, v5
	v_rcp_f32_e32 v13, v9
	v_div_scale_f32 v20, vcc, v5, v12, v5
	v_fma_f32 v21, -v9, v13, 1.0
	v_fmac_f32_e32 v13, v21, v13
	v_mul_f32_e32 v21, v20, v13
	v_fma_f32 v22, -v9, v21, v20
	v_fmac_f32_e32 v21, v22, v13
	v_fma_f32 v9, -v9, v21, v20
	v_div_fmas_f32 v9, v9, v13, v21
	v_div_fixup_f32 v5, v9, v12, v5
	v_min_f32_e32 v5, 0x43e00000, v5
	v_max_f32_e32 v5, 0xc3e00000, v5
	v_and_b32_e32 v9, 0x7fffffff, v5
	v_cmp_gt_u32_e32 vcc, s21, v9
	s_and_saveexec_b64 s[8:9], vcc
	s_cbranch_execz .LBB30_61
; %bb.159:                              ;   in Loop: Header=BB30_65 Depth=1
	v_cmp_lt_u32_e32 vcc, s22, v9
                                        ; implicit-def: $vgpr7
	s_and_saveexec_b64 s[10:11], vcc
	s_xor_b64 s[10:11], exec, s[10:11]
; %bb.160:                              ;   in Loop: Header=BB30_65 Depth=1
	v_bfe_u32 v7, v5, 20, 1
	v_add3_u32 v7, v5, v7, s23
	v_lshrrev_b32_e32 v7, 20, v7
; %bb.161:                              ;   in Loop: Header=BB30_65 Depth=1
	s_andn2_saveexec_b64 s[10:11], s[10:11]
	s_cbranch_execz .LBB30_60
; %bb.162:                              ;   in Loop: Header=BB30_65 Depth=1
	v_add_f32_e64 v7, |v5|, s24
	s_branch .LBB30_60
.LBB30_163:
	s_endpgm
.LBB30_164:
                                        ; implicit-def: $vgpr4_vgpr5
	s_andn2_b64 vcc, exec, s[24:25]
	s_cbranch_vccz .LBB30_53
	s_branch .LBB30_54
.LBB30_165:
                                        ; implicit-def: $vgpr2_vgpr3
	s_andn2_b64 vcc, exec, s[20:21]
	s_cbranch_vccz .LBB30_58
	s_branch .LBB30_59
	.section	.rodata,"a",@progbits
	.p2align	6, 0x0
	.amdhsa_kernel _ZN4vllm31rms_norm_per_block_quant_kernelIfN3c1013Float8_e4m3fnELb1ELb1ELi64EEEvPT0_PfPKT_S8_PKffiiPS6_l
		.amdhsa_group_segment_fixed_size 4164
		.amdhsa_private_segment_fixed_size 0
		.amdhsa_kernarg_size 328
		.amdhsa_user_sgpr_count 6
		.amdhsa_user_sgpr_private_segment_buffer 1
		.amdhsa_user_sgpr_dispatch_ptr 0
		.amdhsa_user_sgpr_queue_ptr 0
		.amdhsa_user_sgpr_kernarg_segment_ptr 1
		.amdhsa_user_sgpr_dispatch_id 0
		.amdhsa_user_sgpr_flat_scratch_init 0
		.amdhsa_user_sgpr_kernarg_preload_length 0
		.amdhsa_user_sgpr_kernarg_preload_offset 0
		.amdhsa_user_sgpr_private_segment_size 0
		.amdhsa_uses_dynamic_stack 0
		.amdhsa_system_sgpr_private_segment_wavefront_offset 0
		.amdhsa_system_sgpr_workgroup_id_x 1
		.amdhsa_system_sgpr_workgroup_id_y 0
		.amdhsa_system_sgpr_workgroup_id_z 0
		.amdhsa_system_sgpr_workgroup_info 0
		.amdhsa_system_vgpr_workitem_id 0
		.amdhsa_next_free_vgpr 44
		.amdhsa_next_free_sgpr 49
		.amdhsa_accum_offset 44
		.amdhsa_reserve_vcc 1
		.amdhsa_reserve_flat_scratch 0
		.amdhsa_float_round_mode_32 0
		.amdhsa_float_round_mode_16_64 0
		.amdhsa_float_denorm_mode_32 3
		.amdhsa_float_denorm_mode_16_64 3
		.amdhsa_dx10_clamp 1
		.amdhsa_ieee_mode 1
		.amdhsa_fp16_overflow 0
		.amdhsa_tg_split 0
		.amdhsa_exception_fp_ieee_invalid_op 0
		.amdhsa_exception_fp_denorm_src 0
		.amdhsa_exception_fp_ieee_div_zero 0
		.amdhsa_exception_fp_ieee_overflow 0
		.amdhsa_exception_fp_ieee_underflow 0
		.amdhsa_exception_fp_ieee_inexact 0
		.amdhsa_exception_int_div_zero 0
	.end_amdhsa_kernel
	.section	.text._ZN4vllm31rms_norm_per_block_quant_kernelIfN3c1013Float8_e4m3fnELb1ELb1ELi64EEEvPT0_PfPKT_S8_PKffiiPS6_l,"axG",@progbits,_ZN4vllm31rms_norm_per_block_quant_kernelIfN3c1013Float8_e4m3fnELb1ELb1ELi64EEEvPT0_PfPKT_S8_PKffiiPS6_l,comdat
.Lfunc_end30:
	.size	_ZN4vllm31rms_norm_per_block_quant_kernelIfN3c1013Float8_e4m3fnELb1ELb1ELi64EEEvPT0_PfPKT_S8_PKffiiPS6_l, .Lfunc_end30-_ZN4vllm31rms_norm_per_block_quant_kernelIfN3c1013Float8_e4m3fnELb1ELb1ELi64EEEvPT0_PfPKT_S8_PKffiiPS6_l
                                        ; -- End function
	.section	.AMDGPU.csdata,"",@progbits
; Kernel info:
; codeLenInByte = 9732
; NumSgprs: 53
; NumVgprs: 44
; NumAgprs: 0
; TotalNumVgprs: 44
; ScratchSize: 0
; MemoryBound: 0
; FloatMode: 240
; IeeeMode: 1
; LDSByteSize: 4164 bytes/workgroup (compile time only)
; SGPRBlocks: 6
; VGPRBlocks: 5
; NumSGPRsForWavesPerEU: 53
; NumVGPRsForWavesPerEU: 44
; AccumOffset: 44
; Occupancy: 8
; WaveLimiterHint : 0
; COMPUTE_PGM_RSRC2:SCRATCH_EN: 0
; COMPUTE_PGM_RSRC2:USER_SGPR: 6
; COMPUTE_PGM_RSRC2:TRAP_HANDLER: 0
; COMPUTE_PGM_RSRC2:TGID_X_EN: 1
; COMPUTE_PGM_RSRC2:TGID_Y_EN: 0
; COMPUTE_PGM_RSRC2:TGID_Z_EN: 0
; COMPUTE_PGM_RSRC2:TIDIG_COMP_CNT: 0
; COMPUTE_PGM_RSRC3_GFX90A:ACCUM_OFFSET: 10
; COMPUTE_PGM_RSRC3_GFX90A:TG_SPLIT: 0
	.section	.text._ZN4vllm31rms_norm_per_block_quant_kernelIfN3c1015Float8_e4m3fnuzELb1ELb1ELi64EEEvPT0_PfPKT_S8_PKffiiPS6_l,"axG",@progbits,_ZN4vllm31rms_norm_per_block_quant_kernelIfN3c1015Float8_e4m3fnuzELb1ELb1ELi64EEEvPT0_PfPKT_S8_PKffiiPS6_l,comdat
	.protected	_ZN4vllm31rms_norm_per_block_quant_kernelIfN3c1015Float8_e4m3fnuzELb1ELb1ELi64EEEvPT0_PfPKT_S8_PKffiiPS6_l ; -- Begin function _ZN4vllm31rms_norm_per_block_quant_kernelIfN3c1015Float8_e4m3fnuzELb1ELb1ELi64EEEvPT0_PfPKT_S8_PKffiiPS6_l
	.globl	_ZN4vllm31rms_norm_per_block_quant_kernelIfN3c1015Float8_e4m3fnuzELb1ELb1ELi64EEEvPT0_PfPKT_S8_PKffiiPS6_l
	.p2align	8
	.type	_ZN4vllm31rms_norm_per_block_quant_kernelIfN3c1015Float8_e4m3fnuzELb1ELb1ELi64EEEvPT0_PfPKT_S8_PKffiiPS6_l,@function
_ZN4vllm31rms_norm_per_block_quant_kernelIfN3c1015Float8_e4m3fnuzELb1ELb1ELi64EEEvPT0_PfPKT_S8_PKffiiPS6_l: ; @_ZN4vllm31rms_norm_per_block_quant_kernelIfN3c1015Float8_e4m3fnuzELb1ELb1ELi64EEEvPT0_PfPKT_S8_PKffiiPS6_l
; %bb.0:
	s_load_dwordx4 s[16:19], s[4:5], 0x28
	s_load_dwordx8 s[8:15], s[4:5], 0x0
	s_load_dwordx2 s[0:1], s[4:5], 0x38
	s_load_dword s48, s[4:5], 0x48
	s_mov_b32 s7, 0
	s_waitcnt lgkmcnt(0)
	s_ashr_i32 s2, s18, 31
	s_mul_hi_u32 s3, s18, s6
	s_mul_i32 s2, s2, s6
	s_ashr_i32 s21, s17, 31
	s_add_i32 s3, s3, s2
	s_mul_i32 s2, s18, s6
	s_mul_hi_u32 s18, s17, s6
	s_mul_i32 s19, s21, s6
	s_add_i32 s19, s18, s19
	s_lshl_b64 s[2:3], s[2:3], 2
	s_mul_i32 s18, s17, s6
	s_add_u32 s33, s12, s2
	s_addc_u32 s44, s13, s3
	s_lshl_b64 s[2:3], s[18:19], 2
	s_add_u32 s45, s0, s2
	s_addc_u32 s46, s1, s3
	s_ashr_i32 s12, s17, 2
	s_add_u32 s22, s4, 0x48
	s_mov_b32 s20, s17
	v_cmp_gt_u32_e64 s[0:1], s12, v0
	s_addc_u32 s23, s5, 0
	v_mov_b32_e32 v1, 0
	s_and_saveexec_b64 s[2:3], s[0:1]
	s_cbranch_execz .LBB31_10
; %bb.1:
	s_cmp_lt_u32 s6, s48
	s_cselect_b32 s13, 12, 18
	s_add_u32 s24, s22, s13
	s_addc_u32 s25, s23, 0
	v_mov_b32_e32 v3, 0
	global_load_ushort v8, v3, s[24:25]
	s_mov_b64 s[24:25], 0
	v_mov_b32_e32 v9, s44
	v_mov_b32_e32 v10, s46
	;; [unrolled: 1-line block ×4, first 2 shown]
                                        ; implicit-def: $sgpr26_sgpr27
	s_waitcnt vmcnt(0)
	v_mul_lo_u32 v11, v8, 3
	v_lshlrev_b32_e32 v12, 1, v8
	s_branch .LBB31_5
.LBB31_2:                               ;   in Loop: Header=BB31_5 Depth=1
	s_or_b64 exec, exec, s[34:35]
	s_orn2_b64 s[34:35], s[36:37], exec
.LBB31_3:                               ;   in Loop: Header=BB31_5 Depth=1
	s_or_b64 exec, exec, s[30:31]
	s_andn2_b64 s[26:27], s[26:27], exec
	s_and_b64 s[30:31], s[34:35], exec
	s_or_b64 s[26:27], s[26:27], s[30:31]
.LBB31_4:                               ;   in Loop: Header=BB31_5 Depth=1
	s_or_b64 exec, exec, s[28:29]
	s_and_b64 s[28:29], exec, s[26:27]
	s_or_b64 s[24:25], s[28:29], s[24:25]
	s_andn2_b64 exec, exec, s[24:25]
	s_cbranch_execz .LBB31_9
.LBB31_5:                               ; =>This Inner Loop Header: Depth=1
	v_lshlrev_b64 v[4:5], 4, v[2:3]
	v_add_co_u32_e32 v6, vcc, s33, v4
	v_addc_co_u32_e32 v7, vcc, v9, v5, vcc
	v_add_co_u32_e32 v4, vcc, s45, v4
	v_addc_co_u32_e32 v5, vcc, v10, v5, vcc
	global_load_dwordx4 v[14:17], v[6:7], off
	global_load_dwordx4 v[18:21], v[4:5], off
	v_add_u32_e32 v4, v2, v8
	v_cmp_gt_u32_e32 vcc, s12, v4
	s_or_b64 s[26:27], s[26:27], exec
	s_waitcnt vmcnt(0)
	v_pk_add_f32 v[6:7], v[14:15], v[18:19]
	v_pk_mul_f32 v[6:7], v[6:7], v[6:7]
	v_pk_add_f32 v[14:15], v[16:17], v[20:21]
	v_add_f32_e32 v1, v1, v6
	v_pk_mul_f32 v[14:15], v[14:15], v[14:15]
	v_add_f32_e32 v1, v1, v7
	v_add_f32_e32 v1, v1, v14
	;; [unrolled: 1-line block ×3, first 2 shown]
	s_and_saveexec_b64 s[28:29], vcc
	s_cbranch_execz .LBB31_4
; %bb.6:                                ;   in Loop: Header=BB31_5 Depth=1
	v_mov_b32_e32 v5, v3
	v_lshlrev_b64 v[6:7], 4, v[4:5]
	v_add_co_u32_e32 v22, vcc, s33, v6
	v_addc_co_u32_e32 v23, vcc, v9, v7, vcc
	v_add_co_u32_e32 v6, vcc, s45, v6
	v_addc_co_u32_e32 v7, vcc, v10, v7, vcc
	global_load_dwordx4 v[14:17], v[22:23], off
	global_load_dwordx4 v[18:21], v[6:7], off
	v_add_u32_e32 v6, v12, v2
	v_cmp_gt_u32_e32 vcc, s12, v6
	s_mov_b64 s[34:35], -1
	s_waitcnt vmcnt(0)
	v_pk_add_f32 v[14:15], v[14:15], v[18:19]
	v_pk_mul_f32 v[14:15], v[14:15], v[14:15]
	v_pk_add_f32 v[16:17], v[16:17], v[20:21]
	v_add_f32_e32 v1, v1, v14
	v_pk_mul_f32 v[16:17], v[16:17], v[16:17]
	v_add_f32_e32 v1, v1, v15
	v_add_f32_e32 v1, v1, v16
	;; [unrolled: 1-line block ×3, first 2 shown]
	s_and_saveexec_b64 s[30:31], vcc
	s_cbranch_execz .LBB31_3
; %bb.7:                                ;   in Loop: Header=BB31_5 Depth=1
	v_mov_b32_e32 v7, v3
	v_lshlrev_b64 v[6:7], 4, v[6:7]
	v_add_co_u32_e32 v22, vcc, s33, v6
	v_addc_co_u32_e32 v23, vcc, v9, v7, vcc
	v_add_co_u32_e32 v6, vcc, s45, v6
	v_addc_co_u32_e32 v7, vcc, v10, v7, vcc
	global_load_dwordx4 v[14:17], v[22:23], off
	global_load_dwordx4 v[18:21], v[6:7], off
	v_add_u32_e32 v2, v11, v2
	v_cmp_gt_u32_e32 vcc, s12, v2
	s_mov_b64 s[36:37], -1
	s_waitcnt vmcnt(0)
	v_pk_add_f32 v[6:7], v[14:15], v[18:19]
	v_pk_mul_f32 v[6:7], v[6:7], v[6:7]
	v_pk_add_f32 v[14:15], v[16:17], v[20:21]
	v_add_f32_e32 v1, v1, v6
	v_pk_mul_f32 v[14:15], v[14:15], v[14:15]
	v_add_f32_e32 v1, v1, v7
	v_add_f32_e32 v1, v1, v14
	;; [unrolled: 1-line block ×3, first 2 shown]
	s_and_saveexec_b64 s[34:35], vcc
	s_xor_b64 s[34:35], exec, s[34:35]
	s_cbranch_execz .LBB31_2
; %bb.8:                                ;   in Loop: Header=BB31_5 Depth=1
	v_lshlrev_b64 v[6:7], 4, v[2:3]
	v_mov_b32_e32 v2, s44
	v_add_co_u32_e32 v22, vcc, s33, v6
	v_addc_co_u32_e32 v23, vcc, v2, v7, vcc
	v_mov_b32_e32 v2, s46
	v_add_co_u32_e32 v6, vcc, s45, v6
	v_addc_co_u32_e32 v7, vcc, v2, v7, vcc
	global_load_dwordx4 v[14:17], v[22:23], off
	global_load_dwordx4 v[18:21], v[6:7], off
	v_add_u32_e32 v2, v8, v8
	v_add_u32_e32 v2, v2, v8
	;; [unrolled: 1-line block ×3, first 2 shown]
	v_cmp_le_u32_e32 vcc, s12, v2
	s_orn2_b64 s[36:37], vcc, exec
	s_waitcnt vmcnt(0)
	v_pk_add_f32 v[4:5], v[14:15], v[18:19]
	v_pk_mul_f32 v[4:5], v[4:5], v[4:5]
	v_pk_add_f32 v[6:7], v[16:17], v[20:21]
	v_add_f32_e32 v1, v1, v4
	v_pk_mul_f32 v[6:7], v[6:7], v[6:7]
	v_add_f32_e32 v1, v1, v5
	v_add_f32_e32 v1, v1, v6
	;; [unrolled: 1-line block ×3, first 2 shown]
	s_branch .LBB31_2
.LBB31_9:
	s_or_b64 exec, exec, s[24:25]
.LBB31_10:
	s_or_b64 exec, exec, s[2:3]
	v_mbcnt_lo_u32_b32 v2, -1, 0
	v_mbcnt_hi_u32_b32 v2, -1, v2
	v_and_b32_e32 v3, 63, v2
	v_cmp_ne_u32_e32 vcc, 63, v3
	s_load_dword s2, s[22:23], 0xc
	v_addc_co_u32_e32 v4, vcc, 0, v2, vcc
	v_lshlrev_b32_e32 v4, 2, v4
	ds_bpermute_b32 v4, v4, v1
	s_waitcnt lgkmcnt(0)
	s_and_b32 s13, s2, 0xffff
	v_and_b32_e32 v5, 0x3c0, v0
	v_sub_u32_e64 v5, s13, v5 clamp
	v_add_u32_e32 v6, 1, v2
	v_add_f32_e32 v4, v1, v4
	v_cmp_lt_u32_e32 vcc, v6, v5
	v_cndmask_b32_e32 v1, v1, v4, vcc
	v_cmp_gt_u32_e32 vcc, 62, v3
	v_cndmask_b32_e64 v4, 0, 1, vcc
	v_lshlrev_b32_e32 v4, 1, v4
	v_add_lshl_u32 v4, v4, v2, 2
	ds_bpermute_b32 v4, v4, v1
	v_add_u32_e32 v6, 2, v2
	v_cmp_lt_u32_e32 vcc, v6, v5
	v_add_u32_e32 v6, 4, v2
	s_waitcnt lgkmcnt(0)
	v_add_f32_e32 v4, v1, v4
	v_cndmask_b32_e32 v1, v1, v4, vcc
	v_cmp_gt_u32_e32 vcc, 60, v3
	v_cndmask_b32_e64 v4, 0, 1, vcc
	v_lshlrev_b32_e32 v4, 2, v4
	v_add_lshl_u32 v4, v4, v2, 2
	ds_bpermute_b32 v4, v4, v1
	v_cmp_lt_u32_e32 vcc, v6, v5
	v_add_u32_e32 v6, 8, v2
	s_waitcnt lgkmcnt(0)
	v_add_f32_e32 v4, v1, v4
	v_cndmask_b32_e32 v1, v1, v4, vcc
	v_cmp_gt_u32_e32 vcc, 56, v3
	v_cndmask_b32_e64 v4, 0, 1, vcc
	v_lshlrev_b32_e32 v4, 3, v4
	v_add_lshl_u32 v4, v4, v2, 2
	ds_bpermute_b32 v4, v4, v1
	;; [unrolled: 10-line block ×3, first 2 shown]
	v_cmp_lt_u32_e32 vcc, v6, v5
	s_waitcnt lgkmcnt(0)
	v_add_f32_e32 v4, v1, v4
	v_cndmask_b32_e32 v1, v1, v4, vcc
	v_cmp_gt_u32_e32 vcc, 32, v3
	v_cndmask_b32_e64 v3, 0, 1, vcc
	v_lshlrev_b32_e32 v3, 5, v3
	v_add_lshl_u32 v3, v3, v2, 2
	ds_bpermute_b32 v3, v3, v1
	v_add_u32_e32 v4, 32, v2
	v_cmp_lt_u32_e32 vcc, v4, v5
	s_waitcnt lgkmcnt(0)
	v_add_f32_e32 v3, v1, v3
	v_cndmask_b32_e32 v1, v1, v3, vcc
	v_cmp_eq_u32_e32 vcc, 0, v2
	s_and_saveexec_b64 s[2:3], vcc
	s_cbranch_execz .LBB31_12
; %bb.11:
	v_lshrrev_b32_e32 v3, 4, v0
	v_and_b32_e32 v3, 60, v3
	ds_write_b32 v3, v1 offset:4096
.LBB31_12:
	s_or_b64 exec, exec, s[2:3]
	v_cmp_gt_u32_e32 vcc, 16, v0
	s_waitcnt lgkmcnt(0)
	s_barrier
	s_and_saveexec_b64 s[24:25], vcc
	s_cbranch_execz .LBB31_14
; %bb.13:
	v_lshlrev_b32_e32 v1, 2, v2
	ds_read_b32 v1, v1 offset:4096
	v_and_b32_e32 v3, 15, v2
	v_cmp_ne_u32_e32 vcc, 15, v3
	v_addc_co_u32_e32 v4, vcc, 0, v2, vcc
	v_lshlrev_b32_e32 v4, 2, v4
	s_waitcnt lgkmcnt(0)
	ds_bpermute_b32 v4, v4, v1
	s_add_i32 s13, s13, 63
	s_lshr_b32 s13, s13, 6
	v_add_u32_e32 v5, 1, v3
	v_cmp_gt_u32_e64 s[2:3], 14, v3
	v_cmp_gt_u32_e32 vcc, s13, v5
	v_cndmask_b32_e64 v5, 0, 1, s[2:3]
	s_waitcnt lgkmcnt(0)
	v_add_f32_e32 v4, v1, v4
	v_lshlrev_b32_e32 v5, 1, v5
	v_cndmask_b32_e32 v4, v1, v4, vcc
	v_add_lshl_u32 v5, v5, v2, 2
	ds_bpermute_b32 v5, v5, v4
	v_add_u32_e32 v6, 2, v3
	v_cmp_gt_u32_e64 s[2:3], s13, v6
	v_add_u32_e32 v6, 4, v3
	s_waitcnt lgkmcnt(0)
	v_add_f32_e32 v5, v4, v5
	v_cndmask_b32_e64 v4, v4, v5, s[2:3]
	v_cmp_gt_u32_e64 s[2:3], 12, v3
	v_cndmask_b32_e64 v5, 0, 1, s[2:3]
	v_lshlrev_b32_e32 v5, 2, v5
	v_add_lshl_u32 v5, v5, v2, 2
	ds_bpermute_b32 v5, v5, v4
	v_cmp_gt_u32_e64 s[2:3], s13, v6
	s_waitcnt lgkmcnt(0)
	v_add_f32_e32 v5, v4, v5
	v_cndmask_b32_e64 v4, v4, v5, s[2:3]
	v_cmp_gt_u32_e64 s[2:3], 8, v3
	v_cndmask_b32_e64 v5, 0, 1, s[2:3]
	v_lshlrev_b32_e32 v5, 3, v5
	v_add_lshl_u32 v2, v5, v2, 2
	ds_bpermute_b32 v2, v2, v4
	v_add_u32_e32 v3, 8, v3
	v_cmp_gt_u32_e64 s[2:3], s13, v3
	s_waitcnt lgkmcnt(0)
	v_add_f32_e32 v2, v4, v2
	v_cndmask_b32_e64 v2, v4, v2, s[2:3]
	v_cndmask_b32_e32 v1, v1, v2, vcc
.LBB31_14:
	s_or_b64 exec, exec, s[24:25]
	v_cmp_eq_u32_e32 vcc, 0, v0
	s_and_saveexec_b64 s[2:3], vcc
	s_cbranch_execz .LBB31_16
; %bb.15:
	v_cvt_f32_i32_e32 v2, s20
	s_mov_b32 s13, 0x800000
	v_div_scale_f32 v3, s[24:25], v2, v2, v1
	v_rcp_f32_e32 v4, v3
	v_div_scale_f32 v5, vcc, v1, v2, v1
	v_fma_f32 v6, -v3, v4, 1.0
	v_fmac_f32_e32 v4, v6, v4
	v_mul_f32_e32 v6, v5, v4
	v_fma_f32 v7, -v3, v6, v5
	v_fmac_f32_e32 v6, v7, v4
	v_fma_f32 v3, -v3, v6, v5
	v_div_fmas_f32 v3, v3, v4, v6
	v_div_fixup_f32 v1, v3, v2, v1
	v_add_f32_e32 v1, s16, v1
	v_mul_f32_e32 v2, 0x4b800000, v1
	v_cmp_gt_f32_e32 vcc, s13, v1
	v_cndmask_b32_e32 v1, v1, v2, vcc
	v_rsq_f32_e32 v1, v1
	v_mul_f32_e32 v2, 0x45800000, v1
	v_cndmask_b32_e32 v1, v1, v2, vcc
	v_mov_b32_e32 v2, 0
	ds_write_b32 v2, v1 offset:4160
.LBB31_16:
	s_or_b64 exec, exec, s[2:3]
	s_ashr_i32 s2, s20, 31
	s_lshr_b32 s2, s2, 26
	s_add_i32 s3, s20, s2
	s_ashr_i32 s2, s3, 6
	s_cmp_lt_u32 s6, s48
	s_cselect_b32 s13, 12, 18
	s_add_u32 s16, s22, s13
	v_mov_b32_e32 v5, 0
	s_addc_u32 s17, s23, 0
	s_waitcnt lgkmcnt(0)
	s_barrier
	global_load_ushort v1, v5, s[16:17]
	ds_read_b32 v36, v5 offset:4160
	s_abs_i32 s13, s2
	v_cvt_f32_u32_e32 v2, s13
	s_sub_i32 s16, 0, s13
	s_ashr_i32 s3, s3, 31
	v_mov_b32_e32 v10, s12
	v_rcp_iflag_f32_e32 v2, v2
	v_mul_f32_e32 v2, 0x4f7ffffe, v2
	v_cvt_u32_f32_e32 v2, v2
	v_readfirstlane_b32 s17, v2
	s_mul_i32 s16, s16, s17
	s_mul_hi_u32 s16, s17, s16
	s_add_i32 s17, s17, s16
	s_waitcnt vmcnt(0)
	v_readfirstlane_b32 s47, v1
	s_mul_hi_u32 s16, s47, s17
	s_mul_i32 s17, s16, s13
	s_sub_i32 s17, s47, s17
	s_add_i32 s22, s16, 1
	s_sub_i32 s23, s17, s13
	s_cmp_ge_u32 s17, s13
	s_cselect_b32 s16, s22, s16
	s_cselect_b32 s17, s23, s17
	s_add_i32 s22, s16, 1
	s_cmp_ge_u32 s17, s13
	s_cselect_b32 s13, s22, s16
	s_xor_b32 s13, s13, s3
	s_sub_i32 s16, s13, s3
	s_abs_i32 s3, s16
	v_cvt_f32_u32_e32 v1, s3
	s_sub_i32 s22, 0, s3
	s_ashr_i32 s17, s16, 31
	s_ashr_i32 s13, s12, 31
	v_rcp_iflag_f32_e32 v1, v1
	v_mov_b32_e32 v11, s13
	v_mul_f32_e32 v1, 0x4f7ffffe, v1
	v_cvt_u32_f32_e32 v1, v1
	v_mul_lo_u32 v2, s22, v1
	v_mul_hi_u32 v2, v1, v2
	v_add_u32_e32 v1, v1, v2
	v_mul_hi_u32 v1, v0, v1
	v_mul_lo_u32 v2, v1, s3
	v_sub_u32_e32 v2, v0, v2
	v_add_u32_e32 v3, 1, v1
	v_cmp_le_u32_e32 vcc, s3, v2
	v_cndmask_b32_e32 v1, v1, v3, vcc
	v_subrev_u32_e32 v3, s3, v2
	v_cndmask_b32_e32 v2, v2, v3, vcc
	v_add_u32_e32 v3, 1, v1
	v_cmp_le_u32_e32 vcc, s3, v2
	v_cndmask_b32_e32 v1, v1, v3, vcc
	v_xor_b32_e32 v1, s17, v1
	v_subrev_u32_e32 v2, s17, v1
	v_mul_lo_u32 v1, v2, s16
	v_ashrrev_i32_e32 v3, 31, v2
	v_sub_u32_e32 v4, v0, v1
	v_lshlrev_b64 v[8:9], 4, v[2:3]
	v_add_co_u32_e32 v6, vcc, v8, v4
	v_addc_co_u32_e32 v7, vcc, 0, v9, vcc
	v_add_co_u32_e32 v8, vcc, 16, v8
	v_addc_co_u32_e32 v9, vcc, 0, v9, vcc
	v_cmp_gt_i64_e32 vcc, s[12:13], v[8:9]
	v_cndmask_b32_e32 v8, v10, v8, vcc
	v_cndmask_b32_e32 v9, v11, v9, vcc
	v_ashrrev_i32_e32 v11, 31, v8
	v_mov_b32_e32 v10, v8
	v_cmp_lt_i64_e32 vcc, v[6:7], v[10:11]
	s_and_saveexec_b64 s[22:23], vcc
	s_cbranch_execz .LBB31_26
; %bb.17:
	v_lshlrev_b64 v[12:13], 8, v[2:3]
	v_lshlrev_b64 v[14:15], 4, v[4:5]
	v_add_co_u32_e32 v12, vcc, v12, v14
	v_addc_co_u32_e32 v1, vcc, v13, v15, vcc
	s_lshl_b64 s[24:25], s[16:17], 6
	s_mul_hi_i32 s3, s16, 3
	s_mul_i32 s13, s16, 3
	s_lshl_b64 s[26:27], s[16:17], 1
	s_lshl_b64 s[30:31], s[16:17], 4
	s_mov_b64 s[28:29], 0
	v_mov_b32_e32 v5, 0
	v_mov_b32_e32 v13, s44
	;; [unrolled: 1-line block ×5, first 2 shown]
	v_pk_mov_b32 v[14:15], v[6:7], v[6:7] op_sel:[0,1]
                                        ; implicit-def: $sgpr34_sgpr35
	s_branch .LBB31_21
.LBB31_18:                              ;   in Loop: Header=BB31_21 Depth=1
	s_or_b64 exec, exec, s[40:41]
	s_orn2_b64 s[40:41], s[42:43], exec
.LBB31_19:                              ;   in Loop: Header=BB31_21 Depth=1
	s_or_b64 exec, exec, s[38:39]
	s_andn2_b64 s[34:35], s[34:35], exec
	s_and_b64 s[38:39], s[40:41], exec
	s_or_b64 s[34:35], s[34:35], s[38:39]
.LBB31_20:                              ;   in Loop: Header=BB31_21 Depth=1
	s_or_b64 exec, exec, s[36:37]
	s_and_b64 s[36:37], exec, s[34:35]
	s_or_b64 s[28:29], s[36:37], s[28:29]
	s_andn2_b64 exec, exec, s[28:29]
	s_cbranch_execz .LBB31_25
.LBB31_21:                              ; =>This Inner Loop Header: Depth=1
	v_add_co_u32_e32 v18, vcc, s33, v12
	v_addc_co_u32_e32 v19, vcc, v13, v1, vcc
	v_add_co_u32_e32 v22, vcc, s45, v12
	v_addc_co_u32_e32 v23, vcc, v25, v1, vcc
	global_load_dwordx4 v[28:31], v[18:19], off
	global_load_dwordx4 v[32:35], v[22:23], off
	v_add_co_u32_e32 v20, vcc, s14, v12
	v_addc_co_u32_e32 v21, vcc, v24, v1, vcc
	global_load_dwordx4 v[38:41], v[20:21], off
	v_add_co_u32_e32 v16, vcc, s16, v14
	v_addc_co_u32_e32 v17, vcc, v15, v26, vcc
	v_cmp_lt_i64_e32 vcc, v[16:17], v[10:11]
	s_or_b64 s[34:35], s[34:35], exec
	s_waitcnt vmcnt(1)
	v_add_f32_e32 v27, v28, v32
	v_add_f32_e32 v28, v29, v33
	;; [unrolled: 1-line block ×4, first 2 shown]
	s_waitcnt lgkmcnt(0)
	v_mul_f32_e32 v27, v36, v27
	v_mul_f32_e32 v28, v36, v28
	;; [unrolled: 1-line block ×4, first 2 shown]
	s_waitcnt vmcnt(0)
	v_mul_f32_e32 v27, v38, v27
	v_mul_f32_e32 v28, v39, v28
	;; [unrolled: 1-line block ×4, first 2 shown]
	v_max3_f32 v5, v5, |v27|, |v28|
	v_max3_f32 v5, v5, |v29|, |v30|
	s_and_saveexec_b64 s[36:37], vcc
	s_cbranch_execz .LBB31_20
; %bb.22:                               ;   in Loop: Header=BB31_21 Depth=1
	v_mov_b32_e32 v27, s31
	v_add_co_u32_e32 v18, vcc, s30, v18
	v_addc_co_u32_e32 v19, vcc, v19, v27, vcc
	v_add_co_u32_e32 v22, vcc, s30, v22
	v_addc_co_u32_e32 v23, vcc, v23, v27, vcc
	global_load_dwordx4 v[28:31], v[18:19], off
	global_load_dwordx4 v[32:35], v[22:23], off
	v_add_co_u32_e32 v20, vcc, s30, v20
	v_addc_co_u32_e32 v21, vcc, v21, v27, vcc
	global_load_dwordx4 v[38:41], v[20:21], off
	v_mov_b32_e32 v27, s27
	v_add_co_u32_e32 v42, vcc, s26, v14
	v_addc_co_u32_e32 v43, vcc, v27, v15, vcc
	v_cmp_lt_i64_e32 vcc, v[42:43], v[10:11]
	s_mov_b64 s[40:41], -1
	s_waitcnt vmcnt(1)
	v_add_f32_e32 v27, v28, v32
	v_add_f32_e32 v28, v29, v33
	;; [unrolled: 1-line block ×4, first 2 shown]
	v_mul_f32_e32 v27, v36, v27
	v_mul_f32_e32 v28, v36, v28
	v_mul_f32_e32 v29, v36, v29
	v_mul_f32_e32 v30, v36, v30
	s_waitcnt vmcnt(0)
	v_mul_f32_e32 v27, v38, v27
	v_mul_f32_e32 v28, v39, v28
	;; [unrolled: 1-line block ×4, first 2 shown]
	v_max3_f32 v5, v5, |v27|, |v28|
	v_max3_f32 v5, v5, |v29|, |v30|
	s_and_saveexec_b64 s[38:39], vcc
	s_cbranch_execz .LBB31_19
; %bb.23:                               ;   in Loop: Header=BB31_21 Depth=1
	v_mov_b32_e32 v27, s31
	v_add_co_u32_e32 v18, vcc, s30, v18
	v_addc_co_u32_e32 v19, vcc, v19, v27, vcc
	v_add_co_u32_e32 v22, vcc, s30, v22
	v_addc_co_u32_e32 v23, vcc, v23, v27, vcc
	global_load_dwordx4 v[28:31], v[18:19], off
	global_load_dwordx4 v[32:35], v[22:23], off
	v_add_co_u32_e32 v20, vcc, s30, v20
	v_addc_co_u32_e32 v21, vcc, v21, v27, vcc
	global_load_dwordx4 v[38:41], v[20:21], off
	v_mov_b32_e32 v27, s3
	v_add_co_u32_e32 v14, vcc, s13, v14
	v_addc_co_u32_e32 v15, vcc, v27, v15, vcc
	v_cmp_lt_i64_e32 vcc, v[14:15], v[10:11]
	s_mov_b64 s[42:43], -1
	s_waitcnt vmcnt(1)
	v_add_f32_e32 v14, v28, v32
	v_add_f32_e32 v15, v29, v33
	v_add_f32_e32 v27, v30, v34
	v_add_f32_e32 v28, v31, v35
	v_mul_f32_e32 v14, v36, v14
	v_mul_f32_e32 v15, v36, v15
	;; [unrolled: 1-line block ×4, first 2 shown]
	s_waitcnt vmcnt(0)
	v_mul_f32_e32 v14, v38, v14
	v_mul_f32_e32 v15, v39, v15
	;; [unrolled: 1-line block ×4, first 2 shown]
	v_max3_f32 v5, v5, |v14|, |v15|
	v_max3_f32 v5, v5, |v27|, |v28|
                                        ; implicit-def: $vgpr14_vgpr15
	s_and_saveexec_b64 s[40:41], vcc
	s_xor_b64 s[40:41], exec, s[40:41]
	s_cbranch_execz .LBB31_18
; %bb.24:                               ;   in Loop: Header=BB31_21 Depth=1
	v_mov_b32_e32 v27, s31
	v_add_co_u32_e32 v14, vcc, s30, v18
	v_addc_co_u32_e32 v15, vcc, v19, v27, vcc
	global_load_dwordx4 v[28:31], v[14:15], off
	v_add_co_u32_e32 v14, vcc, s30, v22
	v_addc_co_u32_e32 v15, vcc, v23, v27, vcc
	global_load_dwordx4 v[32:35], v[14:15], off
	v_add_co_u32_e32 v14, vcc, s30, v20
	v_addc_co_u32_e32 v15, vcc, v21, v27, vcc
	global_load_dwordx4 v[18:21], v[14:15], off
	s_add_u32 s42, s16, s16
	s_addc_u32 s43, s17, s17
	v_mov_b32_e32 v14, s25
	v_add_co_u32_e32 v12, vcc, s24, v12
	s_add_u32 s42, s42, s16
	v_addc_co_u32_e32 v1, vcc, v1, v14, vcc
	s_addc_u32 s43, s43, s17
	v_mov_b32_e32 v15, s43
	v_add_co_u32_e32 v14, vcc, s42, v16
	v_addc_co_u32_e32 v15, vcc, v15, v17, vcc
	v_cmp_ge_i64_e32 vcc, v[14:15], v[10:11]
	s_orn2_b64 s[42:43], vcc, exec
	s_waitcnt vmcnt(1)
	v_add_f32_e32 v16, v28, v32
	v_add_f32_e32 v17, v29, v33
	;; [unrolled: 1-line block ×4, first 2 shown]
	v_mul_f32_e32 v16, v36, v16
	v_mul_f32_e32 v17, v36, v17
	;; [unrolled: 1-line block ×4, first 2 shown]
	s_waitcnt vmcnt(0)
	v_mul_f32_e32 v16, v18, v16
	v_mul_f32_e32 v17, v19, v17
	;; [unrolled: 1-line block ×4, first 2 shown]
	v_max3_f32 v5, v5, |v16|, |v17|
	v_max3_f32 v5, v5, |v18|, |v19|
	s_branch .LBB31_18
.LBB31_25:
	s_or_b64 exec, exec, s[28:29]
.LBB31_26:
	s_or_b64 exec, exec, s[22:23]
	s_lshr_b32 s13, s47, 6
	v_cvt_f32_u32_e32 v10, s13
	v_lshlrev_b32_e32 v1, 2, v0
	ds_write_b32 v1, v5
	s_sub_i32 s23, 0, s13
	v_rcp_iflag_f32_e32 v5, v10
	s_add_i32 s3, s2, s13
	s_add_i32 s3, s3, -1
	s_ashr_i32 s22, s3, 31
	v_mul_f32_e32 v5, 0x4f7ffffe, v5
	v_cvt_u32_f32_e32 v5, v5
	s_abs_i32 s3, s3
	s_waitcnt lgkmcnt(0)
	s_barrier
	v_readfirstlane_b32 s24, v5
	s_mul_i32 s23, s23, s24
	s_mul_hi_u32 s23, s24, s23
	s_add_i32 s24, s24, s23
	s_mul_hi_u32 s23, s3, s24
	s_mul_i32 s24, s23, s13
	s_sub_i32 s3, s3, s24
	s_add_i32 s24, s23, 1
	s_sub_i32 s25, s3, s13
	s_cmp_ge_u32 s3, s13
	s_cselect_b32 s23, s24, s23
	s_cselect_b32 s3, s25, s3
	s_add_i32 s24, s23, 1
	s_cmp_ge_u32 s3, s13
	s_cselect_b32 s3, s24, s23
	s_xor_b32 s3, s3, s22
	s_sub_i32 s22, s3, s22
	s_ashr_i32 s23, s22, 31
	v_cmp_lt_i64_e64 s[24:25], s[22:23], 1
	s_and_b64 vcc, exec, s[24:25]
	s_cbranch_vccnz .LBB31_48
; %bb.27:
	v_and_b32_e32 v12, 63, v0
	v_add_co_u32_e32 v14, vcc, 32, v12
	v_addc_co_u32_e64 v15, s[24:25], 0, 0, vcc
	v_add_co_u32_e32 v16, vcc, 16, v12
	v_addc_co_u32_e64 v17, s[24:25], 0, 0, vcc
	;; [unrolled: 2-line block ×4, first 2 shown]
	v_add_co_u32_e32 v22, vcc, 2, v12
	v_lshrrev_b32_e32 v10, 6, v0
	v_addc_co_u32_e64 v23, s[24:25], 0, 0, vcc
	v_add_co_u32_e32 v24, vcc, 1, v12
	v_addc_co_u32_e64 v25, s[24:25], 0, 0, vcc
	v_mul_lo_u32 v5, s16, v10
	v_lshlrev_b32_e32 v5, 2, v5
	v_lshlrev_b32_e32 v26, 2, v12
	s_movk_i32 s24, 0x100
	v_mov_b32_e32 v11, 0
	v_add3_u32 v5, v5, v26, s24
	s_mul_i32 s24, s16, s13
	s_ashr_i32 s3, s2, 31
	v_mov_b32_e32 v13, v11
	s_lshl_b32 s36, s24, 2
	s_mov_b64 s[24:25], 0
	v_mov_b32_e32 v37, s13
	s_mov_b64 s[26:27], src_shared_base
	s_branch .LBB31_30
.LBB31_28:                              ;   in Loop: Header=BB31_30 Depth=1
	s_or_b64 exec, exec, s[30:31]
	v_mov_b32_e32 v27, s27
	flat_load_dword v26, v[26:27] glc
	s_waitcnt vmcnt(0)
.LBB31_29:                              ;   in Loop: Header=BB31_30 Depth=1
	s_or_b64 exec, exec, s[28:29]
	s_add_u32 s24, s24, 1
	s_addc_u32 s25, s25, 0
	s_cmp_eq_u64 s[24:25], s[22:23]
	v_add_u32_e32 v5, s36, v5
	s_cbranch_scc1 .LBB31_48
.LBB31_30:                              ; =>This Loop Header: Depth=1
                                        ;     Child Loop BB31_33 Depth 2
	v_mad_u64_u32 v[30:31], s[28:29], s24, v37, v[10:11]
	s_mul_i32 s26, s25, s13
	v_add_u32_e32 v31, s26, v31
	v_cmp_gt_i64_e32 vcc, s[2:3], v[30:31]
	s_and_saveexec_b64 s[28:29], vcc
	s_cbranch_execz .LBB31_29
; %bb.31:                               ;   in Loop: Header=BB31_30 Depth=1
	v_pk_mov_b32 v[32:33], s[16:17], s[16:17] op_sel:[0,1]
	v_mul_lo_u32 v29, v31, s16
	v_mul_lo_u32 v38, v30, s17
	v_mad_u64_u32 v[32:33], s[30:31], v30, s16, v[32:33]
	v_add3_u32 v33, v29, v33, v38
	v_mov_b32_e32 v28, s21
	v_cmp_gt_i64_e32 vcc, s[20:21], v[32:33]
	s_waitcnt lgkmcnt(0)
	v_mad_u64_u32 v[26:27], s[30:31], v30, s16, v[12:13]
	v_cndmask_b32_e32 v33, v28, v33, vcc
	v_mov_b32_e32 v28, s20
	v_add3_u32 v27, v29, v27, v38
	v_cndmask_b32_e32 v32, v28, v32, vcc
	v_add_co_u32_e32 v34, vcc, 64, v26
	v_addc_co_u32_e32 v35, vcc, 0, v27, vcc
	v_cmp_lt_i64_e32 vcc, v[34:35], v[32:33]
	v_lshlrev_b32_e32 v28, 2, v26
	s_and_saveexec_b64 s[30:31], vcc
	s_cbranch_execz .LBB31_34
; %bb.32:                               ;   in Loop: Header=BB31_30 Depth=1
	ds_read_b32 v31, v28
	s_mov_b64 s[34:35], 0
	v_mov_b32_e32 v27, v5
.LBB31_33:                              ;   Parent Loop BB31_30 Depth=1
                                        ; =>  This Inner Loop Header: Depth=2
	ds_read_b32 v39, v27
	v_add_co_u32_e32 v34, vcc, 64, v34
	v_addc_co_u32_e32 v35, vcc, 0, v35, vcc
	s_waitcnt lgkmcnt(1)
	v_max_f32_e32 v31, v31, v31
	v_cmp_ge_i64_e32 vcc, v[34:35], v[32:33]
	s_waitcnt lgkmcnt(0)
	v_max_f32_e32 v39, v39, v39
	v_add_u32_e32 v27, 0x100, v27
	s_or_b64 s[34:35], vcc, s[34:35]
	v_max_f32_e32 v31, v31, v39
	ds_write_b32 v28, v31
	s_andn2_b64 exec, exec, s[34:35]
	s_cbranch_execnz .LBB31_33
.LBB31_34:                              ;   in Loop: Header=BB31_30 Depth=1
	s_or_b64 exec, exec, s[30:31]
	v_mad_u64_u32 v[30:31], s[30:31], v30, s16, 0
	v_add3_u32 v27, v31, v38, v29
	v_sub_co_u32_e32 v30, vcc, v32, v30
	v_subb_co_u32_e32 v31, vcc, v33, v27, vcc
	v_cmp_gt_i64_e32 vcc, 64, v[30:31]
	v_cndmask_b32_e32 v31, 0, v31, vcc
	v_cndmask_b32_e32 v30, 64, v30, vcc
	v_cmp_lt_i64_e32 vcc, v[14:15], v[30:31]
	s_and_saveexec_b64 s[30:31], vcc
	s_cbranch_execnz .LBB31_46
; %bb.35:                               ;   in Loop: Header=BB31_30 Depth=1
	s_or_b64 exec, exec, s[30:31]
	v_cmp_lt_i64_e32 vcc, v[16:17], v[30:31]
	s_and_saveexec_b64 s[30:31], vcc
	s_cbranch_execnz .LBB31_47
.LBB31_36:                              ;   in Loop: Header=BB31_30 Depth=1
	s_or_b64 exec, exec, s[30:31]
	v_cmp_lt_i64_e32 vcc, v[18:19], v[30:31]
	s_and_saveexec_b64 s[30:31], vcc
	s_cbranch_execz .LBB31_38
.LBB31_37:                              ;   in Loop: Header=BB31_30 Depth=1
	v_mov_b32_e32 v29, s27
	v_add_u32_e32 v32, 32, v28
	v_mov_b32_e32 v33, s27
	flat_load_dword v27, v[28:29] glc
	s_waitcnt vmcnt(0)
	flat_load_dword v34, v[32:33] glc
	s_waitcnt vmcnt(0) lgkmcnt(0)
	v_max_f32_e32 v27, v27, v27
	v_max_f32_e32 v32, v34, v34
	;; [unrolled: 1-line block ×3, first 2 shown]
	flat_store_dword v[28:29], v27
	s_waitcnt vmcnt(0)
.LBB31_38:                              ;   in Loop: Header=BB31_30 Depth=1
	s_or_b64 exec, exec, s[30:31]
	v_cmp_ge_i64_e32 vcc, v[20:21], v[30:31]
	s_and_saveexec_b64 s[30:31], vcc
	s_xor_b64 s[30:31], exec, s[30:31]
; %bb.39:                               ;   in Loop: Header=BB31_30 Depth=1
                                        ; implicit-def: $vgpr28
; %bb.40:                               ;   in Loop: Header=BB31_30 Depth=1
	s_andn2_saveexec_b64 s[30:31], s[30:31]
	s_cbranch_execz .LBB31_42
; %bb.41:                               ;   in Loop: Header=BB31_30 Depth=1
	v_mov_b32_e32 v29, s27
	v_add_u32_e32 v32, 16, v28
	v_mov_b32_e32 v33, s27
	flat_load_dword v27, v[28:29] glc
	s_waitcnt vmcnt(0)
	flat_load_dword v34, v[32:33] glc
	s_waitcnt vmcnt(0) lgkmcnt(0)
	v_max_f32_e32 v27, v27, v27
	v_max_f32_e32 v32, v34, v34
	;; [unrolled: 1-line block ×3, first 2 shown]
	flat_store_dword v[28:29], v27
	s_waitcnt vmcnt(0)
.LBB31_42:                              ;   in Loop: Header=BB31_30 Depth=1
	s_or_b64 exec, exec, s[30:31]
	v_cmp_lt_i64_e32 vcc, v[22:23], v[30:31]
	v_lshlrev_b32_e32 v26, 2, v26
	s_and_saveexec_b64 s[30:31], vcc
	s_cbranch_execz .LBB31_44
; %bb.43:                               ;   in Loop: Header=BB31_30 Depth=1
	v_mov_b32_e32 v27, s27
	v_add_u32_e32 v28, 8, v26
	v_mov_b32_e32 v29, s27
	flat_load_dword v32, v[26:27] glc
	s_waitcnt vmcnt(0)
	flat_load_dword v33, v[28:29] glc
	s_waitcnt vmcnt(0) lgkmcnt(0)
	v_max_f32_e32 v28, v32, v32
	v_max_f32_e32 v29, v33, v33
	;; [unrolled: 1-line block ×3, first 2 shown]
	flat_store_dword v[26:27], v28
	s_waitcnt vmcnt(0)
.LBB31_44:                              ;   in Loop: Header=BB31_30 Depth=1
	s_or_b64 exec, exec, s[30:31]
	v_cmp_lt_i64_e32 vcc, v[24:25], v[30:31]
	s_and_saveexec_b64 s[30:31], vcc
	s_cbranch_execz .LBB31_28
; %bb.45:                               ;   in Loop: Header=BB31_30 Depth=1
	v_mov_b32_e32 v27, s27
	v_add_u32_e32 v28, 4, v26
	v_mov_b32_e32 v29, s27
	flat_load_dword v30, v[26:27] glc
	s_waitcnt vmcnt(0)
	flat_load_dword v31, v[28:29] glc
	s_waitcnt vmcnt(0) lgkmcnt(0)
	v_max_f32_e32 v28, v30, v30
	v_max_f32_e32 v29, v31, v31
	;; [unrolled: 1-line block ×3, first 2 shown]
	flat_store_dword v[26:27], v28
	s_waitcnt vmcnt(0)
	s_branch .LBB31_28
.LBB31_46:                              ;   in Loop: Header=BB31_30 Depth=1
	v_mov_b32_e32 v29, s27
	v_add_u32_e32 v32, 0x80, v28
	v_mov_b32_e32 v33, s27
	flat_load_dword v27, v[28:29] glc
	s_waitcnt vmcnt(0)
	flat_load_dword v34, v[32:33] glc
	s_waitcnt vmcnt(0) lgkmcnt(0)
	v_max_f32_e32 v27, v27, v27
	v_max_f32_e32 v32, v34, v34
	;; [unrolled: 1-line block ×3, first 2 shown]
	flat_store_dword v[28:29], v27
	s_waitcnt vmcnt(0)
	s_or_b64 exec, exec, s[30:31]
	v_cmp_lt_i64_e32 vcc, v[16:17], v[30:31]
	s_and_saveexec_b64 s[30:31], vcc
	s_cbranch_execz .LBB31_36
.LBB31_47:                              ;   in Loop: Header=BB31_30 Depth=1
	v_mov_b32_e32 v29, s27
	v_add_u32_e32 v32, 64, v28
	v_mov_b32_e32 v33, s27
	flat_load_dword v27, v[28:29] glc
	s_waitcnt vmcnt(0)
	flat_load_dword v34, v[32:33] glc
	s_waitcnt vmcnt(0) lgkmcnt(0)
	v_max_f32_e32 v27, v27, v27
	v_max_f32_e32 v32, v34, v34
	;; [unrolled: 1-line block ×3, first 2 shown]
	flat_store_dword v[28:29], v27
	s_waitcnt vmcnt(0)
	s_or_b64 exec, exec, s[30:31]
	v_cmp_lt_i64_e32 vcc, v[18:19], v[30:31]
	s_and_saveexec_b64 s[30:31], vcc
	s_cbranch_execnz .LBB31_37
	s_branch .LBB31_38
.LBB31_48:
	s_load_dwordx2 s[16:17], s[4:5], 0x40
	v_cmp_eq_u32_e32 vcc, 0, v4
	v_cmp_lt_i64_e64 s[2:3], v[6:7], v[8:9]
	s_and_b64 s[2:3], vcc, s[2:3]
	s_waitcnt lgkmcnt(0)
	s_barrier
	s_and_saveexec_b64 s[20:21], s[2:3]
	s_cbranch_execz .LBB31_55
; %bb.49:
	s_load_dwordx2 s[2:3], s[4:5], 0x20
	ds_read_b32 v1, v1
	s_waitcnt lgkmcnt(0)
	s_cmp_eq_u64 s[2:3], 0
	s_cbranch_scc1 .LBB31_51
; %bb.50:
	s_load_dword s2, s[2:3], 0x0
	v_max_f32_e32 v1, v1, v1
	s_waitcnt lgkmcnt(0)
	v_max_f32_e64 v4, s2, s2
	v_min_f32_e32 v1, v1, v4
.LBB31_51:
	s_add_u32 s3, s16, s48
	s_addc_u32 s4, s17, 0
	s_add_u32 s22, s3, -1
	s_addc_u32 s23, s4, -1
	s_or_b64 s[4:5], s[22:23], s[16:17]
	s_mov_b32 s2, 0
	s_mov_b32 s3, s5
	s_cmp_lg_u64 s[2:3], 0
	s_mov_b64 s[24:25], -1
	s_cbranch_scc0 .LBB31_196
; %bb.52:
	s_ashr_i32 s2, s17, 31
	s_add_u32 s4, s16, s2
	s_mov_b32 s3, s2
	s_addc_u32 s5, s17, s2
	s_xor_b64 s[26:27], s[4:5], s[2:3]
	v_cvt_f32_u32_e32 v4, s26
	v_cvt_f32_u32_e32 v5, s27
	s_sub_u32 s2, 0, s26
	s_subb_u32 s3, 0, s27
	v_madmk_f32 v4, v5, 0x4f800000, v4
	v_rcp_f32_e32 v4, v4
	v_mul_f32_e32 v4, 0x5f7ffffc, v4
	v_mul_f32_e32 v5, 0x2f800000, v4
	v_trunc_f32_e32 v5, v5
	v_madmk_f32 v4, v5, 0xcf800000, v4
	v_cvt_u32_f32_e32 v5, v5
	v_cvt_u32_f32_e32 v4, v4
	v_readfirstlane_b32 s4, v5
	v_readfirstlane_b32 s5, v4
	s_mul_i32 s13, s2, s4
	s_mul_hi_u32 s29, s2, s5
	s_mul_i32 s28, s3, s5
	s_add_i32 s13, s29, s13
	s_add_i32 s13, s13, s28
	s_mul_i32 s30, s2, s5
	s_mul_hi_u32 s28, s5, s13
	s_mul_i32 s29, s5, s13
	s_mul_hi_u32 s5, s5, s30
	s_add_u32 s5, s5, s29
	s_addc_u32 s28, 0, s28
	s_mul_hi_u32 s31, s4, s30
	s_mul_i32 s30, s4, s30
	s_add_u32 s5, s5, s30
	s_mul_hi_u32 s29, s4, s13
	s_addc_u32 s5, s28, s31
	s_addc_u32 s28, s29, 0
	s_mul_i32 s13, s4, s13
	s_add_u32 s5, s5, s13
	s_addc_u32 s13, 0, s28
	v_add_co_u32_e32 v4, vcc, s5, v4
	s_cmp_lg_u64 vcc, 0
	s_addc_u32 s4, s4, s13
	v_readfirstlane_b32 s13, v4
	s_mul_i32 s5, s2, s4
	s_mul_hi_u32 s28, s2, s13
	s_add_i32 s5, s28, s5
	s_mul_i32 s3, s3, s13
	s_add_i32 s5, s5, s3
	s_mul_i32 s2, s2, s13
	s_mul_hi_u32 s28, s4, s2
	s_mul_i32 s29, s4, s2
	s_mul_i32 s31, s13, s5
	s_mul_hi_u32 s2, s13, s2
	s_mul_hi_u32 s30, s13, s5
	s_add_u32 s2, s2, s31
	s_addc_u32 s13, 0, s30
	s_add_u32 s2, s2, s29
	s_mul_hi_u32 s3, s4, s5
	s_addc_u32 s2, s13, s28
	s_addc_u32 s3, s3, 0
	s_mul_i32 s5, s4, s5
	s_add_u32 s2, s2, s5
	s_addc_u32 s3, 0, s3
	v_add_co_u32_e32 v4, vcc, s2, v4
	s_cmp_lg_u64 vcc, 0
	s_addc_u32 s4, s4, s3
	s_ashr_i32 s28, s23, 31
	s_add_u32 s2, s22, s28
	s_mov_b32 s29, s28
	s_addc_u32 s3, s23, s28
	s_xor_b64 s[30:31], s[2:3], s[28:29]
	v_readfirstlane_b32 s5, v4
	s_mul_i32 s3, s30, s4
	s_mul_hi_u32 s13, s30, s5
	s_mul_hi_u32 s2, s30, s4
	s_add_u32 s3, s13, s3
	s_addc_u32 s2, 0, s2
	s_mul_hi_u32 s29, s31, s5
	s_mul_i32 s5, s31, s5
	s_add_u32 s3, s3, s5
	s_mul_hi_u32 s13, s31, s4
	s_addc_u32 s2, s2, s29
	s_addc_u32 s3, s13, 0
	s_mul_i32 s4, s31, s4
	s_add_u32 s2, s2, s4
	s_addc_u32 s3, 0, s3
	s_mul_i32 s3, s26, s3
	s_mul_hi_u32 s4, s26, s2
	s_add_i32 s3, s4, s3
	s_mul_i32 s4, s27, s2
	s_mul_i32 s2, s26, s2
	s_add_i32 s13, s3, s4
	v_mov_b32_e32 v4, s2
	s_sub_i32 s3, s31, s13
	v_sub_co_u32_e32 v4, vcc, s30, v4
	s_cmp_lg_u64 vcc, 0
	s_subb_u32 s29, s3, s27
	v_subrev_co_u32_e64 v5, s[2:3], s26, v4
	s_cmp_lg_u64 s[2:3], 0
	s_subb_u32 s30, s29, 0
	s_cmp_ge_u32 s30, s27
	s_cselect_b32 s34, -1, 0
	v_cmp_le_u32_e64 s[4:5], s26, v5
	s_cmp_eq_u32 s30, s27
	v_cndmask_b32_e64 v6, 0, -1, s[4:5]
	v_mov_b32_e32 v7, s34
	s_cselect_b64 s[4:5], -1, 0
	s_cmp_lg_u64 s[2:3], 0
	v_cndmask_b32_e64 v6, v7, v6, s[4:5]
	s_subb_u32 s4, s29, s27
	v_subrev_co_u32_e64 v7, s[2:3], s26, v5
	s_cmp_lg_u64 s[2:3], 0
	s_subb_u32 s4, s4, 0
	v_cmp_ne_u32_e64 s[2:3], 0, v6
	v_cndmask_b32_e64 v5, v5, v7, s[2:3]
	v_mov_b32_e32 v6, s30
	v_mov_b32_e32 v7, s4
	s_cmp_lg_u64 vcc, 0
	v_cndmask_b32_e64 v6, v6, v7, s[2:3]
	s_subb_u32 s2, s31, s13
	s_cmp_ge_u32 s2, s27
	s_cselect_b32 s3, -1, 0
	v_cmp_le_u32_e32 vcc, s26, v4
	s_cmp_eq_u32 s2, s27
	v_cndmask_b32_e64 v7, 0, -1, vcc
	v_mov_b32_e32 v8, s3
	s_cselect_b64 vcc, -1, 0
	v_cndmask_b32_e32 v7, v8, v7, vcc
	v_cmp_ne_u32_e32 vcc, 0, v7
	v_mov_b32_e32 v8, s2
	v_cndmask_b32_e32 v4, v4, v5, vcc
	v_cndmask_b32_e32 v6, v8, v6, vcc
	v_xor_b32_e32 v4, s28, v4
	v_xor_b32_e32 v5, s28, v6
	v_mov_b32_e32 v6, s28
	v_subrev_co_u32_e32 v4, vcc, s28, v4
	v_subb_co_u32_e32 v5, vcc, v5, v6, vcc
	s_cbranch_execnz .LBB31_54
.LBB31_53:
	v_cvt_f32_u32_e32 v4, s16
	s_sub_i32 s2, 0, s16
	v_rcp_iflag_f32_e32 v4, v4
	v_mul_f32_e32 v4, 0x4f7ffffe, v4
	v_cvt_u32_f32_e32 v4, v4
	v_mul_lo_u32 v5, s2, v4
	v_mul_hi_u32 v5, v4, v5
	v_add_u32_e32 v4, v4, v5
	v_mul_hi_u32 v4, s22, v4
	v_mul_lo_u32 v4, v4, s16
	v_sub_u32_e32 v4, s22, v4
	v_subrev_u32_e32 v5, s16, v4
	v_cmp_le_u32_e32 vcc, s16, v4
	v_cndmask_b32_e32 v4, v4, v5, vcc
	v_subrev_u32_e32 v5, s16, v4
	v_cmp_le_u32_e32 vcc, s16, v4
	v_cndmask_b32_e32 v4, v4, v5, vcc
	v_mov_b32_e32 v5, 0
.LBB31_54:
	s_mov_b32 s4, 0x43600000
	v_div_scale_f32 v6, s[2:3], s4, s4, v1
	v_rcp_f32_e32 v7, v6
	v_div_scale_f32 v8, vcc, v1, s4, v1
	v_fma_f32 v9, -v6, v7, 1.0
	v_fmac_f32_e32 v7, v9, v7
	v_mul_f32_e32 v9, v8, v7
	v_fma_f32 v10, -v6, v9, v8
	v_fmac_f32_e32 v9, v10, v7
	v_fma_f32 v6, -v6, v9, v8
	v_div_fmas_f32 v6, v6, v7, v9
	v_div_fixup_f32 v1, v6, s4, v1
	v_mov_b32_e32 v6, s23
	v_sub_co_u32_e32 v4, vcc, s22, v4
	v_subb_co_u32_e32 v5, vcc, v6, v5, vcc
	v_mul_lo_u32 v5, v5, v2
	v_mul_lo_u32 v6, v4, v3
	v_mad_u64_u32 v[2:3], s[2:3], v4, v2, 0
	s_lshl_b64 s[2:3], s[6:7], 2
	v_add3_u32 v3, v3, v6, v5
	s_add_u32 s2, s2, s10
	v_lshlrev_b64 v[2:3], 2, v[2:3]
	s_addc_u32 s3, s3, s11
	v_mov_b32_e32 v4, s3
	v_add_co_u32_e32 v2, vcc, s2, v2
	v_max_f32_e32 v1, 0x37124925, v1
	v_addc_co_u32_e32 v3, vcc, v4, v3, vcc
	global_store_dword v[2:3], v1, off
.LBB31_55:
	s_or_b64 exec, exec, s[20:21]
	s_barrier
	s_and_saveexec_b64 s[2:3], s[0:1]
	s_cbranch_execz .LBB31_195
; %bb.56:
	s_add_u32 s1, s16, s48
	s_addc_u32 s2, s17, 0
	s_add_u32 s4, s1, -1
	s_addc_u32 s5, s2, -1
	s_or_b64 s[2:3], s[4:5], s[16:17]
	s_mov_b32 s0, 0
	s_mov_b32 s1, s3
	s_cmp_lg_u64 s[0:1], 0
	s_mov_b64 s[20:21], -1
	s_cbranch_scc0 .LBB31_197
; %bb.57:
	s_ashr_i32 s0, s17, 31
	s_add_u32 s2, s16, s0
	s_mov_b32 s1, s0
	s_addc_u32 s3, s17, s0
	s_xor_b64 s[22:23], s[2:3], s[0:1]
	v_cvt_f32_u32_e32 v1, s22
	v_cvt_f32_u32_e32 v2, s23
	s_sub_u32 s0, 0, s22
	s_subb_u32 s1, 0, s23
	v_madmk_f32 v1, v2, 0x4f800000, v1
	v_rcp_f32_e32 v1, v1
	v_mul_f32_e32 v1, 0x5f7ffffc, v1
	v_mul_f32_e32 v2, 0x2f800000, v1
	v_trunc_f32_e32 v2, v2
	v_madmk_f32 v1, v2, 0xcf800000, v1
	v_cvt_u32_f32_e32 v2, v2
	v_cvt_u32_f32_e32 v1, v1
	v_readfirstlane_b32 s2, v2
	v_readfirstlane_b32 s3, v1
	s_mul_i32 s13, s0, s2
	s_mul_hi_u32 s24, s0, s3
	s_mul_i32 s17, s1, s3
	s_add_i32 s13, s24, s13
	s_add_i32 s13, s13, s17
	s_mul_i32 s25, s0, s3
	s_mul_hi_u32 s17, s3, s13
	s_mul_i32 s24, s3, s13
	s_mul_hi_u32 s3, s3, s25
	s_add_u32 s3, s3, s24
	s_addc_u32 s17, 0, s17
	s_mul_hi_u32 s26, s2, s25
	s_mul_i32 s25, s2, s25
	s_add_u32 s3, s3, s25
	s_mul_hi_u32 s24, s2, s13
	s_addc_u32 s3, s17, s26
	s_addc_u32 s17, s24, 0
	s_mul_i32 s13, s2, s13
	s_add_u32 s3, s3, s13
	s_addc_u32 s13, 0, s17
	v_add_co_u32_e32 v1, vcc, s3, v1
	s_cmp_lg_u64 vcc, 0
	s_addc_u32 s2, s2, s13
	v_readfirstlane_b32 s13, v1
	s_mul_i32 s3, s0, s2
	s_mul_hi_u32 s17, s0, s13
	s_add_i32 s3, s17, s3
	s_mul_i32 s1, s1, s13
	s_add_i32 s3, s3, s1
	s_mul_i32 s0, s0, s13
	s_mul_hi_u32 s17, s2, s0
	s_mul_i32 s24, s2, s0
	s_mul_i32 s26, s13, s3
	s_mul_hi_u32 s0, s13, s0
	s_mul_hi_u32 s25, s13, s3
	s_add_u32 s0, s0, s26
	s_addc_u32 s13, 0, s25
	s_add_u32 s0, s0, s24
	s_mul_hi_u32 s1, s2, s3
	s_addc_u32 s0, s13, s17
	s_addc_u32 s1, s1, 0
	s_mul_i32 s3, s2, s3
	s_add_u32 s0, s0, s3
	s_addc_u32 s1, 0, s1
	v_add_co_u32_e32 v1, vcc, s0, v1
	s_cmp_lg_u64 vcc, 0
	s_addc_u32 s2, s2, s1
	s_ashr_i32 s24, s5, 31
	s_add_u32 s0, s4, s24
	s_mov_b32 s25, s24
	s_addc_u32 s1, s5, s24
	s_xor_b64 s[26:27], s[0:1], s[24:25]
	v_readfirstlane_b32 s3, v1
	s_mul_i32 s1, s26, s2
	s_mul_hi_u32 s13, s26, s3
	s_mul_hi_u32 s0, s26, s2
	s_add_u32 s1, s13, s1
	s_addc_u32 s0, 0, s0
	s_mul_hi_u32 s17, s27, s3
	s_mul_i32 s3, s27, s3
	s_add_u32 s1, s1, s3
	s_mul_hi_u32 s13, s27, s2
	s_addc_u32 s0, s0, s17
	s_addc_u32 s1, s13, 0
	s_mul_i32 s2, s27, s2
	s_add_u32 s0, s0, s2
	s_addc_u32 s1, 0, s1
	s_mul_i32 s1, s22, s1
	s_mul_hi_u32 s2, s22, s0
	s_add_i32 s1, s2, s1
	s_mul_i32 s2, s23, s0
	s_mul_i32 s0, s22, s0
	s_add_i32 s13, s1, s2
	v_mov_b32_e32 v1, s0
	s_sub_i32 s1, s27, s13
	v_sub_co_u32_e32 v1, vcc, s26, v1
	s_cmp_lg_u64 vcc, 0
	s_subb_u32 s17, s1, s23
	v_subrev_co_u32_e64 v2, s[0:1], s22, v1
	s_cmp_lg_u64 s[0:1], 0
	s_subb_u32 s25, s17, 0
	s_cmp_ge_u32 s25, s23
	s_cselect_b32 s26, -1, 0
	v_cmp_le_u32_e64 s[2:3], s22, v2
	s_cmp_eq_u32 s25, s23
	v_cndmask_b32_e64 v3, 0, -1, s[2:3]
	v_mov_b32_e32 v4, s26
	s_cselect_b64 s[2:3], -1, 0
	s_cmp_lg_u64 s[0:1], 0
	v_cndmask_b32_e64 v3, v4, v3, s[2:3]
	s_subb_u32 s2, s17, s23
	v_subrev_co_u32_e64 v4, s[0:1], s22, v2
	s_cmp_lg_u64 s[0:1], 0
	s_subb_u32 s2, s2, 0
	v_cmp_ne_u32_e64 s[0:1], 0, v3
	v_cndmask_b32_e64 v2, v2, v4, s[0:1]
	v_mov_b32_e32 v3, s25
	v_mov_b32_e32 v4, s2
	s_cmp_lg_u64 vcc, 0
	v_cndmask_b32_e64 v3, v3, v4, s[0:1]
	s_subb_u32 s0, s27, s13
	s_cmp_ge_u32 s0, s23
	s_cselect_b32 s1, -1, 0
	v_cmp_le_u32_e32 vcc, s22, v1
	s_cmp_eq_u32 s0, s23
	v_cndmask_b32_e64 v4, 0, -1, vcc
	v_mov_b32_e32 v5, s1
	s_cselect_b64 vcc, -1, 0
	v_cndmask_b32_e32 v4, v5, v4, vcc
	v_cmp_ne_u32_e32 vcc, 0, v4
	v_mov_b32_e32 v5, s0
	v_cndmask_b32_e32 v1, v1, v2, vcc
	v_cndmask_b32_e32 v3, v5, v3, vcc
	v_xor_b32_e32 v1, s24, v1
	v_xor_b32_e32 v3, s24, v3
	v_mov_b32_e32 v4, s24
	v_subrev_co_u32_e32 v2, vcc, s24, v1
	v_subb_co_u32_e32 v3, vcc, v3, v4, vcc
	s_cbranch_execnz .LBB31_59
.LBB31_58:
	v_cvt_f32_u32_e32 v1, s16
	s_sub_i32 s0, 0, s16
	v_mov_b32_e32 v3, 0
	v_rcp_iflag_f32_e32 v1, v1
	v_mul_f32_e32 v1, 0x4f7ffffe, v1
	v_cvt_u32_f32_e32 v1, v1
	v_mul_lo_u32 v2, s0, v1
	v_mul_hi_u32 v2, v1, v2
	v_add_u32_e32 v1, v1, v2
	v_mul_hi_u32 v1, s4, v1
	v_mul_lo_u32 v1, v1, s16
	v_sub_u32_e32 v1, s4, v1
	v_subrev_u32_e32 v2, s16, v1
	v_cmp_le_u32_e32 vcc, s16, v1
	v_cndmask_b32_e32 v1, v1, v2, vcc
	v_subrev_u32_e32 v2, s16, v1
	v_cmp_le_u32_e32 vcc, s16, v1
	v_cndmask_b32_e32 v2, v1, v2, vcc
.LBB31_59:
	s_add_u32 s13, s8, s18
	s_addc_u32 s18, s9, s19
	s_lshl_b64 s[0:1], s[6:7], 2
	s_add_u32 s19, s10, s0
	s_addc_u32 s20, s11, s1
	v_mov_b32_e32 v1, s5
	v_sub_co_u32_e32 v14, vcc, s4, v2
	v_subb_co_u32_e32 v15, vcc, v1, v3, vcc
	s_mul_i32 s21, s47, 3
	s_lshl_b32 s22, s47, 1
	s_mov_b64 s[0:1], 0
	v_mov_b32_e32 v1, 0
	v_mov_b32_e32 v16, s44
	;; [unrolled: 1-line block ×5, first 2 shown]
	s_mov_b32 s23, 0x43800000
	s_mov_b32 s24, 0x3bffffff
	;; [unrolled: 1-line block ×4, first 2 shown]
	s_movk_i32 s27, 0x80
	s_mov_b32 s28, 0x4020c0c
	s_branch .LBB31_65
.LBB31_60:                              ;   in Loop: Header=BB31_65 Depth=1
	s_or_b64 exec, exec, s[16:17]
.LBB31_61:                              ;   in Loop: Header=BB31_65 Depth=1
	s_or_b64 exec, exec, s[8:9]
	v_lshlrev_b64 v[6:7], 2, v[0:1]
	v_mov_b32_e32 v0, s18
	v_add_co_u32_e32 v6, vcc, s13, v6
	v_addc_co_u32_e32 v7, vcc, v0, v7, vcc
	v_lshlrev_b32_e32 v0, 16, v4
	v_perm_b32 v0, v3, v0, s28
	v_lshlrev_b32_e32 v3, 8, v11
	v_and_b32_e32 v3, 0xff00, v3
	v_and_b32_e32 v2, 0xff, v2
	s_add_i32 s8, s47, s47
	v_or3_b32 v0, v0, v3, v2
	s_add_i32 s8, s8, s47
	global_store_dword v[6:7], v0, off
	v_add_u32_e32 v0, s8, v10
	v_cmp_le_u32_e32 vcc, s12, v0
	s_orn2_b64 s[8:9], vcc, exec
.LBB31_62:                              ;   in Loop: Header=BB31_65 Depth=1
	s_or_b64 exec, exec, s[6:7]
	s_orn2_b64 s[6:7], s[8:9], exec
.LBB31_63:                              ;   in Loop: Header=BB31_65 Depth=1
	s_or_b64 exec, exec, s[4:5]
	s_orn2_b64 s[4:5], s[6:7], exec
.LBB31_64:                              ;   in Loop: Header=BB31_65 Depth=1
	s_or_b64 exec, exec, s[2:3]
	s_and_b64 s[2:3], exec, s[4:5]
	s_or_b64 s[0:1], s[2:3], s[0:1]
	s_andn2_b64 exec, exec, s[0:1]
	s_cbranch_execz .LBB31_195
.LBB31_65:                              ; =>This Inner Loop Header: Depth=1
	v_lshlrev_b64 v[6:7], 4, v[0:1]
	v_add_co_u32_e32 v10, vcc, s33, v6
	v_addc_co_u32_e32 v11, vcc, v16, v7, vcc
	v_add_co_u32_e32 v2, vcc, s14, v6
	v_addc_co_u32_e32 v3, vcc, v17, v7, vcc
	v_add_co_u32_e32 v12, vcc, s45, v6
	v_bfe_u32 v25, v0, 4, 26
	global_load_dwordx4 v[2:5], v[2:3], off
	v_addc_co_u32_e32 v13, vcc, v18, v7, vcc
	global_load_dwordx4 v[6:9], v[10:11], off
	global_load_dwordx4 v[20:23], v[12:13], off
	v_mad_u64_u32 v[10:11], s[2:3], v14, v25, 0
	v_mov_b32_e32 v24, v11
	v_mad_u64_u32 v[24:25], s[2:3], v15, v25, v[24:25]
	v_mov_b32_e32 v11, v24
	v_lshlrev_b64 v[10:11], 2, v[10:11]
	v_add_co_u32_e32 v10, vcc, s19, v10
	v_addc_co_u32_e32 v11, vcc, v19, v11, vcc
	global_load_dword v11, v[10:11], off
	v_mov_b32_e32 v10, 0x80
	s_waitcnt vmcnt(1)
	v_pk_add_f32 v[6:7], v[6:7], v[20:21]
	v_mul_f32_e32 v20, v36, v6
	v_mul_f32_e32 v2, v2, v20
	v_pk_add_f32 v[8:9], v[8:9], v[22:23]
	global_store_dwordx4 v[12:13], v[6:9], off
	s_waitcnt vmcnt(1)
	v_div_scale_f32 v20, s[2:3], v11, v11, v2
	v_rcp_f32_e32 v21, v20
	v_div_scale_f32 v6, vcc, v2, v11, v2
	v_fma_f32 v12, -v20, v21, 1.0
	v_fmac_f32_e32 v21, v12, v21
	v_mul_f32_e32 v12, v6, v21
	v_fma_f32 v13, -v20, v12, v6
	v_fmac_f32_e32 v12, v13, v21
	v_fma_f32 v6, -v20, v12, v6
	v_div_fmas_f32 v6, v6, v21, v12
	v_div_fixup_f32 v2, v6, v11, v2
	v_min_f32_e32 v2, 0x43600000, v2
	v_max_f32_e32 v6, 0xc3600000, v2
	v_and_b32_e32 v12, 0x7fffffff, v6
	v_cmp_gt_u32_e32 vcc, s23, v12
	v_mov_b32_e32 v2, 0x80
	s_and_saveexec_b64 s[2:3], vcc
	s_cbranch_execz .LBB31_71
; %bb.66:                               ;   in Loop: Header=BB31_65 Depth=1
	v_cmp_lt_u32_e32 vcc, s24, v12
	s_mov_b64 s[4:5], 0
                                        ; implicit-def: $vgpr12
	s_and_saveexec_b64 s[6:7], vcc
	s_xor_b64 s[6:7], exec, s[6:7]
	s_cbranch_execnz .LBB31_162
; %bb.67:                               ;   in Loop: Header=BB31_65 Depth=1
	s_or_saveexec_b64 s[6:7], s[6:7]
                                        ; implicit-def: $sgpr8
	s_xor_b64 exec, exec, s[6:7]
	s_cbranch_execnz .LBB31_163
.LBB31_68:                              ;   in Loop: Header=BB31_65 Depth=1
	s_or_b64 exec, exec, s[6:7]
	v_mov_b32_e32 v2, s8
	s_and_saveexec_b64 s[6:7], s[4:5]
.LBB31_69:                              ;   in Loop: Header=BB31_65 Depth=1
	v_lshrrev_b32_e32 v2, 24, v6
	v_and_or_b32 v2, v2, s27, v12
.LBB31_70:                              ;   in Loop: Header=BB31_65 Depth=1
	s_or_b64 exec, exec, s[6:7]
.LBB31_71:                              ;   in Loop: Header=BB31_65 Depth=1
	s_or_b64 exec, exec, s[2:3]
	v_mul_f32_e32 v6, v36, v7
	v_mul_f32_e32 v3, v3, v6
	v_div_scale_f32 v6, s[2:3], v11, v11, v3
	v_rcp_f32_e32 v7, v6
	v_div_scale_f32 v12, vcc, v3, v11, v3
	v_fma_f32 v13, -v6, v7, 1.0
	v_fmac_f32_e32 v7, v13, v7
	v_mul_f32_e32 v13, v12, v7
	v_fma_f32 v20, -v6, v13, v12
	v_fmac_f32_e32 v13, v20, v7
	v_fma_f32 v6, -v6, v13, v12
	v_div_fmas_f32 v6, v6, v7, v13
	v_div_fixup_f32 v3, v6, v11, v3
	v_min_f32_e32 v3, 0x43600000, v3
	v_max_f32_e32 v3, 0xc3600000, v3
	v_and_b32_e32 v6, 0x7fffffff, v3
	v_cmp_gt_u32_e32 vcc, s23, v6
	s_and_saveexec_b64 s[2:3], vcc
	s_cbranch_execz .LBB31_77
; %bb.72:                               ;   in Loop: Header=BB31_65 Depth=1
	v_cmp_lt_u32_e32 vcc, s24, v6
	s_mov_b64 s[4:5], 0
                                        ; implicit-def: $vgpr6
	s_and_saveexec_b64 s[6:7], vcc
	s_xor_b64 s[6:7], exec, s[6:7]
	s_cbranch_execnz .LBB31_164
; %bb.73:                               ;   in Loop: Header=BB31_65 Depth=1
	s_or_saveexec_b64 s[6:7], s[6:7]
                                        ; implicit-def: $sgpr8
	s_xor_b64 exec, exec, s[6:7]
	s_cbranch_execnz .LBB31_165
.LBB31_74:                              ;   in Loop: Header=BB31_65 Depth=1
	s_or_b64 exec, exec, s[6:7]
	v_mov_b32_e32 v10, s8
	s_and_saveexec_b64 s[6:7], s[4:5]
.LBB31_75:                              ;   in Loop: Header=BB31_65 Depth=1
	v_lshrrev_b32_e32 v3, 24, v3
	v_and_or_b32 v10, v3, s27, v6
.LBB31_76:                              ;   in Loop: Header=BB31_65 Depth=1
	s_or_b64 exec, exec, s[6:7]
.LBB31_77:                              ;   in Loop: Header=BB31_65 Depth=1
	s_or_b64 exec, exec, s[2:3]
	v_mul_f32_e32 v3, v36, v8
	v_mul_f32_e32 v3, v4, v3
	v_div_scale_f32 v4, s[2:3], v11, v11, v3
	v_rcp_f32_e32 v6, v4
	v_div_scale_f32 v7, vcc, v3, v11, v3
	v_fma_f32 v8, -v4, v6, 1.0
	v_fmac_f32_e32 v6, v8, v6
	v_mul_f32_e32 v8, v7, v6
	v_fma_f32 v12, -v4, v8, v7
	v_fmac_f32_e32 v8, v12, v6
	v_fma_f32 v4, -v4, v8, v7
	v_div_fmas_f32 v4, v4, v6, v8
	v_div_fixup_f32 v3, v4, v11, v3
	v_min_f32_e32 v3, 0x43600000, v3
	v_max_f32_e32 v6, 0xc3600000, v3
	v_and_b32_e32 v7, 0x7fffffff, v6
	v_cmp_gt_u32_e32 vcc, s23, v7
	v_mov_b32_e32 v3, 0x80
	v_mov_b32_e32 v4, 0x80
	s_and_saveexec_b64 s[2:3], vcc
	s_cbranch_execz .LBB31_83
; %bb.78:                               ;   in Loop: Header=BB31_65 Depth=1
	v_cmp_lt_u32_e32 vcc, s24, v7
	s_mov_b64 s[4:5], 0
                                        ; implicit-def: $vgpr7
	s_and_saveexec_b64 s[6:7], vcc
	s_xor_b64 s[6:7], exec, s[6:7]
	s_cbranch_execnz .LBB31_166
; %bb.79:                               ;   in Loop: Header=BB31_65 Depth=1
	s_or_saveexec_b64 s[6:7], s[6:7]
                                        ; implicit-def: $sgpr8
	s_xor_b64 exec, exec, s[6:7]
	s_cbranch_execnz .LBB31_167
.LBB31_80:                              ;   in Loop: Header=BB31_65 Depth=1
	s_or_b64 exec, exec, s[6:7]
	v_mov_b32_e32 v4, s8
	s_and_saveexec_b64 s[6:7], s[4:5]
.LBB31_81:                              ;   in Loop: Header=BB31_65 Depth=1
	v_lshrrev_b32_e32 v4, 24, v6
	v_and_or_b32 v4, v4, s27, v7
.LBB31_82:                              ;   in Loop: Header=BB31_65 Depth=1
	s_or_b64 exec, exec, s[6:7]
.LBB31_83:                              ;   in Loop: Header=BB31_65 Depth=1
	s_or_b64 exec, exec, s[2:3]
	v_mul_f32_e32 v6, v36, v9
	v_mul_f32_e32 v5, v5, v6
	v_div_scale_f32 v6, s[2:3], v11, v11, v5
	v_rcp_f32_e32 v7, v6
	v_div_scale_f32 v8, vcc, v5, v11, v5
	v_fma_f32 v9, -v6, v7, 1.0
	v_fmac_f32_e32 v7, v9, v7
	v_mul_f32_e32 v9, v8, v7
	v_fma_f32 v12, -v6, v9, v8
	v_fmac_f32_e32 v9, v12, v7
	v_fma_f32 v6, -v6, v9, v8
	v_div_fmas_f32 v6, v6, v7, v9
	v_div_fixup_f32 v5, v6, v11, v5
	v_min_f32_e32 v5, 0x43600000, v5
	v_max_f32_e32 v5, 0xc3600000, v5
	v_and_b32_e32 v6, 0x7fffffff, v5
	v_cmp_gt_u32_e32 vcc, s23, v6
	s_and_saveexec_b64 s[2:3], vcc
	s_cbranch_execz .LBB31_89
; %bb.84:                               ;   in Loop: Header=BB31_65 Depth=1
	v_cmp_lt_u32_e32 vcc, s24, v6
	s_mov_b64 s[4:5], 0
                                        ; implicit-def: $vgpr6
	s_and_saveexec_b64 s[6:7], vcc
	s_xor_b64 s[6:7], exec, s[6:7]
	s_cbranch_execnz .LBB31_168
; %bb.85:                               ;   in Loop: Header=BB31_65 Depth=1
	s_or_saveexec_b64 s[6:7], s[6:7]
                                        ; implicit-def: $sgpr8
	s_xor_b64 exec, exec, s[6:7]
	s_cbranch_execnz .LBB31_169
.LBB31_86:                              ;   in Loop: Header=BB31_65 Depth=1
	s_or_b64 exec, exec, s[6:7]
	v_mov_b32_e32 v3, s8
	s_and_saveexec_b64 s[6:7], s[4:5]
.LBB31_87:                              ;   in Loop: Header=BB31_65 Depth=1
	v_lshrrev_b32_e32 v3, 24, v5
	v_and_or_b32 v3, v3, s27, v6
.LBB31_88:                              ;   in Loop: Header=BB31_65 Depth=1
	s_or_b64 exec, exec, s[6:7]
.LBB31_89:                              ;   in Loop: Header=BB31_65 Depth=1
	s_or_b64 exec, exec, s[2:3]
	v_lshlrev_b64 v[6:7], 2, v[0:1]
	v_lshlrev_b32_e32 v4, 16, v4
	v_mov_b32_e32 v5, s18
	v_add_co_u32_e32 v6, vcc, s13, v6
	v_perm_b32 v3, v3, v4, s28
	v_lshlrev_b32_e32 v4, 8, v10
	v_addc_co_u32_e32 v7, vcc, v5, v7, vcc
	v_and_b32_e32 v4, 0xff00, v4
	v_and_b32_e32 v2, 0xff, v2
	v_add_u32_e32 v10, s47, v0
	v_or3_b32 v2, v3, v4, v2
	v_cmp_gt_u32_e32 vcc, s12, v10
	s_mov_b64 s[4:5], -1
	global_store_dword v[6:7], v2, off
	s_and_saveexec_b64 s[2:3], vcc
	s_cbranch_execz .LBB31_64
; %bb.90:                               ;   in Loop: Header=BB31_65 Depth=1
	v_mov_b32_e32 v11, v1
	v_lshlrev_b64 v[6:7], 4, v[10:11]
	v_mov_b32_e32 v2, s44
	v_add_co_u32_e32 v12, vcc, s33, v6
	v_addc_co_u32_e32 v13, vcc, v2, v7, vcc
	v_mov_b32_e32 v3, s15
	v_add_co_u32_e32 v2, vcc, s14, v6
	v_addc_co_u32_e32 v3, vcc, v3, v7, vcc
	v_mov_b32_e32 v8, s46
	v_add_co_u32_e32 v24, vcc, s45, v6
	v_bfe_u32 v27, v10, 4, 26
	global_load_dwordx4 v[2:5], v[2:3], off
	v_addc_co_u32_e32 v25, vcc, v8, v7, vcc
	global_load_dwordx4 v[6:9], v[12:13], off
	global_load_dwordx4 v[20:23], v[24:25], off
	v_mad_u64_u32 v[12:13], s[4:5], v14, v27, 0
	v_mov_b32_e32 v26, v13
	v_mad_u64_u32 v[26:27], s[4:5], v15, v27, v[26:27]
	v_mov_b32_e32 v13, v26
	v_lshlrev_b64 v[12:13], 2, v[12:13]
	v_mov_b32_e32 v26, s20
	v_add_co_u32_e32 v12, vcc, s19, v12
	v_addc_co_u32_e32 v13, vcc, v26, v13, vcc
	global_load_dword v13, v[12:13], off
	v_mov_b32_e32 v12, 0x80
	s_waitcnt vmcnt(1)
	v_pk_add_f32 v[6:7], v[6:7], v[20:21]
	v_mul_f32_e32 v20, v36, v6
	v_mul_f32_e32 v2, v2, v20
	v_pk_add_f32 v[8:9], v[8:9], v[22:23]
	global_store_dwordx4 v[24:25], v[6:9], off
	s_waitcnt vmcnt(1)
	v_div_scale_f32 v20, s[4:5], v13, v13, v2
	v_rcp_f32_e32 v21, v20
	v_div_scale_f32 v6, vcc, v2, v13, v2
	v_fma_f32 v22, -v20, v21, 1.0
	v_fmac_f32_e32 v21, v22, v21
	v_mul_f32_e32 v22, v6, v21
	v_fma_f32 v23, -v20, v22, v6
	v_fmac_f32_e32 v22, v23, v21
	v_fma_f32 v6, -v20, v22, v6
	v_div_fmas_f32 v6, v6, v21, v22
	v_div_fixup_f32 v2, v6, v13, v2
	v_min_f32_e32 v2, 0x43600000, v2
	v_max_f32_e32 v6, 0xc3600000, v2
	v_and_b32_e32 v20, 0x7fffffff, v6
	v_cmp_gt_u32_e32 vcc, s23, v20
	v_mov_b32_e32 v2, 0x80
	s_and_saveexec_b64 s[4:5], vcc
	s_cbranch_execz .LBB31_96
; %bb.91:                               ;   in Loop: Header=BB31_65 Depth=1
	v_cmp_lt_u32_e32 vcc, s24, v20
	s_mov_b64 s[6:7], 0
                                        ; implicit-def: $vgpr20
	s_and_saveexec_b64 s[8:9], vcc
	s_xor_b64 s[8:9], exec, s[8:9]
	s_cbranch_execnz .LBB31_170
; %bb.92:                               ;   in Loop: Header=BB31_65 Depth=1
	s_or_saveexec_b64 s[8:9], s[8:9]
                                        ; implicit-def: $sgpr10
	s_xor_b64 exec, exec, s[8:9]
	s_cbranch_execnz .LBB31_171
.LBB31_93:                              ;   in Loop: Header=BB31_65 Depth=1
	s_or_b64 exec, exec, s[8:9]
	v_mov_b32_e32 v2, s10
	s_and_saveexec_b64 s[8:9], s[6:7]
.LBB31_94:                              ;   in Loop: Header=BB31_65 Depth=1
	v_lshrrev_b32_e32 v2, 24, v6
	v_and_or_b32 v2, v2, s27, v20
.LBB31_95:                              ;   in Loop: Header=BB31_65 Depth=1
	s_or_b64 exec, exec, s[8:9]
.LBB31_96:                              ;   in Loop: Header=BB31_65 Depth=1
	s_or_b64 exec, exec, s[4:5]
	v_mul_f32_e32 v6, v36, v7
	v_mul_f32_e32 v3, v3, v6
	v_div_scale_f32 v6, s[4:5], v13, v13, v3
	v_rcp_f32_e32 v7, v6
	v_div_scale_f32 v20, vcc, v3, v13, v3
	v_fma_f32 v21, -v6, v7, 1.0
	v_fmac_f32_e32 v7, v21, v7
	v_mul_f32_e32 v21, v20, v7
	v_fma_f32 v22, -v6, v21, v20
	v_fmac_f32_e32 v21, v22, v7
	v_fma_f32 v6, -v6, v21, v20
	v_div_fmas_f32 v6, v6, v7, v21
	v_div_fixup_f32 v3, v6, v13, v3
	v_min_f32_e32 v3, 0x43600000, v3
	v_max_f32_e32 v3, 0xc3600000, v3
	v_and_b32_e32 v6, 0x7fffffff, v3
	v_cmp_gt_u32_e32 vcc, s23, v6
	s_and_saveexec_b64 s[4:5], vcc
	s_cbranch_execz .LBB31_102
; %bb.97:                               ;   in Loop: Header=BB31_65 Depth=1
	v_cmp_lt_u32_e32 vcc, s24, v6
	s_mov_b64 s[6:7], 0
                                        ; implicit-def: $vgpr6
	s_and_saveexec_b64 s[8:9], vcc
	s_xor_b64 s[8:9], exec, s[8:9]
	s_cbranch_execnz .LBB31_172
; %bb.98:                               ;   in Loop: Header=BB31_65 Depth=1
	s_or_saveexec_b64 s[8:9], s[8:9]
                                        ; implicit-def: $sgpr10
	s_xor_b64 exec, exec, s[8:9]
	s_cbranch_execnz .LBB31_173
.LBB31_99:                              ;   in Loop: Header=BB31_65 Depth=1
	s_or_b64 exec, exec, s[8:9]
	v_mov_b32_e32 v12, s10
	s_and_saveexec_b64 s[8:9], s[6:7]
.LBB31_100:                             ;   in Loop: Header=BB31_65 Depth=1
	v_lshrrev_b32_e32 v3, 24, v3
	v_and_or_b32 v12, v3, s27, v6
.LBB31_101:                             ;   in Loop: Header=BB31_65 Depth=1
	s_or_b64 exec, exec, s[8:9]
.LBB31_102:                             ;   in Loop: Header=BB31_65 Depth=1
	s_or_b64 exec, exec, s[4:5]
	v_mul_f32_e32 v3, v36, v8
	v_mul_f32_e32 v3, v4, v3
	v_div_scale_f32 v4, s[4:5], v13, v13, v3
	v_rcp_f32_e32 v6, v4
	v_div_scale_f32 v7, vcc, v3, v13, v3
	v_fma_f32 v8, -v4, v6, 1.0
	v_fmac_f32_e32 v6, v8, v6
	v_mul_f32_e32 v8, v7, v6
	v_fma_f32 v20, -v4, v8, v7
	v_fmac_f32_e32 v8, v20, v6
	v_fma_f32 v4, -v4, v8, v7
	v_div_fmas_f32 v4, v4, v6, v8
	v_div_fixup_f32 v3, v4, v13, v3
	v_min_f32_e32 v3, 0x43600000, v3
	v_max_f32_e32 v6, 0xc3600000, v3
	v_and_b32_e32 v7, 0x7fffffff, v6
	v_cmp_gt_u32_e32 vcc, s23, v7
	v_mov_b32_e32 v3, 0x80
	v_mov_b32_e32 v4, 0x80
	s_and_saveexec_b64 s[4:5], vcc
	s_cbranch_execz .LBB31_108
; %bb.103:                              ;   in Loop: Header=BB31_65 Depth=1
	v_cmp_lt_u32_e32 vcc, s24, v7
	s_mov_b64 s[6:7], 0
                                        ; implicit-def: $vgpr7
	s_and_saveexec_b64 s[8:9], vcc
	s_xor_b64 s[8:9], exec, s[8:9]
	s_cbranch_execnz .LBB31_174
; %bb.104:                              ;   in Loop: Header=BB31_65 Depth=1
	s_or_saveexec_b64 s[8:9], s[8:9]
                                        ; implicit-def: $sgpr10
	s_xor_b64 exec, exec, s[8:9]
	s_cbranch_execnz .LBB31_175
.LBB31_105:                             ;   in Loop: Header=BB31_65 Depth=1
	s_or_b64 exec, exec, s[8:9]
	v_mov_b32_e32 v4, s10
	s_and_saveexec_b64 s[8:9], s[6:7]
.LBB31_106:                             ;   in Loop: Header=BB31_65 Depth=1
	v_lshrrev_b32_e32 v4, 24, v6
	v_and_or_b32 v4, v4, s27, v7
.LBB31_107:                             ;   in Loop: Header=BB31_65 Depth=1
	s_or_b64 exec, exec, s[8:9]
.LBB31_108:                             ;   in Loop: Header=BB31_65 Depth=1
	s_or_b64 exec, exec, s[4:5]
	v_mul_f32_e32 v6, v36, v9
	v_mul_f32_e32 v5, v5, v6
	v_div_scale_f32 v6, s[4:5], v13, v13, v5
	v_rcp_f32_e32 v7, v6
	v_div_scale_f32 v8, vcc, v5, v13, v5
	v_fma_f32 v9, -v6, v7, 1.0
	v_fmac_f32_e32 v7, v9, v7
	v_mul_f32_e32 v9, v8, v7
	v_fma_f32 v20, -v6, v9, v8
	v_fmac_f32_e32 v9, v20, v7
	v_fma_f32 v6, -v6, v9, v8
	v_div_fmas_f32 v6, v6, v7, v9
	v_div_fixup_f32 v5, v6, v13, v5
	v_min_f32_e32 v5, 0x43600000, v5
	v_max_f32_e32 v5, 0xc3600000, v5
	v_and_b32_e32 v6, 0x7fffffff, v5
	v_cmp_gt_u32_e32 vcc, s23, v6
	s_and_saveexec_b64 s[4:5], vcc
	s_cbranch_execz .LBB31_114
; %bb.109:                              ;   in Loop: Header=BB31_65 Depth=1
	v_cmp_lt_u32_e32 vcc, s24, v6
	s_mov_b64 s[6:7], 0
                                        ; implicit-def: $vgpr6
	s_and_saveexec_b64 s[8:9], vcc
	s_xor_b64 s[8:9], exec, s[8:9]
	s_cbranch_execnz .LBB31_176
; %bb.110:                              ;   in Loop: Header=BB31_65 Depth=1
	s_or_saveexec_b64 s[8:9], s[8:9]
                                        ; implicit-def: $sgpr10
	s_xor_b64 exec, exec, s[8:9]
	s_cbranch_execnz .LBB31_177
.LBB31_111:                             ;   in Loop: Header=BB31_65 Depth=1
	s_or_b64 exec, exec, s[8:9]
	v_mov_b32_e32 v3, s10
	s_and_saveexec_b64 s[8:9], s[6:7]
.LBB31_112:                             ;   in Loop: Header=BB31_65 Depth=1
	v_lshrrev_b32_e32 v3, 24, v5
	v_and_or_b32 v3, v3, s27, v6
.LBB31_113:                             ;   in Loop: Header=BB31_65 Depth=1
	s_or_b64 exec, exec, s[8:9]
.LBB31_114:                             ;   in Loop: Header=BB31_65 Depth=1
	s_or_b64 exec, exec, s[4:5]
	v_lshlrev_b64 v[6:7], 2, v[10:11]
	v_lshlrev_b32_e32 v4, 16, v4
	v_mov_b32_e32 v5, s18
	v_add_co_u32_e32 v6, vcc, s13, v6
	v_perm_b32 v3, v3, v4, s28
	v_lshlrev_b32_e32 v4, 8, v12
	v_addc_co_u32_e32 v7, vcc, v5, v7, vcc
	v_and_b32_e32 v4, 0xff00, v4
	v_and_b32_e32 v2, 0xff, v2
	v_add_u32_e32 v12, s22, v0
	v_or3_b32 v2, v3, v4, v2
	v_cmp_gt_u32_e32 vcc, s12, v12
	s_mov_b64 s[6:7], -1
	global_store_dword v[6:7], v2, off
	s_and_saveexec_b64 s[4:5], vcc
	s_cbranch_execz .LBB31_63
; %bb.115:                              ;   in Loop: Header=BB31_65 Depth=1
	v_mov_b32_e32 v13, v1
	v_lshlrev_b64 v[6:7], 4, v[12:13]
	v_mov_b32_e32 v2, s44
	v_add_co_u32_e32 v20, vcc, s33, v6
	v_addc_co_u32_e32 v21, vcc, v2, v7, vcc
	v_mov_b32_e32 v3, s15
	v_add_co_u32_e32 v2, vcc, s14, v6
	v_addc_co_u32_e32 v3, vcc, v3, v7, vcc
	v_mov_b32_e32 v8, s46
	v_add_co_u32_e32 v26, vcc, s45, v6
	v_bfe_u32 v11, v12, 4, 26
	global_load_dwordx4 v[2:5], v[2:3], off
	v_addc_co_u32_e32 v27, vcc, v8, v7, vcc
	global_load_dwordx4 v[6:9], v[20:21], off
	global_load_dwordx4 v[22:25], v[26:27], off
	v_mad_u64_u32 v[20:21], s[6:7], v14, v11, 0
	v_mov_b32_e32 v28, v21
	v_mad_u64_u32 v[28:29], s[6:7], v15, v11, v[28:29]
	v_mov_b32_e32 v21, v28
	v_lshlrev_b64 v[20:21], 2, v[20:21]
	v_mov_b32_e32 v11, s20
	v_add_co_u32_e32 v20, vcc, s19, v20
	v_addc_co_u32_e32 v21, vcc, v11, v21, vcc
	global_load_dword v20, v[20:21], off
	v_mov_b32_e32 v11, 0x80
	s_waitcnt vmcnt(1)
	v_pk_add_f32 v[6:7], v[6:7], v[22:23]
	v_mul_f32_e32 v21, v36, v6
	v_mul_f32_e32 v2, v2, v21
	v_pk_add_f32 v[8:9], v[8:9], v[24:25]
	global_store_dwordx4 v[26:27], v[6:9], off
	s_waitcnt vmcnt(1)
	v_div_scale_f32 v21, s[6:7], v20, v20, v2
	v_rcp_f32_e32 v22, v21
	v_div_scale_f32 v6, vcc, v2, v20, v2
	v_fma_f32 v23, -v21, v22, 1.0
	v_fmac_f32_e32 v22, v23, v22
	v_mul_f32_e32 v23, v6, v22
	v_fma_f32 v24, -v21, v23, v6
	v_fmac_f32_e32 v23, v24, v22
	v_fma_f32 v6, -v21, v23, v6
	v_div_fmas_f32 v6, v6, v22, v23
	v_div_fixup_f32 v2, v6, v20, v2
	v_min_f32_e32 v2, 0x43600000, v2
	v_max_f32_e32 v6, 0xc3600000, v2
	v_and_b32_e32 v21, 0x7fffffff, v6
	v_cmp_gt_u32_e32 vcc, s23, v21
	v_mov_b32_e32 v2, 0x80
	s_and_saveexec_b64 s[6:7], vcc
	s_cbranch_execz .LBB31_121
; %bb.116:                              ;   in Loop: Header=BB31_65 Depth=1
	v_cmp_lt_u32_e32 vcc, s24, v21
	s_mov_b64 s[8:9], 0
                                        ; implicit-def: $vgpr21
	s_and_saveexec_b64 s[10:11], vcc
	s_xor_b64 s[10:11], exec, s[10:11]
	s_cbranch_execnz .LBB31_178
; %bb.117:                              ;   in Loop: Header=BB31_65 Depth=1
	s_or_saveexec_b64 s[10:11], s[10:11]
                                        ; implicit-def: $sgpr16
	s_xor_b64 exec, exec, s[10:11]
	s_cbranch_execnz .LBB31_179
.LBB31_118:                             ;   in Loop: Header=BB31_65 Depth=1
	s_or_b64 exec, exec, s[10:11]
	v_mov_b32_e32 v2, s16
	s_and_saveexec_b64 s[10:11], s[8:9]
.LBB31_119:                             ;   in Loop: Header=BB31_65 Depth=1
	v_lshrrev_b32_e32 v2, 24, v6
	v_and_or_b32 v2, v2, s27, v21
.LBB31_120:                             ;   in Loop: Header=BB31_65 Depth=1
	s_or_b64 exec, exec, s[10:11]
.LBB31_121:                             ;   in Loop: Header=BB31_65 Depth=1
	s_or_b64 exec, exec, s[6:7]
	v_mul_f32_e32 v6, v36, v7
	v_mul_f32_e32 v3, v3, v6
	v_div_scale_f32 v6, s[6:7], v20, v20, v3
	v_rcp_f32_e32 v7, v6
	v_div_scale_f32 v21, vcc, v3, v20, v3
	v_fma_f32 v22, -v6, v7, 1.0
	v_fmac_f32_e32 v7, v22, v7
	v_mul_f32_e32 v22, v21, v7
	v_fma_f32 v23, -v6, v22, v21
	v_fmac_f32_e32 v22, v23, v7
	v_fma_f32 v6, -v6, v22, v21
	v_div_fmas_f32 v6, v6, v7, v22
	v_div_fixup_f32 v3, v6, v20, v3
	v_min_f32_e32 v3, 0x43600000, v3
	v_max_f32_e32 v3, 0xc3600000, v3
	v_and_b32_e32 v6, 0x7fffffff, v3
	v_cmp_gt_u32_e32 vcc, s23, v6
	s_and_saveexec_b64 s[6:7], vcc
	s_cbranch_execz .LBB31_127
; %bb.122:                              ;   in Loop: Header=BB31_65 Depth=1
	v_cmp_lt_u32_e32 vcc, s24, v6
	s_mov_b64 s[8:9], 0
                                        ; implicit-def: $vgpr6
	s_and_saveexec_b64 s[10:11], vcc
	s_xor_b64 s[10:11], exec, s[10:11]
	s_cbranch_execnz .LBB31_180
; %bb.123:                              ;   in Loop: Header=BB31_65 Depth=1
	s_or_saveexec_b64 s[10:11], s[10:11]
                                        ; implicit-def: $sgpr16
	s_xor_b64 exec, exec, s[10:11]
	s_cbranch_execnz .LBB31_181
.LBB31_124:                             ;   in Loop: Header=BB31_65 Depth=1
	s_or_b64 exec, exec, s[10:11]
	v_mov_b32_e32 v11, s16
	s_and_saveexec_b64 s[10:11], s[8:9]
.LBB31_125:                             ;   in Loop: Header=BB31_65 Depth=1
	v_lshrrev_b32_e32 v3, 24, v3
	v_and_or_b32 v11, v3, s27, v6
.LBB31_126:                             ;   in Loop: Header=BB31_65 Depth=1
	s_or_b64 exec, exec, s[10:11]
.LBB31_127:                             ;   in Loop: Header=BB31_65 Depth=1
	s_or_b64 exec, exec, s[6:7]
	v_mul_f32_e32 v3, v36, v8
	v_mul_f32_e32 v3, v4, v3
	v_div_scale_f32 v4, s[6:7], v20, v20, v3
	v_rcp_f32_e32 v6, v4
	v_div_scale_f32 v7, vcc, v3, v20, v3
	v_fma_f32 v8, -v4, v6, 1.0
	v_fmac_f32_e32 v6, v8, v6
	v_mul_f32_e32 v8, v7, v6
	v_fma_f32 v21, -v4, v8, v7
	v_fmac_f32_e32 v8, v21, v6
	v_fma_f32 v4, -v4, v8, v7
	v_div_fmas_f32 v4, v4, v6, v8
	v_div_fixup_f32 v3, v4, v20, v3
	v_min_f32_e32 v3, 0x43600000, v3
	v_max_f32_e32 v6, 0xc3600000, v3
	v_and_b32_e32 v7, 0x7fffffff, v6
	v_cmp_gt_u32_e32 vcc, s23, v7
	v_mov_b32_e32 v3, 0x80
	v_mov_b32_e32 v4, 0x80
	s_and_saveexec_b64 s[6:7], vcc
	s_cbranch_execz .LBB31_133
; %bb.128:                              ;   in Loop: Header=BB31_65 Depth=1
	v_cmp_lt_u32_e32 vcc, s24, v7
	s_mov_b64 s[8:9], 0
                                        ; implicit-def: $vgpr7
	s_and_saveexec_b64 s[10:11], vcc
	s_xor_b64 s[10:11], exec, s[10:11]
	s_cbranch_execnz .LBB31_182
; %bb.129:                              ;   in Loop: Header=BB31_65 Depth=1
	s_or_saveexec_b64 s[10:11], s[10:11]
                                        ; implicit-def: $sgpr16
	s_xor_b64 exec, exec, s[10:11]
	s_cbranch_execnz .LBB31_183
.LBB31_130:                             ;   in Loop: Header=BB31_65 Depth=1
	s_or_b64 exec, exec, s[10:11]
	v_mov_b32_e32 v4, s16
	s_and_saveexec_b64 s[10:11], s[8:9]
.LBB31_131:                             ;   in Loop: Header=BB31_65 Depth=1
	v_lshrrev_b32_e32 v4, 24, v6
	v_and_or_b32 v4, v4, s27, v7
.LBB31_132:                             ;   in Loop: Header=BB31_65 Depth=1
	s_or_b64 exec, exec, s[10:11]
.LBB31_133:                             ;   in Loop: Header=BB31_65 Depth=1
	s_or_b64 exec, exec, s[6:7]
	v_mul_f32_e32 v6, v36, v9
	v_mul_f32_e32 v5, v5, v6
	v_div_scale_f32 v6, s[6:7], v20, v20, v5
	v_rcp_f32_e32 v7, v6
	v_div_scale_f32 v8, vcc, v5, v20, v5
	v_fma_f32 v9, -v6, v7, 1.0
	v_fmac_f32_e32 v7, v9, v7
	v_mul_f32_e32 v9, v8, v7
	v_fma_f32 v21, -v6, v9, v8
	v_fmac_f32_e32 v9, v21, v7
	v_fma_f32 v6, -v6, v9, v8
	v_div_fmas_f32 v6, v6, v7, v9
	v_div_fixup_f32 v5, v6, v20, v5
	v_min_f32_e32 v5, 0x43600000, v5
	v_max_f32_e32 v5, 0xc3600000, v5
	v_and_b32_e32 v6, 0x7fffffff, v5
	v_cmp_gt_u32_e32 vcc, s23, v6
	s_and_saveexec_b64 s[6:7], vcc
	s_cbranch_execz .LBB31_139
; %bb.134:                              ;   in Loop: Header=BB31_65 Depth=1
	v_cmp_lt_u32_e32 vcc, s24, v6
	s_mov_b64 s[8:9], 0
                                        ; implicit-def: $vgpr6
	s_and_saveexec_b64 s[10:11], vcc
	s_xor_b64 s[10:11], exec, s[10:11]
	s_cbranch_execnz .LBB31_184
; %bb.135:                              ;   in Loop: Header=BB31_65 Depth=1
	s_or_saveexec_b64 s[10:11], s[10:11]
                                        ; implicit-def: $sgpr16
	s_xor_b64 exec, exec, s[10:11]
	s_cbranch_execnz .LBB31_185
.LBB31_136:                             ;   in Loop: Header=BB31_65 Depth=1
	s_or_b64 exec, exec, s[10:11]
	v_mov_b32_e32 v3, s16
	s_and_saveexec_b64 s[10:11], s[8:9]
.LBB31_137:                             ;   in Loop: Header=BB31_65 Depth=1
	v_lshrrev_b32_e32 v3, 24, v5
	v_and_or_b32 v3, v3, s27, v6
.LBB31_138:                             ;   in Loop: Header=BB31_65 Depth=1
	s_or_b64 exec, exec, s[10:11]
.LBB31_139:                             ;   in Loop: Header=BB31_65 Depth=1
	s_or_b64 exec, exec, s[6:7]
	v_lshlrev_b64 v[6:7], 2, v[12:13]
	v_lshlrev_b32_e32 v4, 16, v4
	v_mov_b32_e32 v5, s18
	v_add_co_u32_e32 v6, vcc, s13, v6
	v_perm_b32 v3, v3, v4, s28
	v_lshlrev_b32_e32 v4, 8, v11
	v_addc_co_u32_e32 v7, vcc, v5, v7, vcc
	v_and_b32_e32 v4, 0xff00, v4
	v_and_b32_e32 v2, 0xff, v2
	v_add_u32_e32 v0, s21, v0
	v_or3_b32 v2, v3, v4, v2
	v_cmp_gt_u32_e32 vcc, s12, v0
	s_mov_b64 s[8:9], -1
	global_store_dword v[6:7], v2, off
	s_and_saveexec_b64 s[6:7], vcc
	s_cbranch_execz .LBB31_62
; %bb.140:                              ;   in Loop: Header=BB31_65 Depth=1
	v_lshlrev_b64 v[6:7], 4, v[0:1]
	v_mov_b32_e32 v2, s44
	v_add_co_u32_e32 v12, vcc, s33, v6
	v_addc_co_u32_e32 v13, vcc, v2, v7, vcc
	v_mov_b32_e32 v3, s15
	v_add_co_u32_e32 v2, vcc, s14, v6
	v_addc_co_u32_e32 v3, vcc, v3, v7, vcc
	v_mov_b32_e32 v8, s46
	v_add_co_u32_e32 v24, vcc, s45, v6
	v_bfe_u32 v11, v0, 4, 26
	global_load_dwordx4 v[2:5], v[2:3], off
	v_addc_co_u32_e32 v25, vcc, v8, v7, vcc
	global_load_dwordx4 v[6:9], v[12:13], off
	global_load_dwordx4 v[20:23], v[24:25], off
	v_mad_u64_u32 v[12:13], s[8:9], v14, v11, 0
	v_mov_b32_e32 v26, v13
	v_mad_u64_u32 v[26:27], s[8:9], v15, v11, v[26:27]
	v_mov_b32_e32 v13, v26
	v_lshlrev_b64 v[12:13], 2, v[12:13]
	v_mov_b32_e32 v11, s20
	v_add_co_u32_e32 v12, vcc, s19, v12
	v_addc_co_u32_e32 v13, vcc, v11, v13, vcc
	global_load_dword v12, v[12:13], off
	v_mov_b32_e32 v11, 0x80
	s_waitcnt vmcnt(1)
	v_pk_add_f32 v[6:7], v[6:7], v[20:21]
	v_mul_f32_e32 v13, v36, v6
	v_mul_f32_e32 v2, v2, v13
	v_pk_add_f32 v[8:9], v[8:9], v[22:23]
	global_store_dwordx4 v[24:25], v[6:9], off
	s_waitcnt vmcnt(1)
	v_div_scale_f32 v13, s[8:9], v12, v12, v2
	v_rcp_f32_e32 v20, v13
	v_div_scale_f32 v6, vcc, v2, v12, v2
	v_fma_f32 v21, -v13, v20, 1.0
	v_fmac_f32_e32 v20, v21, v20
	v_mul_f32_e32 v21, v6, v20
	v_fma_f32 v22, -v13, v21, v6
	v_fmac_f32_e32 v21, v22, v20
	v_fma_f32 v6, -v13, v21, v6
	v_div_fmas_f32 v6, v6, v20, v21
	v_div_fixup_f32 v2, v6, v12, v2
	v_min_f32_e32 v2, 0x43600000, v2
	v_max_f32_e32 v6, 0xc3600000, v2
	v_and_b32_e32 v13, 0x7fffffff, v6
	v_cmp_gt_u32_e32 vcc, s23, v13
	v_mov_b32_e32 v2, 0x80
	s_and_saveexec_b64 s[8:9], vcc
	s_cbranch_execz .LBB31_146
; %bb.141:                              ;   in Loop: Header=BB31_65 Depth=1
	v_cmp_lt_u32_e32 vcc, s24, v13
	s_mov_b64 s[10:11], 0
                                        ; implicit-def: $vgpr13
	s_and_saveexec_b64 s[16:17], vcc
	s_xor_b64 s[16:17], exec, s[16:17]
	s_cbranch_execnz .LBB31_186
; %bb.142:                              ;   in Loop: Header=BB31_65 Depth=1
	s_or_saveexec_b64 s[16:17], s[16:17]
                                        ; implicit-def: $sgpr29
	s_xor_b64 exec, exec, s[16:17]
	s_cbranch_execnz .LBB31_187
.LBB31_143:                             ;   in Loop: Header=BB31_65 Depth=1
	s_or_b64 exec, exec, s[16:17]
	v_mov_b32_e32 v2, s29
	s_and_saveexec_b64 s[16:17], s[10:11]
.LBB31_144:                             ;   in Loop: Header=BB31_65 Depth=1
	v_lshrrev_b32_e32 v2, 24, v6
	v_and_or_b32 v2, v2, s27, v13
.LBB31_145:                             ;   in Loop: Header=BB31_65 Depth=1
	s_or_b64 exec, exec, s[16:17]
.LBB31_146:                             ;   in Loop: Header=BB31_65 Depth=1
	s_or_b64 exec, exec, s[8:9]
	v_mul_f32_e32 v6, v36, v7
	v_mul_f32_e32 v3, v3, v6
	v_div_scale_f32 v6, s[8:9], v12, v12, v3
	v_rcp_f32_e32 v7, v6
	v_div_scale_f32 v13, vcc, v3, v12, v3
	v_fma_f32 v20, -v6, v7, 1.0
	v_fmac_f32_e32 v7, v20, v7
	v_mul_f32_e32 v20, v13, v7
	v_fma_f32 v21, -v6, v20, v13
	v_fmac_f32_e32 v20, v21, v7
	v_fma_f32 v6, -v6, v20, v13
	v_div_fmas_f32 v6, v6, v7, v20
	v_div_fixup_f32 v3, v6, v12, v3
	v_min_f32_e32 v3, 0x43600000, v3
	v_max_f32_e32 v3, 0xc3600000, v3
	v_and_b32_e32 v6, 0x7fffffff, v3
	v_cmp_gt_u32_e32 vcc, s23, v6
	s_and_saveexec_b64 s[8:9], vcc
	s_cbranch_execz .LBB31_152
; %bb.147:                              ;   in Loop: Header=BB31_65 Depth=1
	v_cmp_lt_u32_e32 vcc, s24, v6
	s_mov_b64 s[10:11], 0
                                        ; implicit-def: $vgpr6
	s_and_saveexec_b64 s[16:17], vcc
	s_xor_b64 s[16:17], exec, s[16:17]
	s_cbranch_execnz .LBB31_188
; %bb.148:                              ;   in Loop: Header=BB31_65 Depth=1
	s_or_saveexec_b64 s[16:17], s[16:17]
                                        ; implicit-def: $sgpr29
	s_xor_b64 exec, exec, s[16:17]
	s_cbranch_execnz .LBB31_189
.LBB31_149:                             ;   in Loop: Header=BB31_65 Depth=1
	s_or_b64 exec, exec, s[16:17]
	v_mov_b32_e32 v11, s29
	s_and_saveexec_b64 s[16:17], s[10:11]
.LBB31_150:                             ;   in Loop: Header=BB31_65 Depth=1
	v_lshrrev_b32_e32 v3, 24, v3
	v_and_or_b32 v11, v3, s27, v6
.LBB31_151:                             ;   in Loop: Header=BB31_65 Depth=1
	s_or_b64 exec, exec, s[16:17]
.LBB31_152:                             ;   in Loop: Header=BB31_65 Depth=1
	s_or_b64 exec, exec, s[8:9]
	v_mul_f32_e32 v3, v36, v8
	v_mul_f32_e32 v3, v4, v3
	v_div_scale_f32 v4, s[8:9], v12, v12, v3
	v_rcp_f32_e32 v6, v4
	v_div_scale_f32 v7, vcc, v3, v12, v3
	v_fma_f32 v8, -v4, v6, 1.0
	v_fmac_f32_e32 v6, v8, v6
	v_mul_f32_e32 v8, v7, v6
	v_fma_f32 v13, -v4, v8, v7
	v_fmac_f32_e32 v8, v13, v6
	v_fma_f32 v4, -v4, v8, v7
	v_div_fmas_f32 v4, v4, v6, v8
	v_div_fixup_f32 v3, v4, v12, v3
	v_min_f32_e32 v3, 0x43600000, v3
	v_max_f32_e32 v6, 0xc3600000, v3
	v_and_b32_e32 v7, 0x7fffffff, v6
	v_cmp_gt_u32_e32 vcc, s23, v7
	v_mov_b32_e32 v3, 0x80
	v_mov_b32_e32 v4, 0x80
	s_and_saveexec_b64 s[8:9], vcc
	s_cbranch_execz .LBB31_158
; %bb.153:                              ;   in Loop: Header=BB31_65 Depth=1
	v_cmp_lt_u32_e32 vcc, s24, v7
	s_mov_b64 s[10:11], 0
                                        ; implicit-def: $vgpr7
	s_and_saveexec_b64 s[16:17], vcc
	s_xor_b64 s[16:17], exec, s[16:17]
	s_cbranch_execnz .LBB31_190
; %bb.154:                              ;   in Loop: Header=BB31_65 Depth=1
	s_or_saveexec_b64 s[16:17], s[16:17]
                                        ; implicit-def: $sgpr29
	s_xor_b64 exec, exec, s[16:17]
	s_cbranch_execnz .LBB31_191
.LBB31_155:                             ;   in Loop: Header=BB31_65 Depth=1
	s_or_b64 exec, exec, s[16:17]
	v_mov_b32_e32 v4, s29
	s_and_saveexec_b64 s[16:17], s[10:11]
.LBB31_156:                             ;   in Loop: Header=BB31_65 Depth=1
	v_lshrrev_b32_e32 v4, 24, v6
	v_and_or_b32 v4, v4, s27, v7
.LBB31_157:                             ;   in Loop: Header=BB31_65 Depth=1
	s_or_b64 exec, exec, s[16:17]
.LBB31_158:                             ;   in Loop: Header=BB31_65 Depth=1
	s_or_b64 exec, exec, s[8:9]
	v_mul_f32_e32 v6, v36, v9
	v_mul_f32_e32 v5, v5, v6
	v_div_scale_f32 v6, s[8:9], v12, v12, v5
	v_rcp_f32_e32 v7, v6
	v_div_scale_f32 v8, vcc, v5, v12, v5
	v_fma_f32 v9, -v6, v7, 1.0
	v_fmac_f32_e32 v7, v9, v7
	v_mul_f32_e32 v9, v8, v7
	v_fma_f32 v13, -v6, v9, v8
	v_fmac_f32_e32 v9, v13, v7
	v_fma_f32 v6, -v6, v9, v8
	v_div_fmas_f32 v6, v6, v7, v9
	v_div_fixup_f32 v5, v6, v12, v5
	v_min_f32_e32 v5, 0x43600000, v5
	v_max_f32_e32 v5, 0xc3600000, v5
	v_and_b32_e32 v6, 0x7fffffff, v5
	v_cmp_gt_u32_e32 vcc, s23, v6
	s_and_saveexec_b64 s[8:9], vcc
	s_cbranch_execz .LBB31_61
; %bb.159:                              ;   in Loop: Header=BB31_65 Depth=1
	v_cmp_lt_u32_e32 vcc, s24, v6
	s_mov_b64 s[10:11], 0
                                        ; implicit-def: $vgpr6
	s_and_saveexec_b64 s[16:17], vcc
	s_xor_b64 s[16:17], exec, s[16:17]
	s_cbranch_execnz .LBB31_192
; %bb.160:                              ;   in Loop: Header=BB31_65 Depth=1
	s_or_saveexec_b64 s[16:17], s[16:17]
                                        ; implicit-def: $sgpr29
	s_xor_b64 exec, exec, s[16:17]
	s_cbranch_execnz .LBB31_193
.LBB31_161:                             ;   in Loop: Header=BB31_65 Depth=1
	s_or_b64 exec, exec, s[16:17]
	v_mov_b32_e32 v3, s29
	s_and_saveexec_b64 s[16:17], s[10:11]
	s_cbranch_execz .LBB31_60
	s_branch .LBB31_194
.LBB31_162:                             ;   in Loop: Header=BB31_65 Depth=1
	v_bfe_u32 v2, v6, 20, 1
	v_add3_u32 v2, v6, v2, s25
	s_mov_b64 s[4:5], exec
	v_lshrrev_b32_e32 v12, 20, v2
	s_or_saveexec_b64 s[6:7], s[6:7]
                                        ; implicit-def: $sgpr8
	s_xor_b64 exec, exec, s[6:7]
	s_cbranch_execz .LBB31_68
.LBB31_163:                             ;   in Loop: Header=BB31_65 Depth=1
	v_add_f32_e64 v2, |v6|, s26
	v_and_b32_e32 v12, 0xff, v2
	v_cmp_ne_u32_e32 vcc, 0, v12
	s_andn2_b64 s[4:5], s[4:5], exec
	s_and_b64 s[10:11], vcc, exec
	s_mov_b32 s8, 0
	s_or_b64 s[4:5], s[4:5], s[10:11]
	s_or_b64 exec, exec, s[6:7]
	v_mov_b32_e32 v2, s8
	s_and_saveexec_b64 s[6:7], s[4:5]
	s_cbranch_execnz .LBB31_69
	s_branch .LBB31_70
.LBB31_164:                             ;   in Loop: Header=BB31_65 Depth=1
	v_bfe_u32 v6, v3, 20, 1
	v_add3_u32 v6, v3, v6, s25
	s_mov_b64 s[4:5], exec
	v_lshrrev_b32_e32 v6, 20, v6
	s_or_saveexec_b64 s[6:7], s[6:7]
                                        ; implicit-def: $sgpr8
	s_xor_b64 exec, exec, s[6:7]
	s_cbranch_execz .LBB31_74
.LBB31_165:                             ;   in Loop: Header=BB31_65 Depth=1
	v_add_f32_e64 v6, |v3|, s26
	v_and_b32_e32 v6, 0xff, v6
	v_cmp_ne_u32_e32 vcc, 0, v6
	s_andn2_b64 s[4:5], s[4:5], exec
	s_and_b64 s[10:11], vcc, exec
	s_mov_b32 s8, 0
	s_or_b64 s[4:5], s[4:5], s[10:11]
	s_or_b64 exec, exec, s[6:7]
	v_mov_b32_e32 v10, s8
	s_and_saveexec_b64 s[6:7], s[4:5]
	s_cbranch_execnz .LBB31_75
	s_branch .LBB31_76
.LBB31_166:                             ;   in Loop: Header=BB31_65 Depth=1
	v_bfe_u32 v4, v6, 20, 1
	v_add3_u32 v4, v6, v4, s25
	s_mov_b64 s[4:5], exec
	v_lshrrev_b32_e32 v7, 20, v4
	s_or_saveexec_b64 s[6:7], s[6:7]
                                        ; implicit-def: $sgpr8
	s_xor_b64 exec, exec, s[6:7]
	s_cbranch_execz .LBB31_80
.LBB31_167:                             ;   in Loop: Header=BB31_65 Depth=1
	v_add_f32_e64 v4, |v6|, s26
	v_and_b32_e32 v7, 0xff, v4
	v_cmp_ne_u32_e32 vcc, 0, v7
	s_andn2_b64 s[4:5], s[4:5], exec
	s_and_b64 s[10:11], vcc, exec
	s_mov_b32 s8, 0
	s_or_b64 s[4:5], s[4:5], s[10:11]
	s_or_b64 exec, exec, s[6:7]
	v_mov_b32_e32 v4, s8
	s_and_saveexec_b64 s[6:7], s[4:5]
	s_cbranch_execnz .LBB31_81
	s_branch .LBB31_82
.LBB31_168:                             ;   in Loop: Header=BB31_65 Depth=1
	v_bfe_u32 v3, v5, 20, 1
	v_add3_u32 v3, v5, v3, s25
	s_mov_b64 s[4:5], exec
	v_lshrrev_b32_e32 v6, 20, v3
	s_or_saveexec_b64 s[6:7], s[6:7]
                                        ; implicit-def: $sgpr8
	s_xor_b64 exec, exec, s[6:7]
	s_cbranch_execz .LBB31_86
.LBB31_169:                             ;   in Loop: Header=BB31_65 Depth=1
	v_add_f32_e64 v3, |v5|, s26
	v_and_b32_e32 v6, 0xff, v3
	v_cmp_ne_u32_e32 vcc, 0, v6
	s_andn2_b64 s[4:5], s[4:5], exec
	s_and_b64 s[10:11], vcc, exec
	s_mov_b32 s8, 0
	s_or_b64 s[4:5], s[4:5], s[10:11]
	s_or_b64 exec, exec, s[6:7]
	v_mov_b32_e32 v3, s8
	s_and_saveexec_b64 s[6:7], s[4:5]
	s_cbranch_execnz .LBB31_87
	s_branch .LBB31_88
.LBB31_170:                             ;   in Loop: Header=BB31_65 Depth=1
	v_bfe_u32 v2, v6, 20, 1
	v_add3_u32 v2, v6, v2, s25
	s_mov_b64 s[6:7], exec
	v_lshrrev_b32_e32 v20, 20, v2
	s_or_saveexec_b64 s[8:9], s[8:9]
                                        ; implicit-def: $sgpr10
	s_xor_b64 exec, exec, s[8:9]
	s_cbranch_execz .LBB31_93
.LBB31_171:                             ;   in Loop: Header=BB31_65 Depth=1
	v_add_f32_e64 v2, |v6|, s26
	v_and_b32_e32 v20, 0xff, v2
	v_cmp_ne_u32_e32 vcc, 0, v20
	s_andn2_b64 s[6:7], s[6:7], exec
	s_and_b64 s[16:17], vcc, exec
	s_mov_b32 s10, 0
	s_or_b64 s[6:7], s[6:7], s[16:17]
	s_or_b64 exec, exec, s[8:9]
	v_mov_b32_e32 v2, s10
	s_and_saveexec_b64 s[8:9], s[6:7]
	s_cbranch_execnz .LBB31_94
	s_branch .LBB31_95
.LBB31_172:                             ;   in Loop: Header=BB31_65 Depth=1
	v_bfe_u32 v6, v3, 20, 1
	v_add3_u32 v6, v3, v6, s25
	s_mov_b64 s[6:7], exec
	v_lshrrev_b32_e32 v6, 20, v6
	s_or_saveexec_b64 s[8:9], s[8:9]
                                        ; implicit-def: $sgpr10
	s_xor_b64 exec, exec, s[8:9]
	s_cbranch_execz .LBB31_99
.LBB31_173:                             ;   in Loop: Header=BB31_65 Depth=1
	v_add_f32_e64 v6, |v3|, s26
	v_and_b32_e32 v6, 0xff, v6
	v_cmp_ne_u32_e32 vcc, 0, v6
	s_andn2_b64 s[6:7], s[6:7], exec
	s_and_b64 s[16:17], vcc, exec
	s_mov_b32 s10, 0
	s_or_b64 s[6:7], s[6:7], s[16:17]
	s_or_b64 exec, exec, s[8:9]
	v_mov_b32_e32 v12, s10
	s_and_saveexec_b64 s[8:9], s[6:7]
	s_cbranch_execnz .LBB31_100
	s_branch .LBB31_101
.LBB31_174:                             ;   in Loop: Header=BB31_65 Depth=1
	v_bfe_u32 v4, v6, 20, 1
	v_add3_u32 v4, v6, v4, s25
	s_mov_b64 s[6:7], exec
	v_lshrrev_b32_e32 v7, 20, v4
	s_or_saveexec_b64 s[8:9], s[8:9]
                                        ; implicit-def: $sgpr10
	s_xor_b64 exec, exec, s[8:9]
	s_cbranch_execz .LBB31_105
.LBB31_175:                             ;   in Loop: Header=BB31_65 Depth=1
	v_add_f32_e64 v4, |v6|, s26
	v_and_b32_e32 v7, 0xff, v4
	v_cmp_ne_u32_e32 vcc, 0, v7
	s_andn2_b64 s[6:7], s[6:7], exec
	s_and_b64 s[16:17], vcc, exec
	s_mov_b32 s10, 0
	s_or_b64 s[6:7], s[6:7], s[16:17]
	s_or_b64 exec, exec, s[8:9]
	v_mov_b32_e32 v4, s10
	s_and_saveexec_b64 s[8:9], s[6:7]
	s_cbranch_execnz .LBB31_106
	s_branch .LBB31_107
.LBB31_176:                             ;   in Loop: Header=BB31_65 Depth=1
	v_bfe_u32 v3, v5, 20, 1
	v_add3_u32 v3, v5, v3, s25
	s_mov_b64 s[6:7], exec
	v_lshrrev_b32_e32 v6, 20, v3
	s_or_saveexec_b64 s[8:9], s[8:9]
                                        ; implicit-def: $sgpr10
	s_xor_b64 exec, exec, s[8:9]
	s_cbranch_execz .LBB31_111
.LBB31_177:                             ;   in Loop: Header=BB31_65 Depth=1
	v_add_f32_e64 v3, |v5|, s26
	v_and_b32_e32 v6, 0xff, v3
	v_cmp_ne_u32_e32 vcc, 0, v6
	s_andn2_b64 s[6:7], s[6:7], exec
	s_and_b64 s[16:17], vcc, exec
	s_mov_b32 s10, 0
	s_or_b64 s[6:7], s[6:7], s[16:17]
	s_or_b64 exec, exec, s[8:9]
	v_mov_b32_e32 v3, s10
	s_and_saveexec_b64 s[8:9], s[6:7]
	s_cbranch_execnz .LBB31_112
	s_branch .LBB31_113
.LBB31_178:                             ;   in Loop: Header=BB31_65 Depth=1
	v_bfe_u32 v2, v6, 20, 1
	v_add3_u32 v2, v6, v2, s25
	s_mov_b64 s[8:9], exec
	v_lshrrev_b32_e32 v21, 20, v2
	s_or_saveexec_b64 s[10:11], s[10:11]
                                        ; implicit-def: $sgpr16
	s_xor_b64 exec, exec, s[10:11]
	s_cbranch_execz .LBB31_118
.LBB31_179:                             ;   in Loop: Header=BB31_65 Depth=1
	v_add_f32_e64 v2, |v6|, s26
	v_and_b32_e32 v21, 0xff, v2
	v_cmp_ne_u32_e32 vcc, 0, v21
	s_andn2_b64 s[8:9], s[8:9], exec
	s_and_b64 s[30:31], vcc, exec
	s_mov_b32 s16, 0
	s_or_b64 s[8:9], s[8:9], s[30:31]
	s_or_b64 exec, exec, s[10:11]
	v_mov_b32_e32 v2, s16
	s_and_saveexec_b64 s[10:11], s[8:9]
	s_cbranch_execnz .LBB31_119
	s_branch .LBB31_120
.LBB31_180:                             ;   in Loop: Header=BB31_65 Depth=1
	v_bfe_u32 v6, v3, 20, 1
	v_add3_u32 v6, v3, v6, s25
	s_mov_b64 s[8:9], exec
	v_lshrrev_b32_e32 v6, 20, v6
	s_or_saveexec_b64 s[10:11], s[10:11]
                                        ; implicit-def: $sgpr16
	s_xor_b64 exec, exec, s[10:11]
	s_cbranch_execz .LBB31_124
.LBB31_181:                             ;   in Loop: Header=BB31_65 Depth=1
	v_add_f32_e64 v6, |v3|, s26
	v_and_b32_e32 v6, 0xff, v6
	v_cmp_ne_u32_e32 vcc, 0, v6
	s_andn2_b64 s[8:9], s[8:9], exec
	s_and_b64 s[30:31], vcc, exec
	s_mov_b32 s16, 0
	s_or_b64 s[8:9], s[8:9], s[30:31]
	s_or_b64 exec, exec, s[10:11]
	v_mov_b32_e32 v11, s16
	s_and_saveexec_b64 s[10:11], s[8:9]
	s_cbranch_execnz .LBB31_125
	s_branch .LBB31_126
.LBB31_182:                             ;   in Loop: Header=BB31_65 Depth=1
	v_bfe_u32 v4, v6, 20, 1
	v_add3_u32 v4, v6, v4, s25
	s_mov_b64 s[8:9], exec
	v_lshrrev_b32_e32 v7, 20, v4
	s_or_saveexec_b64 s[10:11], s[10:11]
                                        ; implicit-def: $sgpr16
	s_xor_b64 exec, exec, s[10:11]
	s_cbranch_execz .LBB31_130
.LBB31_183:                             ;   in Loop: Header=BB31_65 Depth=1
	v_add_f32_e64 v4, |v6|, s26
	v_and_b32_e32 v7, 0xff, v4
	v_cmp_ne_u32_e32 vcc, 0, v7
	s_andn2_b64 s[8:9], s[8:9], exec
	s_and_b64 s[30:31], vcc, exec
	s_mov_b32 s16, 0
	s_or_b64 s[8:9], s[8:9], s[30:31]
	s_or_b64 exec, exec, s[10:11]
	v_mov_b32_e32 v4, s16
	s_and_saveexec_b64 s[10:11], s[8:9]
	s_cbranch_execnz .LBB31_131
	s_branch .LBB31_132
.LBB31_184:                             ;   in Loop: Header=BB31_65 Depth=1
	v_bfe_u32 v3, v5, 20, 1
	v_add3_u32 v3, v5, v3, s25
	s_mov_b64 s[8:9], exec
	v_lshrrev_b32_e32 v6, 20, v3
	s_or_saveexec_b64 s[10:11], s[10:11]
                                        ; implicit-def: $sgpr16
	s_xor_b64 exec, exec, s[10:11]
	s_cbranch_execz .LBB31_136
.LBB31_185:                             ;   in Loop: Header=BB31_65 Depth=1
	v_add_f32_e64 v3, |v5|, s26
	v_and_b32_e32 v6, 0xff, v3
	v_cmp_ne_u32_e32 vcc, 0, v6
	s_andn2_b64 s[8:9], s[8:9], exec
	s_and_b64 s[30:31], vcc, exec
	s_mov_b32 s16, 0
	s_or_b64 s[8:9], s[8:9], s[30:31]
	s_or_b64 exec, exec, s[10:11]
	v_mov_b32_e32 v3, s16
	s_and_saveexec_b64 s[10:11], s[8:9]
	s_cbranch_execnz .LBB31_137
	s_branch .LBB31_138
.LBB31_186:                             ;   in Loop: Header=BB31_65 Depth=1
	v_bfe_u32 v2, v6, 20, 1
	v_add3_u32 v2, v6, v2, s25
	s_mov_b64 s[10:11], exec
	v_lshrrev_b32_e32 v13, 20, v2
	s_or_saveexec_b64 s[16:17], s[16:17]
                                        ; implicit-def: $sgpr29
	s_xor_b64 exec, exec, s[16:17]
	s_cbranch_execz .LBB31_143
.LBB31_187:                             ;   in Loop: Header=BB31_65 Depth=1
	v_add_f32_e64 v2, |v6|, s26
	v_and_b32_e32 v13, 0xff, v2
	v_cmp_ne_u32_e32 vcc, 0, v13
	s_andn2_b64 s[10:11], s[10:11], exec
	s_and_b64 s[30:31], vcc, exec
	s_mov_b32 s29, 0
	s_or_b64 s[10:11], s[10:11], s[30:31]
	s_or_b64 exec, exec, s[16:17]
	v_mov_b32_e32 v2, s29
	s_and_saveexec_b64 s[16:17], s[10:11]
	s_cbranch_execnz .LBB31_144
	s_branch .LBB31_145
.LBB31_188:                             ;   in Loop: Header=BB31_65 Depth=1
	v_bfe_u32 v6, v3, 20, 1
	v_add3_u32 v6, v3, v6, s25
	s_mov_b64 s[10:11], exec
	v_lshrrev_b32_e32 v6, 20, v6
	s_or_saveexec_b64 s[16:17], s[16:17]
                                        ; implicit-def: $sgpr29
	s_xor_b64 exec, exec, s[16:17]
	s_cbranch_execz .LBB31_149
.LBB31_189:                             ;   in Loop: Header=BB31_65 Depth=1
	v_add_f32_e64 v6, |v3|, s26
	v_and_b32_e32 v6, 0xff, v6
	v_cmp_ne_u32_e32 vcc, 0, v6
	s_andn2_b64 s[10:11], s[10:11], exec
	s_and_b64 s[30:31], vcc, exec
	s_mov_b32 s29, 0
	s_or_b64 s[10:11], s[10:11], s[30:31]
	s_or_b64 exec, exec, s[16:17]
	v_mov_b32_e32 v11, s29
	s_and_saveexec_b64 s[16:17], s[10:11]
	s_cbranch_execnz .LBB31_150
	s_branch .LBB31_151
.LBB31_190:                             ;   in Loop: Header=BB31_65 Depth=1
	v_bfe_u32 v4, v6, 20, 1
	v_add3_u32 v4, v6, v4, s25
	s_mov_b64 s[10:11], exec
	v_lshrrev_b32_e32 v7, 20, v4
	s_or_saveexec_b64 s[16:17], s[16:17]
                                        ; implicit-def: $sgpr29
	s_xor_b64 exec, exec, s[16:17]
	s_cbranch_execz .LBB31_155
.LBB31_191:                             ;   in Loop: Header=BB31_65 Depth=1
	v_add_f32_e64 v4, |v6|, s26
	v_and_b32_e32 v7, 0xff, v4
	v_cmp_ne_u32_e32 vcc, 0, v7
	s_andn2_b64 s[10:11], s[10:11], exec
	s_and_b64 s[30:31], vcc, exec
	s_mov_b32 s29, 0
	s_or_b64 s[10:11], s[10:11], s[30:31]
	s_or_b64 exec, exec, s[16:17]
	v_mov_b32_e32 v4, s29
	s_and_saveexec_b64 s[16:17], s[10:11]
	s_cbranch_execnz .LBB31_156
	s_branch .LBB31_157
.LBB31_192:                             ;   in Loop: Header=BB31_65 Depth=1
	v_bfe_u32 v3, v5, 20, 1
	v_add3_u32 v3, v5, v3, s25
	s_mov_b64 s[10:11], exec
	v_lshrrev_b32_e32 v6, 20, v3
	s_or_saveexec_b64 s[16:17], s[16:17]
                                        ; implicit-def: $sgpr29
	s_xor_b64 exec, exec, s[16:17]
	s_cbranch_execz .LBB31_161
.LBB31_193:                             ;   in Loop: Header=BB31_65 Depth=1
	v_add_f32_e64 v3, |v5|, s26
	v_and_b32_e32 v6, 0xff, v3
	v_cmp_ne_u32_e32 vcc, 0, v6
	s_andn2_b64 s[10:11], s[10:11], exec
	s_and_b64 s[30:31], vcc, exec
	s_mov_b32 s29, 0
	s_or_b64 s[10:11], s[10:11], s[30:31]
	s_or_b64 exec, exec, s[16:17]
	v_mov_b32_e32 v3, s29
	s_and_saveexec_b64 s[16:17], s[10:11]
	s_cbranch_execz .LBB31_60
.LBB31_194:                             ;   in Loop: Header=BB31_65 Depth=1
	v_lshrrev_b32_e32 v3, 24, v5
	v_and_or_b32 v3, v3, s27, v6
	s_branch .LBB31_60
.LBB31_195:
	s_endpgm
.LBB31_196:
                                        ; implicit-def: $vgpr4_vgpr5
	s_andn2_b64 vcc, exec, s[24:25]
	s_cbranch_vccz .LBB31_53
	s_branch .LBB31_54
.LBB31_197:
                                        ; implicit-def: $vgpr2_vgpr3
	s_andn2_b64 vcc, exec, s[20:21]
	s_cbranch_vccz .LBB31_58
	s_branch .LBB31_59
	.section	.rodata,"a",@progbits
	.p2align	6, 0x0
	.amdhsa_kernel _ZN4vllm31rms_norm_per_block_quant_kernelIfN3c1015Float8_e4m3fnuzELb1ELb1ELi64EEEvPT0_PfPKT_S8_PKffiiPS6_l
		.amdhsa_group_segment_fixed_size 4164
		.amdhsa_private_segment_fixed_size 0
		.amdhsa_kernarg_size 328
		.amdhsa_user_sgpr_count 6
		.amdhsa_user_sgpr_private_segment_buffer 1
		.amdhsa_user_sgpr_dispatch_ptr 0
		.amdhsa_user_sgpr_queue_ptr 0
		.amdhsa_user_sgpr_kernarg_segment_ptr 1
		.amdhsa_user_sgpr_dispatch_id 0
		.amdhsa_user_sgpr_flat_scratch_init 0
		.amdhsa_user_sgpr_kernarg_preload_length 0
		.amdhsa_user_sgpr_kernarg_preload_offset 0
		.amdhsa_user_sgpr_private_segment_size 0
		.amdhsa_uses_dynamic_stack 0
		.amdhsa_system_sgpr_private_segment_wavefront_offset 0
		.amdhsa_system_sgpr_workgroup_id_x 1
		.amdhsa_system_sgpr_workgroup_id_y 0
		.amdhsa_system_sgpr_workgroup_id_z 0
		.amdhsa_system_sgpr_workgroup_info 0
		.amdhsa_system_vgpr_workitem_id 0
		.amdhsa_next_free_vgpr 44
		.amdhsa_next_free_sgpr 49
		.amdhsa_accum_offset 44
		.amdhsa_reserve_vcc 1
		.amdhsa_reserve_flat_scratch 0
		.amdhsa_float_round_mode_32 0
		.amdhsa_float_round_mode_16_64 0
		.amdhsa_float_denorm_mode_32 3
		.amdhsa_float_denorm_mode_16_64 3
		.amdhsa_dx10_clamp 1
		.amdhsa_ieee_mode 1
		.amdhsa_fp16_overflow 0
		.amdhsa_tg_split 0
		.amdhsa_exception_fp_ieee_invalid_op 0
		.amdhsa_exception_fp_denorm_src 0
		.amdhsa_exception_fp_ieee_div_zero 0
		.amdhsa_exception_fp_ieee_overflow 0
		.amdhsa_exception_fp_ieee_underflow 0
		.amdhsa_exception_fp_ieee_inexact 0
		.amdhsa_exception_int_div_zero 0
	.end_amdhsa_kernel
	.section	.text._ZN4vllm31rms_norm_per_block_quant_kernelIfN3c1015Float8_e4m3fnuzELb1ELb1ELi64EEEvPT0_PfPKT_S8_PKffiiPS6_l,"axG",@progbits,_ZN4vllm31rms_norm_per_block_quant_kernelIfN3c1015Float8_e4m3fnuzELb1ELb1ELi64EEEvPT0_PfPKT_S8_PKffiiPS6_l,comdat
.Lfunc_end31:
	.size	_ZN4vllm31rms_norm_per_block_quant_kernelIfN3c1015Float8_e4m3fnuzELb1ELb1ELi64EEEvPT0_PfPKT_S8_PKffiiPS6_l, .Lfunc_end31-_ZN4vllm31rms_norm_per_block_quant_kernelIfN3c1015Float8_e4m3fnuzELb1ELb1ELi64EEEvPT0_PfPKT_S8_PKffiiPS6_l
                                        ; -- End function
	.section	.AMDGPU.csdata,"",@progbits
; Kernel info:
; codeLenInByte = 11208
; NumSgprs: 53
; NumVgprs: 44
; NumAgprs: 0
; TotalNumVgprs: 44
; ScratchSize: 0
; MemoryBound: 0
; FloatMode: 240
; IeeeMode: 1
; LDSByteSize: 4164 bytes/workgroup (compile time only)
; SGPRBlocks: 6
; VGPRBlocks: 5
; NumSGPRsForWavesPerEU: 53
; NumVGPRsForWavesPerEU: 44
; AccumOffset: 44
; Occupancy: 8
; WaveLimiterHint : 0
; COMPUTE_PGM_RSRC2:SCRATCH_EN: 0
; COMPUTE_PGM_RSRC2:USER_SGPR: 6
; COMPUTE_PGM_RSRC2:TRAP_HANDLER: 0
; COMPUTE_PGM_RSRC2:TGID_X_EN: 1
; COMPUTE_PGM_RSRC2:TGID_Y_EN: 0
; COMPUTE_PGM_RSRC2:TGID_Z_EN: 0
; COMPUTE_PGM_RSRC2:TIDIG_COMP_CNT: 0
; COMPUTE_PGM_RSRC3_GFX90A:ACCUM_OFFSET: 10
; COMPUTE_PGM_RSRC3_GFX90A:TG_SPLIT: 0
	.section	.text._ZN4vllm31rms_norm_per_block_quant_kernelIfaLb1ELb1ELi64EEEvPT0_PfPKT_S6_PKffiiPS4_l,"axG",@progbits,_ZN4vllm31rms_norm_per_block_quant_kernelIfaLb1ELb1ELi64EEEvPT0_PfPKT_S6_PKffiiPS4_l,comdat
	.protected	_ZN4vllm31rms_norm_per_block_quant_kernelIfaLb1ELb1ELi64EEEvPT0_PfPKT_S6_PKffiiPS4_l ; -- Begin function _ZN4vllm31rms_norm_per_block_quant_kernelIfaLb1ELb1ELi64EEEvPT0_PfPKT_S6_PKffiiPS4_l
	.globl	_ZN4vllm31rms_norm_per_block_quant_kernelIfaLb1ELb1ELi64EEEvPT0_PfPKT_S6_PKffiiPS4_l
	.p2align	8
	.type	_ZN4vllm31rms_norm_per_block_quant_kernelIfaLb1ELb1ELi64EEEvPT0_PfPKT_S6_PKffiiPS4_l,@function
_ZN4vllm31rms_norm_per_block_quant_kernelIfaLb1ELb1ELi64EEEvPT0_PfPKT_S6_PKffiiPS4_l: ; @_ZN4vllm31rms_norm_per_block_quant_kernelIfaLb1ELb1ELi64EEEvPT0_PfPKT_S6_PKffiiPS4_l
; %bb.0:
	s_load_dwordx4 s[16:19], s[4:5], 0x28
	s_load_dwordx8 s[8:15], s[4:5], 0x0
	s_load_dwordx2 s[0:1], s[4:5], 0x38
	s_load_dword s48, s[4:5], 0x48
	s_mov_b32 s7, 0
	s_waitcnt lgkmcnt(0)
	s_ashr_i32 s2, s18, 31
	s_mul_hi_u32 s3, s18, s6
	s_mul_i32 s2, s2, s6
	s_ashr_i32 s21, s17, 31
	s_add_i32 s3, s3, s2
	s_mul_i32 s2, s18, s6
	s_mul_hi_u32 s18, s17, s6
	s_mul_i32 s19, s21, s6
	s_add_i32 s19, s18, s19
	s_lshl_b64 s[2:3], s[2:3], 2
	s_mul_i32 s18, s17, s6
	s_add_u32 s33, s12, s2
	s_addc_u32 s44, s13, s3
	s_lshl_b64 s[2:3], s[18:19], 2
	s_add_u32 s45, s0, s2
	s_addc_u32 s46, s1, s3
	s_ashr_i32 s12, s17, 2
	s_add_u32 s22, s4, 0x48
	s_mov_b32 s20, s17
	v_cmp_gt_u32_e64 s[0:1], s12, v0
	s_addc_u32 s23, s5, 0
	v_mov_b32_e32 v1, 0
	s_and_saveexec_b64 s[2:3], s[0:1]
	s_cbranch_execz .LBB32_10
; %bb.1:
	s_cmp_lt_u32 s6, s48
	s_cselect_b32 s13, 12, 18
	s_add_u32 s24, s22, s13
	s_addc_u32 s25, s23, 0
	v_mov_b32_e32 v3, 0
	global_load_ushort v8, v3, s[24:25]
	s_mov_b64 s[24:25], 0
	v_mov_b32_e32 v9, s44
	v_mov_b32_e32 v10, s46
	;; [unrolled: 1-line block ×4, first 2 shown]
                                        ; implicit-def: $sgpr26_sgpr27
	s_waitcnt vmcnt(0)
	v_mul_lo_u32 v11, v8, 3
	v_lshlrev_b32_e32 v12, 1, v8
	s_branch .LBB32_5
.LBB32_2:                               ;   in Loop: Header=BB32_5 Depth=1
	s_or_b64 exec, exec, s[34:35]
	s_orn2_b64 s[34:35], s[36:37], exec
.LBB32_3:                               ;   in Loop: Header=BB32_5 Depth=1
	s_or_b64 exec, exec, s[30:31]
	s_andn2_b64 s[26:27], s[26:27], exec
	s_and_b64 s[30:31], s[34:35], exec
	s_or_b64 s[26:27], s[26:27], s[30:31]
.LBB32_4:                               ;   in Loop: Header=BB32_5 Depth=1
	s_or_b64 exec, exec, s[28:29]
	s_and_b64 s[28:29], exec, s[26:27]
	s_or_b64 s[24:25], s[28:29], s[24:25]
	s_andn2_b64 exec, exec, s[24:25]
	s_cbranch_execz .LBB32_9
.LBB32_5:                               ; =>This Inner Loop Header: Depth=1
	v_lshlrev_b64 v[4:5], 4, v[2:3]
	v_add_co_u32_e32 v6, vcc, s33, v4
	v_addc_co_u32_e32 v7, vcc, v9, v5, vcc
	v_add_co_u32_e32 v4, vcc, s45, v4
	v_addc_co_u32_e32 v5, vcc, v10, v5, vcc
	global_load_dwordx4 v[14:17], v[6:7], off
	global_load_dwordx4 v[18:21], v[4:5], off
	v_add_u32_e32 v4, v2, v8
	v_cmp_gt_u32_e32 vcc, s12, v4
	s_or_b64 s[26:27], s[26:27], exec
	s_waitcnt vmcnt(0)
	v_pk_add_f32 v[6:7], v[14:15], v[18:19]
	v_pk_mul_f32 v[6:7], v[6:7], v[6:7]
	v_pk_add_f32 v[14:15], v[16:17], v[20:21]
	v_add_f32_e32 v1, v1, v6
	v_pk_mul_f32 v[14:15], v[14:15], v[14:15]
	v_add_f32_e32 v1, v1, v7
	v_add_f32_e32 v1, v1, v14
	;; [unrolled: 1-line block ×3, first 2 shown]
	s_and_saveexec_b64 s[28:29], vcc
	s_cbranch_execz .LBB32_4
; %bb.6:                                ;   in Loop: Header=BB32_5 Depth=1
	v_mov_b32_e32 v5, v3
	v_lshlrev_b64 v[6:7], 4, v[4:5]
	v_add_co_u32_e32 v22, vcc, s33, v6
	v_addc_co_u32_e32 v23, vcc, v9, v7, vcc
	v_add_co_u32_e32 v6, vcc, s45, v6
	v_addc_co_u32_e32 v7, vcc, v10, v7, vcc
	global_load_dwordx4 v[14:17], v[22:23], off
	global_load_dwordx4 v[18:21], v[6:7], off
	v_add_u32_e32 v6, v12, v2
	v_cmp_gt_u32_e32 vcc, s12, v6
	s_mov_b64 s[34:35], -1
	s_waitcnt vmcnt(0)
	v_pk_add_f32 v[14:15], v[14:15], v[18:19]
	v_pk_mul_f32 v[14:15], v[14:15], v[14:15]
	v_pk_add_f32 v[16:17], v[16:17], v[20:21]
	v_add_f32_e32 v1, v1, v14
	v_pk_mul_f32 v[16:17], v[16:17], v[16:17]
	v_add_f32_e32 v1, v1, v15
	v_add_f32_e32 v1, v1, v16
	;; [unrolled: 1-line block ×3, first 2 shown]
	s_and_saveexec_b64 s[30:31], vcc
	s_cbranch_execz .LBB32_3
; %bb.7:                                ;   in Loop: Header=BB32_5 Depth=1
	v_mov_b32_e32 v7, v3
	v_lshlrev_b64 v[6:7], 4, v[6:7]
	v_add_co_u32_e32 v22, vcc, s33, v6
	v_addc_co_u32_e32 v23, vcc, v9, v7, vcc
	v_add_co_u32_e32 v6, vcc, s45, v6
	v_addc_co_u32_e32 v7, vcc, v10, v7, vcc
	global_load_dwordx4 v[14:17], v[22:23], off
	global_load_dwordx4 v[18:21], v[6:7], off
	v_add_u32_e32 v2, v11, v2
	v_cmp_gt_u32_e32 vcc, s12, v2
	s_mov_b64 s[36:37], -1
	s_waitcnt vmcnt(0)
	v_pk_add_f32 v[6:7], v[14:15], v[18:19]
	v_pk_mul_f32 v[6:7], v[6:7], v[6:7]
	v_pk_add_f32 v[14:15], v[16:17], v[20:21]
	v_add_f32_e32 v1, v1, v6
	v_pk_mul_f32 v[14:15], v[14:15], v[14:15]
	v_add_f32_e32 v1, v1, v7
	v_add_f32_e32 v1, v1, v14
	;; [unrolled: 1-line block ×3, first 2 shown]
	s_and_saveexec_b64 s[34:35], vcc
	s_xor_b64 s[34:35], exec, s[34:35]
	s_cbranch_execz .LBB32_2
; %bb.8:                                ;   in Loop: Header=BB32_5 Depth=1
	v_lshlrev_b64 v[6:7], 4, v[2:3]
	v_mov_b32_e32 v2, s44
	v_add_co_u32_e32 v22, vcc, s33, v6
	v_addc_co_u32_e32 v23, vcc, v2, v7, vcc
	v_mov_b32_e32 v2, s46
	v_add_co_u32_e32 v6, vcc, s45, v6
	v_addc_co_u32_e32 v7, vcc, v2, v7, vcc
	global_load_dwordx4 v[14:17], v[22:23], off
	global_load_dwordx4 v[18:21], v[6:7], off
	v_add_u32_e32 v2, v8, v8
	v_add_u32_e32 v2, v2, v8
	;; [unrolled: 1-line block ×3, first 2 shown]
	v_cmp_le_u32_e32 vcc, s12, v2
	s_orn2_b64 s[36:37], vcc, exec
	s_waitcnt vmcnt(0)
	v_pk_add_f32 v[4:5], v[14:15], v[18:19]
	v_pk_mul_f32 v[4:5], v[4:5], v[4:5]
	v_pk_add_f32 v[6:7], v[16:17], v[20:21]
	v_add_f32_e32 v1, v1, v4
	v_pk_mul_f32 v[6:7], v[6:7], v[6:7]
	v_add_f32_e32 v1, v1, v5
	v_add_f32_e32 v1, v1, v6
	;; [unrolled: 1-line block ×3, first 2 shown]
	s_branch .LBB32_2
.LBB32_9:
	s_or_b64 exec, exec, s[24:25]
.LBB32_10:
	s_or_b64 exec, exec, s[2:3]
	v_mbcnt_lo_u32_b32 v2, -1, 0
	v_mbcnt_hi_u32_b32 v2, -1, v2
	v_and_b32_e32 v3, 63, v2
	v_cmp_ne_u32_e32 vcc, 63, v3
	s_load_dword s2, s[22:23], 0xc
	v_addc_co_u32_e32 v4, vcc, 0, v2, vcc
	v_lshlrev_b32_e32 v4, 2, v4
	ds_bpermute_b32 v4, v4, v1
	s_waitcnt lgkmcnt(0)
	s_and_b32 s13, s2, 0xffff
	v_and_b32_e32 v5, 0x3c0, v0
	v_sub_u32_e64 v5, s13, v5 clamp
	v_add_u32_e32 v6, 1, v2
	v_add_f32_e32 v4, v1, v4
	v_cmp_lt_u32_e32 vcc, v6, v5
	v_cndmask_b32_e32 v1, v1, v4, vcc
	v_cmp_gt_u32_e32 vcc, 62, v3
	v_cndmask_b32_e64 v4, 0, 1, vcc
	v_lshlrev_b32_e32 v4, 1, v4
	v_add_lshl_u32 v4, v4, v2, 2
	ds_bpermute_b32 v4, v4, v1
	v_add_u32_e32 v6, 2, v2
	v_cmp_lt_u32_e32 vcc, v6, v5
	v_add_u32_e32 v6, 4, v2
	s_waitcnt lgkmcnt(0)
	v_add_f32_e32 v4, v1, v4
	v_cndmask_b32_e32 v1, v1, v4, vcc
	v_cmp_gt_u32_e32 vcc, 60, v3
	v_cndmask_b32_e64 v4, 0, 1, vcc
	v_lshlrev_b32_e32 v4, 2, v4
	v_add_lshl_u32 v4, v4, v2, 2
	ds_bpermute_b32 v4, v4, v1
	v_cmp_lt_u32_e32 vcc, v6, v5
	v_add_u32_e32 v6, 8, v2
	s_waitcnt lgkmcnt(0)
	v_add_f32_e32 v4, v1, v4
	v_cndmask_b32_e32 v1, v1, v4, vcc
	v_cmp_gt_u32_e32 vcc, 56, v3
	v_cndmask_b32_e64 v4, 0, 1, vcc
	v_lshlrev_b32_e32 v4, 3, v4
	v_add_lshl_u32 v4, v4, v2, 2
	ds_bpermute_b32 v4, v4, v1
	v_cmp_lt_u32_e32 vcc, v6, v5
	v_add_u32_e32 v6, 16, v2
	s_waitcnt lgkmcnt(0)
	v_add_f32_e32 v4, v1, v4
	v_cndmask_b32_e32 v1, v1, v4, vcc
	v_cmp_gt_u32_e32 vcc, 48, v3
	v_cndmask_b32_e64 v4, 0, 1, vcc
	v_lshlrev_b32_e32 v4, 4, v4
	v_add_lshl_u32 v4, v4, v2, 2
	ds_bpermute_b32 v4, v4, v1
	v_cmp_lt_u32_e32 vcc, v6, v5
	s_waitcnt lgkmcnt(0)
	v_add_f32_e32 v4, v1, v4
	v_cndmask_b32_e32 v1, v1, v4, vcc
	v_cmp_gt_u32_e32 vcc, 32, v3
	v_cndmask_b32_e64 v3, 0, 1, vcc
	v_lshlrev_b32_e32 v3, 5, v3
	v_add_lshl_u32 v3, v3, v2, 2
	ds_bpermute_b32 v3, v3, v1
	v_add_u32_e32 v4, 32, v2
	v_cmp_lt_u32_e32 vcc, v4, v5
	s_waitcnt lgkmcnt(0)
	v_add_f32_e32 v3, v1, v3
	v_cndmask_b32_e32 v1, v1, v3, vcc
	v_cmp_eq_u32_e32 vcc, 0, v2
	s_and_saveexec_b64 s[2:3], vcc
	s_cbranch_execz .LBB32_12
; %bb.11:
	v_lshrrev_b32_e32 v3, 4, v0
	v_and_b32_e32 v3, 60, v3
	ds_write_b32 v3, v1 offset:4096
.LBB32_12:
	s_or_b64 exec, exec, s[2:3]
	v_cmp_gt_u32_e32 vcc, 16, v0
	s_waitcnt lgkmcnt(0)
	s_barrier
	s_and_saveexec_b64 s[24:25], vcc
	s_cbranch_execz .LBB32_14
; %bb.13:
	v_lshlrev_b32_e32 v1, 2, v2
	ds_read_b32 v1, v1 offset:4096
	v_and_b32_e32 v3, 15, v2
	v_cmp_ne_u32_e32 vcc, 15, v3
	v_addc_co_u32_e32 v4, vcc, 0, v2, vcc
	v_lshlrev_b32_e32 v4, 2, v4
	s_waitcnt lgkmcnt(0)
	ds_bpermute_b32 v4, v4, v1
	s_add_i32 s13, s13, 63
	s_lshr_b32 s13, s13, 6
	v_add_u32_e32 v5, 1, v3
	v_cmp_gt_u32_e64 s[2:3], 14, v3
	v_cmp_gt_u32_e32 vcc, s13, v5
	v_cndmask_b32_e64 v5, 0, 1, s[2:3]
	s_waitcnt lgkmcnt(0)
	v_add_f32_e32 v4, v1, v4
	v_lshlrev_b32_e32 v5, 1, v5
	v_cndmask_b32_e32 v4, v1, v4, vcc
	v_add_lshl_u32 v5, v5, v2, 2
	ds_bpermute_b32 v5, v5, v4
	v_add_u32_e32 v6, 2, v3
	v_cmp_gt_u32_e64 s[2:3], s13, v6
	v_add_u32_e32 v6, 4, v3
	s_waitcnt lgkmcnt(0)
	v_add_f32_e32 v5, v4, v5
	v_cndmask_b32_e64 v4, v4, v5, s[2:3]
	v_cmp_gt_u32_e64 s[2:3], 12, v3
	v_cndmask_b32_e64 v5, 0, 1, s[2:3]
	v_lshlrev_b32_e32 v5, 2, v5
	v_add_lshl_u32 v5, v5, v2, 2
	ds_bpermute_b32 v5, v5, v4
	v_cmp_gt_u32_e64 s[2:3], s13, v6
	s_waitcnt lgkmcnt(0)
	v_add_f32_e32 v5, v4, v5
	v_cndmask_b32_e64 v4, v4, v5, s[2:3]
	v_cmp_gt_u32_e64 s[2:3], 8, v3
	v_cndmask_b32_e64 v5, 0, 1, s[2:3]
	v_lshlrev_b32_e32 v5, 3, v5
	v_add_lshl_u32 v2, v5, v2, 2
	ds_bpermute_b32 v2, v2, v4
	v_add_u32_e32 v3, 8, v3
	v_cmp_gt_u32_e64 s[2:3], s13, v3
	s_waitcnt lgkmcnt(0)
	v_add_f32_e32 v2, v4, v2
	v_cndmask_b32_e64 v2, v4, v2, s[2:3]
	v_cndmask_b32_e32 v1, v1, v2, vcc
.LBB32_14:
	s_or_b64 exec, exec, s[24:25]
	v_cmp_eq_u32_e32 vcc, 0, v0
	s_and_saveexec_b64 s[2:3], vcc
	s_cbranch_execz .LBB32_16
; %bb.15:
	v_cvt_f32_i32_e32 v2, s20
	s_mov_b32 s13, 0x800000
	v_div_scale_f32 v3, s[24:25], v2, v2, v1
	v_rcp_f32_e32 v4, v3
	v_div_scale_f32 v5, vcc, v1, v2, v1
	v_fma_f32 v6, -v3, v4, 1.0
	v_fmac_f32_e32 v4, v6, v4
	v_mul_f32_e32 v6, v5, v4
	v_fma_f32 v7, -v3, v6, v5
	v_fmac_f32_e32 v6, v7, v4
	v_fma_f32 v3, -v3, v6, v5
	v_div_fmas_f32 v3, v3, v4, v6
	v_div_fixup_f32 v1, v3, v2, v1
	v_add_f32_e32 v1, s16, v1
	v_mul_f32_e32 v2, 0x4b800000, v1
	v_cmp_gt_f32_e32 vcc, s13, v1
	v_cndmask_b32_e32 v1, v1, v2, vcc
	v_rsq_f32_e32 v1, v1
	v_mul_f32_e32 v2, 0x45800000, v1
	v_cndmask_b32_e32 v1, v1, v2, vcc
	v_mov_b32_e32 v2, 0
	ds_write_b32 v2, v1 offset:4160
.LBB32_16:
	s_or_b64 exec, exec, s[2:3]
	s_ashr_i32 s2, s20, 31
	s_lshr_b32 s2, s2, 26
	s_add_i32 s3, s20, s2
	s_ashr_i32 s2, s3, 6
	s_cmp_lt_u32 s6, s48
	s_cselect_b32 s13, 12, 18
	s_add_u32 s16, s22, s13
	v_mov_b32_e32 v5, 0
	s_addc_u32 s17, s23, 0
	s_waitcnt lgkmcnt(0)
	s_barrier
	global_load_ushort v1, v5, s[16:17]
	ds_read_b32 v36, v5 offset:4160
	s_abs_i32 s13, s2
	v_cvt_f32_u32_e32 v2, s13
	s_sub_i32 s16, 0, s13
	s_ashr_i32 s3, s3, 31
	v_mov_b32_e32 v10, s12
	v_rcp_iflag_f32_e32 v2, v2
	v_mul_f32_e32 v2, 0x4f7ffffe, v2
	v_cvt_u32_f32_e32 v2, v2
	v_readfirstlane_b32 s17, v2
	s_mul_i32 s16, s16, s17
	s_mul_hi_u32 s16, s17, s16
	s_add_i32 s17, s17, s16
	s_waitcnt vmcnt(0)
	v_readfirstlane_b32 s47, v1
	s_mul_hi_u32 s16, s47, s17
	s_mul_i32 s17, s16, s13
	s_sub_i32 s17, s47, s17
	s_add_i32 s22, s16, 1
	s_sub_i32 s23, s17, s13
	s_cmp_ge_u32 s17, s13
	s_cselect_b32 s16, s22, s16
	s_cselect_b32 s17, s23, s17
	s_add_i32 s22, s16, 1
	s_cmp_ge_u32 s17, s13
	s_cselect_b32 s13, s22, s16
	s_xor_b32 s13, s13, s3
	s_sub_i32 s16, s13, s3
	s_abs_i32 s3, s16
	v_cvt_f32_u32_e32 v1, s3
	s_sub_i32 s22, 0, s3
	s_ashr_i32 s17, s16, 31
	s_ashr_i32 s13, s12, 31
	v_rcp_iflag_f32_e32 v1, v1
	v_mov_b32_e32 v11, s13
	v_mul_f32_e32 v1, 0x4f7ffffe, v1
	v_cvt_u32_f32_e32 v1, v1
	v_mul_lo_u32 v2, s22, v1
	v_mul_hi_u32 v2, v1, v2
	v_add_u32_e32 v1, v1, v2
	v_mul_hi_u32 v1, v0, v1
	v_mul_lo_u32 v2, v1, s3
	v_sub_u32_e32 v2, v0, v2
	v_add_u32_e32 v3, 1, v1
	v_cmp_le_u32_e32 vcc, s3, v2
	v_cndmask_b32_e32 v1, v1, v3, vcc
	v_subrev_u32_e32 v3, s3, v2
	v_cndmask_b32_e32 v2, v2, v3, vcc
	v_add_u32_e32 v3, 1, v1
	v_cmp_le_u32_e32 vcc, s3, v2
	v_cndmask_b32_e32 v1, v1, v3, vcc
	v_xor_b32_e32 v1, s17, v1
	v_subrev_u32_e32 v2, s17, v1
	v_mul_lo_u32 v1, v2, s16
	v_ashrrev_i32_e32 v3, 31, v2
	v_sub_u32_e32 v4, v0, v1
	v_lshlrev_b64 v[8:9], 4, v[2:3]
	v_add_co_u32_e32 v6, vcc, v8, v4
	v_addc_co_u32_e32 v7, vcc, 0, v9, vcc
	v_add_co_u32_e32 v8, vcc, 16, v8
	v_addc_co_u32_e32 v9, vcc, 0, v9, vcc
	v_cmp_gt_i64_e32 vcc, s[12:13], v[8:9]
	v_cndmask_b32_e32 v8, v10, v8, vcc
	v_cndmask_b32_e32 v9, v11, v9, vcc
	v_ashrrev_i32_e32 v11, 31, v8
	v_mov_b32_e32 v10, v8
	v_cmp_lt_i64_e32 vcc, v[6:7], v[10:11]
	s_and_saveexec_b64 s[22:23], vcc
	s_cbranch_execz .LBB32_26
; %bb.17:
	v_lshlrev_b64 v[12:13], 8, v[2:3]
	v_lshlrev_b64 v[14:15], 4, v[4:5]
	v_add_co_u32_e32 v12, vcc, v12, v14
	v_addc_co_u32_e32 v1, vcc, v13, v15, vcc
	s_lshl_b64 s[24:25], s[16:17], 6
	s_mul_hi_i32 s3, s16, 3
	s_mul_i32 s13, s16, 3
	s_lshl_b64 s[26:27], s[16:17], 1
	s_lshl_b64 s[30:31], s[16:17], 4
	s_mov_b64 s[28:29], 0
	v_mov_b32_e32 v5, 0
	v_mov_b32_e32 v13, s44
	;; [unrolled: 1-line block ×5, first 2 shown]
	v_pk_mov_b32 v[14:15], v[6:7], v[6:7] op_sel:[0,1]
                                        ; implicit-def: $sgpr34_sgpr35
	s_branch .LBB32_21
.LBB32_18:                              ;   in Loop: Header=BB32_21 Depth=1
	s_or_b64 exec, exec, s[40:41]
	s_orn2_b64 s[40:41], s[42:43], exec
.LBB32_19:                              ;   in Loop: Header=BB32_21 Depth=1
	s_or_b64 exec, exec, s[38:39]
	s_andn2_b64 s[34:35], s[34:35], exec
	s_and_b64 s[38:39], s[40:41], exec
	s_or_b64 s[34:35], s[34:35], s[38:39]
.LBB32_20:                              ;   in Loop: Header=BB32_21 Depth=1
	s_or_b64 exec, exec, s[36:37]
	s_and_b64 s[36:37], exec, s[34:35]
	s_or_b64 s[28:29], s[36:37], s[28:29]
	s_andn2_b64 exec, exec, s[28:29]
	s_cbranch_execz .LBB32_25
.LBB32_21:                              ; =>This Inner Loop Header: Depth=1
	v_add_co_u32_e32 v18, vcc, s33, v12
	v_addc_co_u32_e32 v19, vcc, v13, v1, vcc
	v_add_co_u32_e32 v22, vcc, s45, v12
	v_addc_co_u32_e32 v23, vcc, v25, v1, vcc
	global_load_dwordx4 v[28:31], v[18:19], off
	global_load_dwordx4 v[32:35], v[22:23], off
	v_add_co_u32_e32 v20, vcc, s14, v12
	v_addc_co_u32_e32 v21, vcc, v24, v1, vcc
	global_load_dwordx4 v[38:41], v[20:21], off
	v_add_co_u32_e32 v16, vcc, s16, v14
	v_addc_co_u32_e32 v17, vcc, v15, v26, vcc
	v_cmp_lt_i64_e32 vcc, v[16:17], v[10:11]
	s_or_b64 s[34:35], s[34:35], exec
	s_waitcnt vmcnt(1)
	v_add_f32_e32 v27, v28, v32
	v_add_f32_e32 v28, v29, v33
	;; [unrolled: 1-line block ×4, first 2 shown]
	s_waitcnt lgkmcnt(0)
	v_mul_f32_e32 v27, v36, v27
	v_mul_f32_e32 v28, v36, v28
	;; [unrolled: 1-line block ×4, first 2 shown]
	s_waitcnt vmcnt(0)
	v_mul_f32_e32 v27, v38, v27
	v_mul_f32_e32 v28, v39, v28
	;; [unrolled: 1-line block ×4, first 2 shown]
	v_max3_f32 v5, v5, |v27|, |v28|
	v_max3_f32 v5, v5, |v29|, |v30|
	s_and_saveexec_b64 s[36:37], vcc
	s_cbranch_execz .LBB32_20
; %bb.22:                               ;   in Loop: Header=BB32_21 Depth=1
	v_mov_b32_e32 v27, s31
	v_add_co_u32_e32 v18, vcc, s30, v18
	v_addc_co_u32_e32 v19, vcc, v19, v27, vcc
	v_add_co_u32_e32 v22, vcc, s30, v22
	v_addc_co_u32_e32 v23, vcc, v23, v27, vcc
	global_load_dwordx4 v[28:31], v[18:19], off
	global_load_dwordx4 v[32:35], v[22:23], off
	v_add_co_u32_e32 v20, vcc, s30, v20
	v_addc_co_u32_e32 v21, vcc, v21, v27, vcc
	global_load_dwordx4 v[38:41], v[20:21], off
	v_mov_b32_e32 v27, s27
	v_add_co_u32_e32 v42, vcc, s26, v14
	v_addc_co_u32_e32 v43, vcc, v27, v15, vcc
	v_cmp_lt_i64_e32 vcc, v[42:43], v[10:11]
	s_mov_b64 s[40:41], -1
	s_waitcnt vmcnt(1)
	v_add_f32_e32 v27, v28, v32
	v_add_f32_e32 v28, v29, v33
	;; [unrolled: 1-line block ×4, first 2 shown]
	v_mul_f32_e32 v27, v36, v27
	v_mul_f32_e32 v28, v36, v28
	;; [unrolled: 1-line block ×4, first 2 shown]
	s_waitcnt vmcnt(0)
	v_mul_f32_e32 v27, v38, v27
	v_mul_f32_e32 v28, v39, v28
	;; [unrolled: 1-line block ×4, first 2 shown]
	v_max3_f32 v5, v5, |v27|, |v28|
	v_max3_f32 v5, v5, |v29|, |v30|
	s_and_saveexec_b64 s[38:39], vcc
	s_cbranch_execz .LBB32_19
; %bb.23:                               ;   in Loop: Header=BB32_21 Depth=1
	v_mov_b32_e32 v27, s31
	v_add_co_u32_e32 v18, vcc, s30, v18
	v_addc_co_u32_e32 v19, vcc, v19, v27, vcc
	v_add_co_u32_e32 v22, vcc, s30, v22
	v_addc_co_u32_e32 v23, vcc, v23, v27, vcc
	global_load_dwordx4 v[28:31], v[18:19], off
	global_load_dwordx4 v[32:35], v[22:23], off
	v_add_co_u32_e32 v20, vcc, s30, v20
	v_addc_co_u32_e32 v21, vcc, v21, v27, vcc
	global_load_dwordx4 v[38:41], v[20:21], off
	v_mov_b32_e32 v27, s3
	v_add_co_u32_e32 v14, vcc, s13, v14
	v_addc_co_u32_e32 v15, vcc, v27, v15, vcc
	v_cmp_lt_i64_e32 vcc, v[14:15], v[10:11]
	s_mov_b64 s[42:43], -1
	s_waitcnt vmcnt(1)
	v_add_f32_e32 v14, v28, v32
	v_add_f32_e32 v15, v29, v33
	v_add_f32_e32 v27, v30, v34
	v_add_f32_e32 v28, v31, v35
	v_mul_f32_e32 v14, v36, v14
	v_mul_f32_e32 v15, v36, v15
	;; [unrolled: 1-line block ×4, first 2 shown]
	s_waitcnt vmcnt(0)
	v_mul_f32_e32 v14, v38, v14
	v_mul_f32_e32 v15, v39, v15
	;; [unrolled: 1-line block ×4, first 2 shown]
	v_max3_f32 v5, v5, |v14|, |v15|
	v_max3_f32 v5, v5, |v27|, |v28|
                                        ; implicit-def: $vgpr14_vgpr15
	s_and_saveexec_b64 s[40:41], vcc
	s_xor_b64 s[40:41], exec, s[40:41]
	s_cbranch_execz .LBB32_18
; %bb.24:                               ;   in Loop: Header=BB32_21 Depth=1
	v_mov_b32_e32 v27, s31
	v_add_co_u32_e32 v14, vcc, s30, v18
	v_addc_co_u32_e32 v15, vcc, v19, v27, vcc
	global_load_dwordx4 v[28:31], v[14:15], off
	v_add_co_u32_e32 v14, vcc, s30, v22
	v_addc_co_u32_e32 v15, vcc, v23, v27, vcc
	global_load_dwordx4 v[32:35], v[14:15], off
	;; [unrolled: 3-line block ×3, first 2 shown]
	s_add_u32 s42, s16, s16
	s_addc_u32 s43, s17, s17
	v_mov_b32_e32 v14, s25
	v_add_co_u32_e32 v12, vcc, s24, v12
	s_add_u32 s42, s42, s16
	v_addc_co_u32_e32 v1, vcc, v1, v14, vcc
	s_addc_u32 s43, s43, s17
	v_mov_b32_e32 v15, s43
	v_add_co_u32_e32 v14, vcc, s42, v16
	v_addc_co_u32_e32 v15, vcc, v15, v17, vcc
	v_cmp_ge_i64_e32 vcc, v[14:15], v[10:11]
	s_orn2_b64 s[42:43], vcc, exec
	s_waitcnt vmcnt(1)
	v_add_f32_e32 v16, v28, v32
	v_add_f32_e32 v17, v29, v33
	;; [unrolled: 1-line block ×4, first 2 shown]
	v_mul_f32_e32 v16, v36, v16
	v_mul_f32_e32 v17, v36, v17
	;; [unrolled: 1-line block ×4, first 2 shown]
	s_waitcnt vmcnt(0)
	v_mul_f32_e32 v16, v18, v16
	v_mul_f32_e32 v17, v19, v17
	;; [unrolled: 1-line block ×4, first 2 shown]
	v_max3_f32 v5, v5, |v16|, |v17|
	v_max3_f32 v5, v5, |v18|, |v19|
	s_branch .LBB32_18
.LBB32_25:
	s_or_b64 exec, exec, s[28:29]
.LBB32_26:
	s_or_b64 exec, exec, s[22:23]
	s_lshr_b32 s13, s47, 6
	v_cvt_f32_u32_e32 v10, s13
	v_lshlrev_b32_e32 v1, 2, v0
	ds_write_b32 v1, v5
	s_sub_i32 s23, 0, s13
	v_rcp_iflag_f32_e32 v5, v10
	s_add_i32 s3, s2, s13
	s_add_i32 s3, s3, -1
	s_ashr_i32 s22, s3, 31
	v_mul_f32_e32 v5, 0x4f7ffffe, v5
	v_cvt_u32_f32_e32 v5, v5
	s_abs_i32 s3, s3
	s_waitcnt lgkmcnt(0)
	s_barrier
	v_readfirstlane_b32 s24, v5
	s_mul_i32 s23, s23, s24
	s_mul_hi_u32 s23, s24, s23
	s_add_i32 s24, s24, s23
	s_mul_hi_u32 s23, s3, s24
	s_mul_i32 s24, s23, s13
	s_sub_i32 s3, s3, s24
	s_add_i32 s24, s23, 1
	s_sub_i32 s25, s3, s13
	s_cmp_ge_u32 s3, s13
	s_cselect_b32 s23, s24, s23
	s_cselect_b32 s3, s25, s3
	s_add_i32 s24, s23, 1
	s_cmp_ge_u32 s3, s13
	s_cselect_b32 s3, s24, s23
	s_xor_b32 s3, s3, s22
	s_sub_i32 s22, s3, s22
	s_ashr_i32 s23, s22, 31
	v_cmp_lt_i64_e64 s[24:25], s[22:23], 1
	s_and_b64 vcc, exec, s[24:25]
	s_cbranch_vccnz .LBB32_48
; %bb.27:
	v_and_b32_e32 v12, 63, v0
	v_add_co_u32_e32 v14, vcc, 32, v12
	v_addc_co_u32_e64 v15, s[24:25], 0, 0, vcc
	v_add_co_u32_e32 v16, vcc, 16, v12
	v_addc_co_u32_e64 v17, s[24:25], 0, 0, vcc
	;; [unrolled: 2-line block ×4, first 2 shown]
	v_add_co_u32_e32 v22, vcc, 2, v12
	v_lshrrev_b32_e32 v10, 6, v0
	v_addc_co_u32_e64 v23, s[24:25], 0, 0, vcc
	v_add_co_u32_e32 v24, vcc, 1, v12
	v_addc_co_u32_e64 v25, s[24:25], 0, 0, vcc
	v_mul_lo_u32 v5, s16, v10
	v_lshlrev_b32_e32 v5, 2, v5
	v_lshlrev_b32_e32 v26, 2, v12
	s_movk_i32 s24, 0x100
	v_mov_b32_e32 v11, 0
	v_add3_u32 v5, v5, v26, s24
	s_mul_i32 s24, s16, s13
	s_ashr_i32 s3, s2, 31
	v_mov_b32_e32 v13, v11
	s_lshl_b32 s36, s24, 2
	s_mov_b64 s[24:25], 0
	v_mov_b32_e32 v37, s13
	s_mov_b64 s[26:27], src_shared_base
	s_branch .LBB32_30
.LBB32_28:                              ;   in Loop: Header=BB32_30 Depth=1
	s_or_b64 exec, exec, s[30:31]
	v_mov_b32_e32 v27, s27
	flat_load_dword v26, v[26:27] glc
	s_waitcnt vmcnt(0)
.LBB32_29:                              ;   in Loop: Header=BB32_30 Depth=1
	s_or_b64 exec, exec, s[28:29]
	s_add_u32 s24, s24, 1
	s_addc_u32 s25, s25, 0
	s_cmp_eq_u64 s[24:25], s[22:23]
	v_add_u32_e32 v5, s36, v5
	s_cbranch_scc1 .LBB32_48
.LBB32_30:                              ; =>This Loop Header: Depth=1
                                        ;     Child Loop BB32_33 Depth 2
	v_mad_u64_u32 v[30:31], s[28:29], s24, v37, v[10:11]
	s_mul_i32 s26, s25, s13
	v_add_u32_e32 v31, s26, v31
	v_cmp_gt_i64_e32 vcc, s[2:3], v[30:31]
	s_and_saveexec_b64 s[28:29], vcc
	s_cbranch_execz .LBB32_29
; %bb.31:                               ;   in Loop: Header=BB32_30 Depth=1
	v_pk_mov_b32 v[32:33], s[16:17], s[16:17] op_sel:[0,1]
	v_mul_lo_u32 v29, v31, s16
	v_mul_lo_u32 v38, v30, s17
	v_mad_u64_u32 v[32:33], s[30:31], v30, s16, v[32:33]
	v_add3_u32 v33, v29, v33, v38
	v_mov_b32_e32 v28, s21
	v_cmp_gt_i64_e32 vcc, s[20:21], v[32:33]
	s_waitcnt lgkmcnt(0)
	v_mad_u64_u32 v[26:27], s[30:31], v30, s16, v[12:13]
	v_cndmask_b32_e32 v33, v28, v33, vcc
	v_mov_b32_e32 v28, s20
	v_add3_u32 v27, v29, v27, v38
	v_cndmask_b32_e32 v32, v28, v32, vcc
	v_add_co_u32_e32 v34, vcc, 64, v26
	v_addc_co_u32_e32 v35, vcc, 0, v27, vcc
	v_cmp_lt_i64_e32 vcc, v[34:35], v[32:33]
	v_lshlrev_b32_e32 v28, 2, v26
	s_and_saveexec_b64 s[30:31], vcc
	s_cbranch_execz .LBB32_34
; %bb.32:                               ;   in Loop: Header=BB32_30 Depth=1
	ds_read_b32 v31, v28
	s_mov_b64 s[34:35], 0
	v_mov_b32_e32 v27, v5
.LBB32_33:                              ;   Parent Loop BB32_30 Depth=1
                                        ; =>  This Inner Loop Header: Depth=2
	ds_read_b32 v39, v27
	v_add_co_u32_e32 v34, vcc, 64, v34
	v_addc_co_u32_e32 v35, vcc, 0, v35, vcc
	s_waitcnt lgkmcnt(1)
	v_max_f32_e32 v31, v31, v31
	v_cmp_ge_i64_e32 vcc, v[34:35], v[32:33]
	s_waitcnt lgkmcnt(0)
	v_max_f32_e32 v39, v39, v39
	v_add_u32_e32 v27, 0x100, v27
	s_or_b64 s[34:35], vcc, s[34:35]
	v_max_f32_e32 v31, v31, v39
	ds_write_b32 v28, v31
	s_andn2_b64 exec, exec, s[34:35]
	s_cbranch_execnz .LBB32_33
.LBB32_34:                              ;   in Loop: Header=BB32_30 Depth=1
	s_or_b64 exec, exec, s[30:31]
	v_mad_u64_u32 v[30:31], s[30:31], v30, s16, 0
	v_add3_u32 v27, v31, v38, v29
	v_sub_co_u32_e32 v30, vcc, v32, v30
	v_subb_co_u32_e32 v31, vcc, v33, v27, vcc
	v_cmp_gt_i64_e32 vcc, 64, v[30:31]
	v_cndmask_b32_e32 v31, 0, v31, vcc
	v_cndmask_b32_e32 v30, 64, v30, vcc
	v_cmp_lt_i64_e32 vcc, v[14:15], v[30:31]
	s_and_saveexec_b64 s[30:31], vcc
	s_cbranch_execnz .LBB32_46
; %bb.35:                               ;   in Loop: Header=BB32_30 Depth=1
	s_or_b64 exec, exec, s[30:31]
	v_cmp_lt_i64_e32 vcc, v[16:17], v[30:31]
	s_and_saveexec_b64 s[30:31], vcc
	s_cbranch_execnz .LBB32_47
.LBB32_36:                              ;   in Loop: Header=BB32_30 Depth=1
	s_or_b64 exec, exec, s[30:31]
	v_cmp_lt_i64_e32 vcc, v[18:19], v[30:31]
	s_and_saveexec_b64 s[30:31], vcc
	s_cbranch_execz .LBB32_38
.LBB32_37:                              ;   in Loop: Header=BB32_30 Depth=1
	v_mov_b32_e32 v29, s27
	v_add_u32_e32 v32, 32, v28
	v_mov_b32_e32 v33, s27
	flat_load_dword v27, v[28:29] glc
	s_waitcnt vmcnt(0)
	flat_load_dword v34, v[32:33] glc
	s_waitcnt vmcnt(0) lgkmcnt(0)
	v_max_f32_e32 v27, v27, v27
	v_max_f32_e32 v32, v34, v34
	;; [unrolled: 1-line block ×3, first 2 shown]
	flat_store_dword v[28:29], v27
	s_waitcnt vmcnt(0)
.LBB32_38:                              ;   in Loop: Header=BB32_30 Depth=1
	s_or_b64 exec, exec, s[30:31]
	v_cmp_ge_i64_e32 vcc, v[20:21], v[30:31]
	s_and_saveexec_b64 s[30:31], vcc
	s_xor_b64 s[30:31], exec, s[30:31]
; %bb.39:                               ;   in Loop: Header=BB32_30 Depth=1
                                        ; implicit-def: $vgpr28
; %bb.40:                               ;   in Loop: Header=BB32_30 Depth=1
	s_andn2_saveexec_b64 s[30:31], s[30:31]
	s_cbranch_execz .LBB32_42
; %bb.41:                               ;   in Loop: Header=BB32_30 Depth=1
	v_mov_b32_e32 v29, s27
	v_add_u32_e32 v32, 16, v28
	v_mov_b32_e32 v33, s27
	flat_load_dword v27, v[28:29] glc
	s_waitcnt vmcnt(0)
	flat_load_dword v34, v[32:33] glc
	s_waitcnt vmcnt(0) lgkmcnt(0)
	v_max_f32_e32 v27, v27, v27
	v_max_f32_e32 v32, v34, v34
	;; [unrolled: 1-line block ×3, first 2 shown]
	flat_store_dword v[28:29], v27
	s_waitcnt vmcnt(0)
.LBB32_42:                              ;   in Loop: Header=BB32_30 Depth=1
	s_or_b64 exec, exec, s[30:31]
	v_cmp_lt_i64_e32 vcc, v[22:23], v[30:31]
	v_lshlrev_b32_e32 v26, 2, v26
	s_and_saveexec_b64 s[30:31], vcc
	s_cbranch_execz .LBB32_44
; %bb.43:                               ;   in Loop: Header=BB32_30 Depth=1
	v_mov_b32_e32 v27, s27
	v_add_u32_e32 v28, 8, v26
	v_mov_b32_e32 v29, s27
	flat_load_dword v32, v[26:27] glc
	s_waitcnt vmcnt(0)
	flat_load_dword v33, v[28:29] glc
	s_waitcnt vmcnt(0) lgkmcnt(0)
	v_max_f32_e32 v28, v32, v32
	v_max_f32_e32 v29, v33, v33
	;; [unrolled: 1-line block ×3, first 2 shown]
	flat_store_dword v[26:27], v28
	s_waitcnt vmcnt(0)
.LBB32_44:                              ;   in Loop: Header=BB32_30 Depth=1
	s_or_b64 exec, exec, s[30:31]
	v_cmp_lt_i64_e32 vcc, v[24:25], v[30:31]
	s_and_saveexec_b64 s[30:31], vcc
	s_cbranch_execz .LBB32_28
; %bb.45:                               ;   in Loop: Header=BB32_30 Depth=1
	v_mov_b32_e32 v27, s27
	v_add_u32_e32 v28, 4, v26
	v_mov_b32_e32 v29, s27
	flat_load_dword v30, v[26:27] glc
	s_waitcnt vmcnt(0)
	flat_load_dword v31, v[28:29] glc
	s_waitcnt vmcnt(0) lgkmcnt(0)
	v_max_f32_e32 v28, v30, v30
	v_max_f32_e32 v29, v31, v31
	;; [unrolled: 1-line block ×3, first 2 shown]
	flat_store_dword v[26:27], v28
	s_waitcnt vmcnt(0)
	s_branch .LBB32_28
.LBB32_46:                              ;   in Loop: Header=BB32_30 Depth=1
	v_mov_b32_e32 v29, s27
	v_add_u32_e32 v32, 0x80, v28
	v_mov_b32_e32 v33, s27
	flat_load_dword v27, v[28:29] glc
	s_waitcnt vmcnt(0)
	flat_load_dword v34, v[32:33] glc
	s_waitcnt vmcnt(0) lgkmcnt(0)
	v_max_f32_e32 v27, v27, v27
	v_max_f32_e32 v32, v34, v34
	;; [unrolled: 1-line block ×3, first 2 shown]
	flat_store_dword v[28:29], v27
	s_waitcnt vmcnt(0)
	s_or_b64 exec, exec, s[30:31]
	v_cmp_lt_i64_e32 vcc, v[16:17], v[30:31]
	s_and_saveexec_b64 s[30:31], vcc
	s_cbranch_execz .LBB32_36
.LBB32_47:                              ;   in Loop: Header=BB32_30 Depth=1
	v_mov_b32_e32 v29, s27
	v_add_u32_e32 v32, 64, v28
	v_mov_b32_e32 v33, s27
	flat_load_dword v27, v[28:29] glc
	s_waitcnt vmcnt(0)
	flat_load_dword v34, v[32:33] glc
	s_waitcnt vmcnt(0) lgkmcnt(0)
	v_max_f32_e32 v27, v27, v27
	v_max_f32_e32 v32, v34, v34
	;; [unrolled: 1-line block ×3, first 2 shown]
	flat_store_dword v[28:29], v27
	s_waitcnt vmcnt(0)
	s_or_b64 exec, exec, s[30:31]
	v_cmp_lt_i64_e32 vcc, v[18:19], v[30:31]
	s_and_saveexec_b64 s[30:31], vcc
	s_cbranch_execnz .LBB32_37
	s_branch .LBB32_38
.LBB32_48:
	s_load_dwordx2 s[16:17], s[4:5], 0x40
	v_cmp_eq_u32_e32 vcc, 0, v4
	v_cmp_lt_i64_e64 s[2:3], v[6:7], v[8:9]
	s_and_b64 s[2:3], vcc, s[2:3]
	s_waitcnt lgkmcnt(0)
	s_barrier
	s_and_saveexec_b64 s[20:21], s[2:3]
	s_cbranch_execz .LBB32_55
; %bb.49:
	s_load_dwordx2 s[2:3], s[4:5], 0x20
	ds_read_b32 v1, v1
	s_waitcnt lgkmcnt(0)
	s_cmp_eq_u64 s[2:3], 0
	s_cbranch_scc1 .LBB32_51
; %bb.50:
	s_load_dword s2, s[2:3], 0x0
	v_max_f32_e32 v1, v1, v1
	s_waitcnt lgkmcnt(0)
	v_max_f32_e64 v4, s2, s2
	v_min_f32_e32 v1, v1, v4
.LBB32_51:
	s_add_u32 s3, s16, s48
	s_addc_u32 s4, s17, 0
	s_add_u32 s22, s3, -1
	s_addc_u32 s23, s4, -1
	s_or_b64 s[4:5], s[22:23], s[16:17]
	s_mov_b32 s2, 0
	s_mov_b32 s3, s5
	s_cmp_lg_u64 s[2:3], 0
	s_mov_b64 s[24:25], -1
	s_cbranch_scc0 .LBB32_68
; %bb.52:
	s_ashr_i32 s2, s17, 31
	s_add_u32 s4, s16, s2
	s_mov_b32 s3, s2
	s_addc_u32 s5, s17, s2
	s_xor_b64 s[26:27], s[4:5], s[2:3]
	v_cvt_f32_u32_e32 v4, s26
	v_cvt_f32_u32_e32 v5, s27
	s_sub_u32 s2, 0, s26
	s_subb_u32 s3, 0, s27
	v_madmk_f32 v4, v5, 0x4f800000, v4
	v_rcp_f32_e32 v4, v4
	v_mul_f32_e32 v4, 0x5f7ffffc, v4
	v_mul_f32_e32 v5, 0x2f800000, v4
	v_trunc_f32_e32 v5, v5
	v_madmk_f32 v4, v5, 0xcf800000, v4
	v_cvt_u32_f32_e32 v5, v5
	v_cvt_u32_f32_e32 v4, v4
	v_readfirstlane_b32 s4, v5
	v_readfirstlane_b32 s5, v4
	s_mul_i32 s13, s2, s4
	s_mul_hi_u32 s29, s2, s5
	s_mul_i32 s28, s3, s5
	s_add_i32 s13, s29, s13
	s_add_i32 s13, s13, s28
	s_mul_i32 s30, s2, s5
	s_mul_hi_u32 s28, s5, s13
	s_mul_i32 s29, s5, s13
	s_mul_hi_u32 s5, s5, s30
	s_add_u32 s5, s5, s29
	s_addc_u32 s28, 0, s28
	s_mul_hi_u32 s31, s4, s30
	s_mul_i32 s30, s4, s30
	s_add_u32 s5, s5, s30
	s_mul_hi_u32 s29, s4, s13
	s_addc_u32 s5, s28, s31
	s_addc_u32 s28, s29, 0
	s_mul_i32 s13, s4, s13
	s_add_u32 s5, s5, s13
	s_addc_u32 s13, 0, s28
	v_add_co_u32_e32 v4, vcc, s5, v4
	s_cmp_lg_u64 vcc, 0
	s_addc_u32 s4, s4, s13
	v_readfirstlane_b32 s13, v4
	s_mul_i32 s5, s2, s4
	s_mul_hi_u32 s28, s2, s13
	s_add_i32 s5, s28, s5
	s_mul_i32 s3, s3, s13
	s_add_i32 s5, s5, s3
	s_mul_i32 s2, s2, s13
	s_mul_hi_u32 s28, s4, s2
	s_mul_i32 s29, s4, s2
	s_mul_i32 s31, s13, s5
	s_mul_hi_u32 s2, s13, s2
	s_mul_hi_u32 s30, s13, s5
	s_add_u32 s2, s2, s31
	s_addc_u32 s13, 0, s30
	s_add_u32 s2, s2, s29
	s_mul_hi_u32 s3, s4, s5
	s_addc_u32 s2, s13, s28
	s_addc_u32 s3, s3, 0
	s_mul_i32 s5, s4, s5
	s_add_u32 s2, s2, s5
	s_addc_u32 s3, 0, s3
	v_add_co_u32_e32 v4, vcc, s2, v4
	s_cmp_lg_u64 vcc, 0
	s_addc_u32 s4, s4, s3
	s_ashr_i32 s28, s23, 31
	s_add_u32 s2, s22, s28
	s_mov_b32 s29, s28
	s_addc_u32 s3, s23, s28
	s_xor_b64 s[30:31], s[2:3], s[28:29]
	v_readfirstlane_b32 s5, v4
	s_mul_i32 s3, s30, s4
	s_mul_hi_u32 s13, s30, s5
	s_mul_hi_u32 s2, s30, s4
	s_add_u32 s3, s13, s3
	s_addc_u32 s2, 0, s2
	s_mul_hi_u32 s29, s31, s5
	s_mul_i32 s5, s31, s5
	s_add_u32 s3, s3, s5
	s_mul_hi_u32 s13, s31, s4
	s_addc_u32 s2, s2, s29
	s_addc_u32 s3, s13, 0
	s_mul_i32 s4, s31, s4
	s_add_u32 s2, s2, s4
	s_addc_u32 s3, 0, s3
	s_mul_i32 s3, s26, s3
	s_mul_hi_u32 s4, s26, s2
	s_add_i32 s3, s4, s3
	s_mul_i32 s4, s27, s2
	s_mul_i32 s2, s26, s2
	s_add_i32 s13, s3, s4
	v_mov_b32_e32 v4, s2
	s_sub_i32 s3, s31, s13
	v_sub_co_u32_e32 v4, vcc, s30, v4
	s_cmp_lg_u64 vcc, 0
	s_subb_u32 s29, s3, s27
	v_subrev_co_u32_e64 v5, s[2:3], s26, v4
	s_cmp_lg_u64 s[2:3], 0
	s_subb_u32 s30, s29, 0
	s_cmp_ge_u32 s30, s27
	s_cselect_b32 s34, -1, 0
	v_cmp_le_u32_e64 s[4:5], s26, v5
	s_cmp_eq_u32 s30, s27
	v_cndmask_b32_e64 v6, 0, -1, s[4:5]
	v_mov_b32_e32 v7, s34
	s_cselect_b64 s[4:5], -1, 0
	s_cmp_lg_u64 s[2:3], 0
	v_cndmask_b32_e64 v6, v7, v6, s[4:5]
	s_subb_u32 s4, s29, s27
	v_subrev_co_u32_e64 v7, s[2:3], s26, v5
	s_cmp_lg_u64 s[2:3], 0
	s_subb_u32 s4, s4, 0
	v_cmp_ne_u32_e64 s[2:3], 0, v6
	v_cndmask_b32_e64 v5, v5, v7, s[2:3]
	v_mov_b32_e32 v6, s30
	v_mov_b32_e32 v7, s4
	s_cmp_lg_u64 vcc, 0
	v_cndmask_b32_e64 v6, v6, v7, s[2:3]
	s_subb_u32 s2, s31, s13
	s_cmp_ge_u32 s2, s27
	s_cselect_b32 s3, -1, 0
	v_cmp_le_u32_e32 vcc, s26, v4
	s_cmp_eq_u32 s2, s27
	v_cndmask_b32_e64 v7, 0, -1, vcc
	v_mov_b32_e32 v8, s3
	s_cselect_b64 vcc, -1, 0
	v_cndmask_b32_e32 v7, v8, v7, vcc
	v_cmp_ne_u32_e32 vcc, 0, v7
	v_mov_b32_e32 v8, s2
	v_cndmask_b32_e32 v4, v4, v5, vcc
	v_cndmask_b32_e32 v6, v8, v6, vcc
	v_xor_b32_e32 v4, s28, v4
	v_xor_b32_e32 v5, s28, v6
	v_mov_b32_e32 v6, s28
	v_subrev_co_u32_e32 v4, vcc, s28, v4
	v_subb_co_u32_e32 v5, vcc, v5, v6, vcc
	s_cbranch_execnz .LBB32_54
.LBB32_53:
	v_cvt_f32_u32_e32 v4, s16
	s_sub_i32 s2, 0, s16
	v_rcp_iflag_f32_e32 v4, v4
	v_mul_f32_e32 v4, 0x4f7ffffe, v4
	v_cvt_u32_f32_e32 v4, v4
	v_mul_lo_u32 v5, s2, v4
	v_mul_hi_u32 v5, v4, v5
	v_add_u32_e32 v4, v4, v5
	v_mul_hi_u32 v4, s22, v4
	v_mul_lo_u32 v4, v4, s16
	v_sub_u32_e32 v4, s22, v4
	v_subrev_u32_e32 v5, s16, v4
	v_cmp_le_u32_e32 vcc, s16, v4
	v_cndmask_b32_e32 v4, v4, v5, vcc
	v_subrev_u32_e32 v5, s16, v4
	v_cmp_le_u32_e32 vcc, s16, v4
	v_cndmask_b32_e32 v4, v4, v5, vcc
	v_mov_b32_e32 v5, 0
.LBB32_54:
	s_mov_b32 s4, 0x42fe0000
	v_div_scale_f32 v6, s[2:3], s4, s4, v1
	v_rcp_f32_e32 v7, v6
	v_div_scale_f32 v8, vcc, v1, s4, v1
	v_fma_f32 v9, -v6, v7, 1.0
	v_fmac_f32_e32 v7, v9, v7
	v_mul_f32_e32 v9, v8, v7
	v_fma_f32 v10, -v6, v9, v8
	v_fmac_f32_e32 v9, v10, v7
	v_fma_f32 v6, -v6, v9, v8
	v_div_fmas_f32 v6, v6, v7, v9
	v_div_fixup_f32 v1, v6, s4, v1
	v_mov_b32_e32 v6, s23
	v_sub_co_u32_e32 v4, vcc, s22, v4
	v_subb_co_u32_e32 v5, vcc, v6, v5, vcc
	v_mul_lo_u32 v5, v5, v2
	v_mul_lo_u32 v6, v4, v3
	v_mad_u64_u32 v[2:3], s[2:3], v4, v2, 0
	s_lshl_b64 s[2:3], s[6:7], 2
	v_add3_u32 v3, v3, v6, v5
	s_add_u32 s2, s2, s10
	v_lshlrev_b64 v[2:3], 2, v[2:3]
	s_addc_u32 s3, s3, s11
	v_mov_b32_e32 v4, s3
	v_add_co_u32_e32 v2, vcc, s2, v2
	v_max_f32_e32 v1, 0x34000000, v1
	v_addc_co_u32_e32 v3, vcc, v4, v3, vcc
	global_store_dword v[2:3], v1, off
.LBB32_55:
	s_or_b64 exec, exec, s[20:21]
	s_barrier
	s_and_saveexec_b64 s[2:3], s[0:1]
	s_cbranch_execz .LBB32_67
; %bb.56:
	s_add_u32 s1, s16, s48
	s_addc_u32 s2, s17, 0
	s_add_u32 s4, s1, -1
	s_addc_u32 s5, s2, -1
	s_or_b64 s[2:3], s[4:5], s[16:17]
	s_mov_b32 s0, 0
	s_mov_b32 s1, s3
	s_cmp_lg_u64 s[0:1], 0
	s_mov_b64 s[20:21], -1
	s_cbranch_scc0 .LBB32_69
; %bb.57:
	s_ashr_i32 s0, s17, 31
	s_add_u32 s2, s16, s0
	s_mov_b32 s1, s0
	s_addc_u32 s3, s17, s0
	s_xor_b64 s[22:23], s[2:3], s[0:1]
	v_cvt_f32_u32_e32 v1, s22
	v_cvt_f32_u32_e32 v2, s23
	s_sub_u32 s0, 0, s22
	s_subb_u32 s1, 0, s23
	v_madmk_f32 v1, v2, 0x4f800000, v1
	v_rcp_f32_e32 v1, v1
	v_mul_f32_e32 v1, 0x5f7ffffc, v1
	v_mul_f32_e32 v2, 0x2f800000, v1
	v_trunc_f32_e32 v2, v2
	v_madmk_f32 v1, v2, 0xcf800000, v1
	v_cvt_u32_f32_e32 v2, v2
	v_cvt_u32_f32_e32 v1, v1
	v_readfirstlane_b32 s2, v2
	v_readfirstlane_b32 s3, v1
	s_mul_i32 s13, s0, s2
	s_mul_hi_u32 s24, s0, s3
	s_mul_i32 s17, s1, s3
	s_add_i32 s13, s24, s13
	s_add_i32 s13, s13, s17
	s_mul_i32 s25, s0, s3
	s_mul_hi_u32 s17, s3, s13
	s_mul_i32 s24, s3, s13
	s_mul_hi_u32 s3, s3, s25
	s_add_u32 s3, s3, s24
	s_addc_u32 s17, 0, s17
	s_mul_hi_u32 s26, s2, s25
	s_mul_i32 s25, s2, s25
	s_add_u32 s3, s3, s25
	s_mul_hi_u32 s24, s2, s13
	s_addc_u32 s3, s17, s26
	s_addc_u32 s17, s24, 0
	s_mul_i32 s13, s2, s13
	s_add_u32 s3, s3, s13
	s_addc_u32 s13, 0, s17
	v_add_co_u32_e32 v1, vcc, s3, v1
	s_cmp_lg_u64 vcc, 0
	s_addc_u32 s2, s2, s13
	v_readfirstlane_b32 s13, v1
	s_mul_i32 s3, s0, s2
	s_mul_hi_u32 s17, s0, s13
	s_add_i32 s3, s17, s3
	s_mul_i32 s1, s1, s13
	s_add_i32 s3, s3, s1
	s_mul_i32 s0, s0, s13
	s_mul_hi_u32 s17, s2, s0
	s_mul_i32 s24, s2, s0
	s_mul_i32 s26, s13, s3
	s_mul_hi_u32 s0, s13, s0
	s_mul_hi_u32 s25, s13, s3
	s_add_u32 s0, s0, s26
	s_addc_u32 s13, 0, s25
	s_add_u32 s0, s0, s24
	s_mul_hi_u32 s1, s2, s3
	s_addc_u32 s0, s13, s17
	s_addc_u32 s1, s1, 0
	s_mul_i32 s3, s2, s3
	s_add_u32 s0, s0, s3
	s_addc_u32 s1, 0, s1
	v_add_co_u32_e32 v1, vcc, s0, v1
	s_cmp_lg_u64 vcc, 0
	s_addc_u32 s2, s2, s1
	s_ashr_i32 s24, s5, 31
	s_add_u32 s0, s4, s24
	s_mov_b32 s25, s24
	s_addc_u32 s1, s5, s24
	s_xor_b64 s[26:27], s[0:1], s[24:25]
	v_readfirstlane_b32 s3, v1
	s_mul_i32 s1, s26, s2
	s_mul_hi_u32 s13, s26, s3
	s_mul_hi_u32 s0, s26, s2
	s_add_u32 s1, s13, s1
	s_addc_u32 s0, 0, s0
	s_mul_hi_u32 s17, s27, s3
	s_mul_i32 s3, s27, s3
	s_add_u32 s1, s1, s3
	s_mul_hi_u32 s13, s27, s2
	s_addc_u32 s0, s0, s17
	s_addc_u32 s1, s13, 0
	s_mul_i32 s2, s27, s2
	s_add_u32 s0, s0, s2
	s_addc_u32 s1, 0, s1
	s_mul_i32 s1, s22, s1
	s_mul_hi_u32 s2, s22, s0
	s_add_i32 s1, s2, s1
	s_mul_i32 s2, s23, s0
	s_mul_i32 s0, s22, s0
	s_add_i32 s13, s1, s2
	v_mov_b32_e32 v1, s0
	s_sub_i32 s1, s27, s13
	v_sub_co_u32_e32 v1, vcc, s26, v1
	s_cmp_lg_u64 vcc, 0
	s_subb_u32 s17, s1, s23
	v_subrev_co_u32_e64 v2, s[0:1], s22, v1
	s_cmp_lg_u64 s[0:1], 0
	s_subb_u32 s25, s17, 0
	s_cmp_ge_u32 s25, s23
	s_cselect_b32 s26, -1, 0
	v_cmp_le_u32_e64 s[2:3], s22, v2
	s_cmp_eq_u32 s25, s23
	v_cndmask_b32_e64 v3, 0, -1, s[2:3]
	v_mov_b32_e32 v4, s26
	s_cselect_b64 s[2:3], -1, 0
	s_cmp_lg_u64 s[0:1], 0
	v_cndmask_b32_e64 v3, v4, v3, s[2:3]
	s_subb_u32 s2, s17, s23
	v_subrev_co_u32_e64 v4, s[0:1], s22, v2
	s_cmp_lg_u64 s[0:1], 0
	s_subb_u32 s2, s2, 0
	v_cmp_ne_u32_e64 s[0:1], 0, v3
	v_cndmask_b32_e64 v2, v2, v4, s[0:1]
	v_mov_b32_e32 v3, s25
	v_mov_b32_e32 v4, s2
	s_cmp_lg_u64 vcc, 0
	v_cndmask_b32_e64 v3, v3, v4, s[0:1]
	s_subb_u32 s0, s27, s13
	s_cmp_ge_u32 s0, s23
	s_cselect_b32 s1, -1, 0
	v_cmp_le_u32_e32 vcc, s22, v1
	s_cmp_eq_u32 s0, s23
	v_cndmask_b32_e64 v4, 0, -1, vcc
	v_mov_b32_e32 v5, s1
	s_cselect_b64 vcc, -1, 0
	v_cndmask_b32_e32 v4, v5, v4, vcc
	v_cmp_ne_u32_e32 vcc, 0, v4
	v_mov_b32_e32 v5, s0
	v_cndmask_b32_e32 v1, v1, v2, vcc
	v_cndmask_b32_e32 v3, v5, v3, vcc
	v_xor_b32_e32 v1, s24, v1
	v_xor_b32_e32 v3, s24, v3
	v_mov_b32_e32 v4, s24
	v_subrev_co_u32_e32 v2, vcc, s24, v1
	v_subb_co_u32_e32 v3, vcc, v3, v4, vcc
	s_cbranch_execnz .LBB32_59
.LBB32_58:
	v_cvt_f32_u32_e32 v1, s16
	s_sub_i32 s0, 0, s16
	v_mov_b32_e32 v3, 0
	v_rcp_iflag_f32_e32 v1, v1
	v_mul_f32_e32 v1, 0x4f7ffffe, v1
	v_cvt_u32_f32_e32 v1, v1
	v_mul_lo_u32 v2, s0, v1
	v_mul_hi_u32 v2, v1, v2
	v_add_u32_e32 v1, v1, v2
	v_mul_hi_u32 v1, s4, v1
	v_mul_lo_u32 v1, v1, s16
	v_sub_u32_e32 v1, s4, v1
	v_subrev_u32_e32 v2, s16, v1
	v_cmp_le_u32_e32 vcc, s16, v1
	v_cndmask_b32_e32 v1, v1, v2, vcc
	v_subrev_u32_e32 v2, s16, v1
	v_cmp_le_u32_e32 vcc, s16, v1
	v_cndmask_b32_e32 v2, v1, v2, vcc
.LBB32_59:
	s_add_u32 s13, s8, s18
	s_addc_u32 s18, s9, s19
	s_lshl_b64 s[0:1], s[6:7], 2
	s_add_u32 s19, s10, s0
	s_addc_u32 s20, s11, s1
	v_mov_b32_e32 v1, s5
	v_sub_co_u32_e32 v6, vcc, s4, v2
	v_subb_co_u32_e32 v7, vcc, v1, v3, vcc
	s_mul_i32 s21, s47, 3
	s_lshl_b32 s22, s47, 1
	s_mov_b64 s[2:3], 0
	v_mov_b32_e32 v1, 0
	v_mov_b32_e32 v8, s44
	;; [unrolled: 1-line block ×5, first 2 shown]
	s_mov_b32 s23, 0x42fe0000
	v_mov_b32_e32 v12, 0x42fe0000
	s_mov_b32 s24, 0xc3000000
	v_mov_b32_e32 v13, 0xc3000000
	v_mov_b32_e32 v14, s18
	;; [unrolled: 1-line block ×3, first 2 shown]
                                        ; implicit-def: $sgpr4_sgpr5
	s_branch .LBB32_63
.LBB32_60:                              ;   in Loop: Header=BB32_63 Depth=1
	s_or_b64 exec, exec, s[10:11]
	s_orn2_b64 s[10:11], s[16:17], exec
.LBB32_61:                              ;   in Loop: Header=BB32_63 Depth=1
	s_or_b64 exec, exec, s[8:9]
	s_andn2_b64 s[0:1], s[4:5], exec
	s_and_b64 s[4:5], s[10:11], exec
	s_or_b64 s[4:5], s[0:1], s[4:5]
.LBB32_62:                              ;   in Loop: Header=BB32_63 Depth=1
	s_or_b64 exec, exec, s[6:7]
	s_and_b64 s[0:1], exec, s[4:5]
	s_or_b64 s[2:3], s[0:1], s[2:3]
	s_andn2_b64 exec, exec, s[2:3]
	s_cbranch_execz .LBB32_67
.LBB32_63:                              ; =>This Inner Loop Header: Depth=1
	v_lshlrev_b64 v[2:3], 4, v[0:1]
	v_add_co_u32_e32 v4, vcc, s33, v2
	v_addc_co_u32_e32 v5, vcc, v8, v3, vcc
	v_add_co_u32_e32 v16, vcc, s14, v2
	v_addc_co_u32_e32 v17, vcc, v9, v3, vcc
	v_add_co_u32_e32 v28, vcc, s45, v2
	global_load_dwordx4 v[16:19], v[16:17], off
	v_addc_co_u32_e32 v29, vcc, v10, v3, vcc
	global_load_dwordx4 v[20:23], v[4:5], off
	global_load_dwordx4 v[24:27], v[28:29], off
	v_bfe_u32 v5, v0, 4, 26
	v_mad_u64_u32 v[2:3], s[0:1], v6, v5, 0
	v_mov_b32_e32 v4, v3
	v_mad_u64_u32 v[4:5], s[0:1], v7, v5, v[4:5]
	v_mov_b32_e32 v3, v4
	v_lshlrev_b64 v[2:3], 2, v[2:3]
	v_add_co_u32_e32 v2, vcc, s19, v2
	v_addc_co_u32_e32 v3, vcc, v11, v3, vcc
	global_load_dword v3, v[2:3], off
	v_lshlrev_b64 v[4:5], 2, v[0:1]
	v_add_co_u32_e32 v4, vcc, s13, v4
	v_addc_co_u32_e32 v5, vcc, v14, v5, vcc
	v_add_u32_e32 v2, s47, v0
	v_cmp_gt_u32_e64 s[0:1], s12, v2
	s_or_b64 s[4:5], s[4:5], exec
	s_waitcnt vmcnt(1)
	v_pk_add_f32 v[20:21], v[20:21], v[24:25]
	v_pk_add_f32 v[22:23], v[22:23], v[26:27]
	global_store_dwordx4 v[28:29], v[20:23], off
	s_nop 0
	v_mul_f32_e32 v20, v36, v20
	v_mul_f32_e32 v21, v36, v21
	;; [unrolled: 1-line block ×8, first 2 shown]
	s_waitcnt vmcnt(1)
	v_div_scale_f32 v20, s[6:7], v3, v3, 1.0
	v_rcp_f32_e32 v21, v20
	v_div_scale_f32 v22, vcc, 1.0, v3, 1.0
	v_fma_f32 v23, -v20, v21, 1.0
	v_fmac_f32_e32 v21, v23, v21
	v_mul_f32_e32 v23, v22, v21
	v_fma_f32 v24, -v20, v23, v22
	v_fmac_f32_e32 v23, v24, v21
	v_fma_f32 v20, -v20, v23, v22
	v_div_fmas_f32 v20, v20, v21, v23
	v_div_fixup_f32 v3, v20, v3, 1.0
	v_mul_f32_e32 v16, v16, v3
	v_mul_f32_e32 v17, v17, v3
	v_rndne_f32_e32 v16, v16
	v_mul_f32_e32 v18, v18, v3
	v_rndne_f32_e32 v17, v17
	v_cmp_nlt_f32_e32 vcc, s23, v16
	v_mul_f32_e32 v3, v19, v3
	v_rndne_f32_e32 v18, v18
	v_cndmask_b32_e32 v19, v12, v16, vcc
	v_cmp_nlt_f32_e32 vcc, s23, v17
	v_rndne_f32_e32 v3, v3
	v_cndmask_b32_e32 v20, v12, v17, vcc
	v_cmp_nlt_f32_e32 vcc, s23, v18
	v_cndmask_b32_e32 v21, v12, v18, vcc
	v_cmp_nlt_f32_e32 vcc, s23, v3
	v_cndmask_b32_e32 v22, v12, v3, vcc
	v_cmp_ngt_f32_e32 vcc, s24, v16
	v_cndmask_b32_e32 v16, v13, v19, vcc
	v_cmp_ngt_f32_e32 vcc, s24, v17
	;; [unrolled: 2-line block ×4, first 2 shown]
	v_cvt_i32_f32_e32 v18, v18
	v_cndmask_b32_e32 v3, v13, v22, vcc
	v_cvt_i32_f32_e32 v17, v17
	v_cvt_i32_f32_e32 v16, v16
	;; [unrolled: 1-line block ×3, first 2 shown]
	v_and_b32_e32 v18, 0xff, v18
	v_lshlrev_b32_e32 v18, 16, v18
	v_lshlrev_b32_sdwa v17, v15, v17 dst_sel:DWORD dst_unused:UNUSED_PAD src0_sel:DWORD src1_sel:BYTE_0
	v_and_b32_e32 v16, 0xff, v16
	v_lshl_or_b32 v3, v3, 24, v18
	v_or3_b32 v3, v3, v17, v16
	global_store_dword v[4:5], v3, off
	s_and_saveexec_b64 s[6:7], s[0:1]
	s_cbranch_execz .LBB32_62
; %bb.64:                               ;   in Loop: Header=BB32_63 Depth=1
	v_mov_b32_e32 v3, v1
	v_lshlrev_b64 v[4:5], 4, v[2:3]
	v_mov_b32_e32 v16, s44
	v_add_co_u32_e32 v28, vcc, s33, v4
	v_addc_co_u32_e32 v29, vcc, v16, v5, vcc
	v_mov_b32_e32 v17, s15
	v_add_co_u32_e32 v16, vcc, s14, v4
	v_addc_co_u32_e32 v17, vcc, v17, v5, vcc
	v_mov_b32_e32 v20, s46
	v_add_co_u32_e32 v30, vcc, s45, v4
	global_load_dwordx4 v[16:19], v[16:17], off
	v_addc_co_u32_e32 v31, vcc, v20, v5, vcc
	global_load_dwordx4 v[20:23], v[28:29], off
	global_load_dwordx4 v[24:27], v[30:31], off
	v_bfe_u32 v29, v2, 4, 26
	v_mad_u64_u32 v[4:5], s[0:1], v6, v29, 0
	v_mov_b32_e32 v28, v5
	v_mad_u64_u32 v[28:29], s[0:1], v7, v29, v[28:29]
	v_mov_b32_e32 v5, v28
	v_lshlrev_b64 v[4:5], 2, v[4:5]
	v_mov_b32_e32 v28, s20
	v_add_co_u32_e32 v4, vcc, s19, v4
	v_addc_co_u32_e32 v5, vcc, v28, v5, vcc
	global_load_dword v5, v[4:5], off
	v_lshlrev_b64 v[28:29], 2, v[2:3]
	v_mov_b32_e32 v32, s18
	v_add_co_u32_e32 v28, vcc, s13, v28
	v_addc_co_u32_e32 v29, vcc, v32, v29, vcc
	v_add_u32_e32 v4, s22, v0
	v_cmp_gt_u32_e64 s[0:1], s12, v4
	s_mov_b64 s[10:11], -1
	s_waitcnt vmcnt(1)
	v_pk_add_f32 v[20:21], v[20:21], v[24:25]
	v_pk_add_f32 v[22:23], v[22:23], v[26:27]
	global_store_dwordx4 v[30:31], v[20:23], off
	v_mul_f32_e32 v3, v36, v20
	v_mul_f32_e32 v20, v36, v21
	;; [unrolled: 1-line block ×8, first 2 shown]
	s_waitcnt vmcnt(1)
	v_div_scale_f32 v18, s[8:9], v5, v5, 1.0
	v_rcp_f32_e32 v20, v18
	v_div_scale_f32 v21, vcc, 1.0, v5, 1.0
	v_fma_f32 v22, -v18, v20, 1.0
	v_fmac_f32_e32 v20, v22, v20
	v_mul_f32_e32 v22, v21, v20
	v_fma_f32 v23, -v18, v22, v21
	v_fmac_f32_e32 v22, v23, v20
	v_fma_f32 v18, -v18, v22, v21
	v_div_fmas_f32 v18, v18, v20, v22
	v_div_fixup_f32 v5, v18, v5, 1.0
	v_mul_f32_e32 v3, v3, v5
	v_mul_f32_e32 v16, v16, v5
	v_rndne_f32_e32 v3, v3
	v_mul_f32_e32 v17, v17, v5
	v_rndne_f32_e32 v16, v16
	v_cmp_nlt_f32_e32 vcc, s23, v3
	v_mul_f32_e32 v5, v19, v5
	v_rndne_f32_e32 v17, v17
	v_cndmask_b32_e32 v18, v12, v3, vcc
	v_cmp_nlt_f32_e32 vcc, s23, v16
	v_rndne_f32_e32 v5, v5
	v_cndmask_b32_e32 v19, v12, v16, vcc
	v_cmp_nlt_f32_e32 vcc, s23, v17
	v_cndmask_b32_e32 v20, v12, v17, vcc
	v_cmp_nlt_f32_e32 vcc, s23, v5
	v_cndmask_b32_e32 v21, v12, v5, vcc
	v_cmp_ngt_f32_e32 vcc, s24, v3
	v_cndmask_b32_e32 v3, v13, v18, vcc
	v_cmp_ngt_f32_e32 vcc, s24, v16
	;; [unrolled: 2-line block ×4, first 2 shown]
	v_cvt_i32_f32_e32 v17, v17
	v_cndmask_b32_e32 v5, v13, v21, vcc
	v_cvt_i32_f32_e32 v16, v16
	v_cvt_i32_f32_e32 v3, v3
	;; [unrolled: 1-line block ×3, first 2 shown]
	v_and_b32_e32 v17, 0xff, v17
	v_lshlrev_b32_e32 v17, 16, v17
	v_lshlrev_b32_sdwa v16, v15, v16 dst_sel:DWORD dst_unused:UNUSED_PAD src0_sel:DWORD src1_sel:BYTE_0
	v_and_b32_e32 v3, 0xff, v3
	v_lshl_or_b32 v5, v5, 24, v17
	v_or3_b32 v3, v5, v16, v3
	global_store_dword v[28:29], v3, off
	s_and_saveexec_b64 s[8:9], s[0:1]
	s_cbranch_execz .LBB32_61
; %bb.65:                               ;   in Loop: Header=BB32_63 Depth=1
	v_mov_b32_e32 v5, v1
	v_lshlrev_b64 v[20:21], 4, v[4:5]
	v_mov_b32_e32 v3, s44
	v_add_co_u32_e32 v28, vcc, s33, v20
	v_addc_co_u32_e32 v29, vcc, v3, v21, vcc
	v_mov_b32_e32 v3, s15
	v_add_co_u32_e32 v16, vcc, s14, v20
	v_addc_co_u32_e32 v17, vcc, v3, v21, vcc
	v_mov_b32_e32 v3, s46
	v_add_co_u32_e32 v30, vcc, s45, v20
	v_addc_co_u32_e32 v31, vcc, v3, v21, vcc
	v_bfe_u32 v3, v4, 4, 26
	global_load_dwordx4 v[16:19], v[16:17], off
	s_nop 0
	global_load_dwordx4 v[20:23], v[28:29], off
	global_load_dwordx4 v[24:27], v[30:31], off
	v_mad_u64_u32 v[28:29], s[0:1], v6, v3, 0
	v_mov_b32_e32 v32, v29
	v_mad_u64_u32 v[32:33], s[0:1], v7, v3, v[32:33]
	v_mov_b32_e32 v29, v32
	v_lshlrev_b64 v[28:29], 2, v[28:29]
	v_mov_b32_e32 v3, s20
	v_add_co_u32_e32 v28, vcc, s19, v28
	v_addc_co_u32_e32 v29, vcc, v3, v29, vcc
	global_load_dword v3, v[28:29], off
	v_lshlrev_b64 v[4:5], 2, v[4:5]
	v_mov_b32_e32 v28, s18
	v_add_co_u32_e32 v4, vcc, s13, v4
	v_addc_co_u32_e32 v5, vcc, v28, v5, vcc
	v_add_u32_e32 v0, s21, v0
	v_cmp_gt_u32_e64 s[0:1], s12, v0
	s_mov_b64 s[16:17], -1
	s_waitcnt vmcnt(1)
	v_pk_add_f32 v[20:21], v[20:21], v[24:25]
	v_pk_add_f32 v[22:23], v[22:23], v[26:27]
	global_store_dwordx4 v[30:31], v[20:23], off
	s_nop 0
	v_mul_f32_e32 v20, v36, v20
	v_mul_f32_e32 v21, v36, v21
	;; [unrolled: 1-line block ×8, first 2 shown]
	s_waitcnt vmcnt(1)
	v_div_scale_f32 v20, s[10:11], v3, v3, 1.0
	v_rcp_f32_e32 v21, v20
	v_div_scale_f32 v22, vcc, 1.0, v3, 1.0
	v_fma_f32 v23, -v20, v21, 1.0
	v_fmac_f32_e32 v21, v23, v21
	v_mul_f32_e32 v23, v22, v21
	v_fma_f32 v24, -v20, v23, v22
	v_fmac_f32_e32 v23, v24, v21
	v_fma_f32 v20, -v20, v23, v22
	v_div_fmas_f32 v20, v20, v21, v23
	v_div_fixup_f32 v3, v20, v3, 1.0
	v_mul_f32_e32 v16, v16, v3
	v_mul_f32_e32 v17, v17, v3
	v_rndne_f32_e32 v16, v16
	v_mul_f32_e32 v18, v18, v3
	v_rndne_f32_e32 v17, v17
	v_cmp_nlt_f32_e32 vcc, s23, v16
	v_mul_f32_e32 v3, v19, v3
	v_rndne_f32_e32 v18, v18
	v_cndmask_b32_e32 v19, v12, v16, vcc
	v_cmp_nlt_f32_e32 vcc, s23, v17
	v_rndne_f32_e32 v3, v3
	v_cndmask_b32_e32 v20, v12, v17, vcc
	v_cmp_nlt_f32_e32 vcc, s23, v18
	v_cndmask_b32_e32 v21, v12, v18, vcc
	v_cmp_nlt_f32_e32 vcc, s23, v3
	v_cndmask_b32_e32 v22, v12, v3, vcc
	v_cmp_ngt_f32_e32 vcc, s24, v16
	v_cndmask_b32_e32 v16, v13, v19, vcc
	v_cmp_ngt_f32_e32 vcc, s24, v17
	;; [unrolled: 2-line block ×4, first 2 shown]
	v_cvt_i32_f32_e32 v18, v18
	v_cndmask_b32_e32 v3, v13, v22, vcc
	v_cvt_i32_f32_e32 v17, v17
	v_cvt_i32_f32_e32 v16, v16
	;; [unrolled: 1-line block ×3, first 2 shown]
	v_and_b32_e32 v18, 0xff, v18
	v_lshlrev_b32_e32 v18, 16, v18
	v_lshlrev_b32_sdwa v17, v15, v17 dst_sel:DWORD dst_unused:UNUSED_PAD src0_sel:DWORD src1_sel:BYTE_0
	v_and_b32_e32 v16, 0xff, v16
	v_lshl_or_b32 v3, v3, 24, v18
	v_or3_b32 v3, v3, v17, v16
	global_store_dword v[4:5], v3, off
	s_and_saveexec_b64 s[10:11], s[0:1]
	s_cbranch_execz .LBB32_60
; %bb.66:                               ;   in Loop: Header=BB32_63 Depth=1
	v_lshlrev_b64 v[4:5], 4, v[0:1]
	v_mov_b32_e32 v3, s44
	v_add_co_u32_e32 v28, vcc, s33, v4
	v_addc_co_u32_e32 v29, vcc, v3, v5, vcc
	v_mov_b32_e32 v3, s15
	v_add_co_u32_e32 v16, vcc, s14, v4
	v_addc_co_u32_e32 v17, vcc, v3, v5, vcc
	;; [unrolled: 3-line block ×3, first 2 shown]
	v_bfe_u32 v3, v0, 4, 26
	v_mad_u64_u32 v[4:5], s[0:1], v6, v3, 0
	global_load_dwordx4 v[16:19], v[16:17], off
	s_nop 0
	global_load_dwordx4 v[20:23], v[28:29], off
	global_load_dwordx4 v[24:27], v[30:31], off
	v_mov_b32_e32 v28, v5
	v_mad_u64_u32 v[28:29], s[0:1], v7, v3, v[28:29]
	v_mov_b32_e32 v5, v28
	v_lshlrev_b64 v[4:5], 2, v[4:5]
	v_mov_b32_e32 v3, s20
	v_add_co_u32_e32 v4, vcc, s19, v4
	v_addc_co_u32_e32 v5, vcc, v3, v5, vcc
	global_load_dword v32, v[4:5], off
	v_lshlrev_b64 v[4:5], 2, v[0:1]
	s_add_i32 s0, s47, s47
	v_mov_b32_e32 v0, s18
	v_add_co_u32_e32 v28, vcc, s13, v4
	s_add_i32 s0, s0, s47
	v_addc_co_u32_e32 v29, vcc, v0, v5, vcc
	v_add_u32_e32 v0, s0, v2
	v_cmp_le_u32_e64 s[0:1], s12, v0
	s_waitcnt vmcnt(1)
	v_pk_add_f32 v[2:3], v[20:21], v[24:25]
	v_pk_add_f32 v[4:5], v[22:23], v[26:27]
	global_store_dwordx4 v[30:31], v[2:5], off
	s_nop 0
	v_mul_f32_e32 v2, v36, v2
	v_mul_f32_e32 v3, v36, v3
	;; [unrolled: 1-line block ×7, first 2 shown]
	s_waitcnt vmcnt(1)
	v_div_scale_f32 v16, s[16:17], v32, v32, 1.0
	v_rcp_f32_e32 v17, v16
	v_mul_f32_e32 v4, v18, v4
	v_div_scale_f32 v18, vcc, 1.0, v32, 1.0
	v_fma_f32 v19, -v16, v17, 1.0
	v_fmac_f32_e32 v17, v19, v17
	v_mul_f32_e32 v19, v18, v17
	v_fma_f32 v20, -v16, v19, v18
	v_fmac_f32_e32 v19, v20, v17
	v_fma_f32 v16, -v16, v19, v18
	v_div_fmas_f32 v16, v16, v17, v19
	v_div_fixup_f32 v16, v16, v32, 1.0
	v_mul_f32_e32 v2, v2, v16
	v_mul_f32_e32 v3, v3, v16
	v_rndne_f32_e32 v2, v2
	v_mul_f32_e32 v4, v4, v16
	v_rndne_f32_e32 v3, v3
	v_cmp_nlt_f32_e32 vcc, s23, v2
	v_mul_f32_e32 v5, v5, v16
	v_rndne_f32_e32 v4, v4
	v_cndmask_b32_e32 v16, v12, v2, vcc
	v_cmp_nlt_f32_e32 vcc, s23, v3
	v_rndne_f32_e32 v5, v5
	v_cndmask_b32_e32 v17, v12, v3, vcc
	v_cmp_nlt_f32_e32 vcc, s23, v4
	v_cndmask_b32_e32 v18, v12, v4, vcc
	v_cmp_nlt_f32_e32 vcc, s23, v5
	v_cndmask_b32_e32 v19, v12, v5, vcc
	v_cmp_ngt_f32_e32 vcc, s24, v2
	v_cndmask_b32_e32 v2, v13, v16, vcc
	v_cmp_ngt_f32_e32 vcc, s24, v3
	;; [unrolled: 2-line block ×4, first 2 shown]
	v_cvt_i32_f32_e32 v4, v4
	v_cndmask_b32_e32 v5, v13, v19, vcc
	v_cvt_i32_f32_e32 v3, v3
	v_cvt_i32_f32_e32 v2, v2
	;; [unrolled: 1-line block ×3, first 2 shown]
	v_and_b32_e32 v4, 0xff, v4
	v_lshlrev_b32_e32 v4, 16, v4
	v_lshlrev_b32_sdwa v3, v15, v3 dst_sel:DWORD dst_unused:UNUSED_PAD src0_sel:DWORD src1_sel:BYTE_0
	v_and_b32_e32 v2, 0xff, v2
	v_lshl_or_b32 v4, v5, 24, v4
	v_or3_b32 v2, v4, v3, v2
	s_orn2_b64 s[16:17], s[0:1], exec
	global_store_dword v[28:29], v2, off
	s_branch .LBB32_60
.LBB32_67:
	s_endpgm
.LBB32_68:
                                        ; implicit-def: $vgpr4_vgpr5
	s_andn2_b64 vcc, exec, s[24:25]
	s_cbranch_vccz .LBB32_53
	s_branch .LBB32_54
.LBB32_69:
                                        ; implicit-def: $vgpr2_vgpr3
	s_andn2_b64 vcc, exec, s[20:21]
	s_cbranch_vccz .LBB32_58
	s_branch .LBB32_59
	.section	.rodata,"a",@progbits
	.p2align	6, 0x0
	.amdhsa_kernel _ZN4vllm31rms_norm_per_block_quant_kernelIfaLb1ELb1ELi64EEEvPT0_PfPKT_S6_PKffiiPS4_l
		.amdhsa_group_segment_fixed_size 4164
		.amdhsa_private_segment_fixed_size 0
		.amdhsa_kernarg_size 328
		.amdhsa_user_sgpr_count 6
		.amdhsa_user_sgpr_private_segment_buffer 1
		.amdhsa_user_sgpr_dispatch_ptr 0
		.amdhsa_user_sgpr_queue_ptr 0
		.amdhsa_user_sgpr_kernarg_segment_ptr 1
		.amdhsa_user_sgpr_dispatch_id 0
		.amdhsa_user_sgpr_flat_scratch_init 0
		.amdhsa_user_sgpr_kernarg_preload_length 0
		.amdhsa_user_sgpr_kernarg_preload_offset 0
		.amdhsa_user_sgpr_private_segment_size 0
		.amdhsa_uses_dynamic_stack 0
		.amdhsa_system_sgpr_private_segment_wavefront_offset 0
		.amdhsa_system_sgpr_workgroup_id_x 1
		.amdhsa_system_sgpr_workgroup_id_y 0
		.amdhsa_system_sgpr_workgroup_id_z 0
		.amdhsa_system_sgpr_workgroup_info 0
		.amdhsa_system_vgpr_workitem_id 0
		.amdhsa_next_free_vgpr 44
		.amdhsa_next_free_sgpr 49
		.amdhsa_accum_offset 44
		.amdhsa_reserve_vcc 1
		.amdhsa_reserve_flat_scratch 0
		.amdhsa_float_round_mode_32 0
		.amdhsa_float_round_mode_16_64 0
		.amdhsa_float_denorm_mode_32 3
		.amdhsa_float_denorm_mode_16_64 3
		.amdhsa_dx10_clamp 1
		.amdhsa_ieee_mode 1
		.amdhsa_fp16_overflow 0
		.amdhsa_tg_split 0
		.amdhsa_exception_fp_ieee_invalid_op 0
		.amdhsa_exception_fp_denorm_src 0
		.amdhsa_exception_fp_ieee_div_zero 0
		.amdhsa_exception_fp_ieee_overflow 0
		.amdhsa_exception_fp_ieee_underflow 0
		.amdhsa_exception_fp_ieee_inexact 0
		.amdhsa_exception_int_div_zero 0
	.end_amdhsa_kernel
	.section	.text._ZN4vllm31rms_norm_per_block_quant_kernelIfaLb1ELb1ELi64EEEvPT0_PfPKT_S6_PKffiiPS4_l,"axG",@progbits,_ZN4vllm31rms_norm_per_block_quant_kernelIfaLb1ELb1ELi64EEEvPT0_PfPKT_S6_PKffiiPS4_l,comdat
.Lfunc_end32:
	.size	_ZN4vllm31rms_norm_per_block_quant_kernelIfaLb1ELb1ELi64EEEvPT0_PfPKT_S6_PKffiiPS4_l, .Lfunc_end32-_ZN4vllm31rms_norm_per_block_quant_kernelIfaLb1ELb1ELi64EEEvPT0_PfPKT_S6_PKffiiPS4_l
                                        ; -- End function
	.section	.AMDGPU.csdata,"",@progbits
; Kernel info:
; codeLenInByte = 7640
; NumSgprs: 53
; NumVgprs: 44
; NumAgprs: 0
; TotalNumVgprs: 44
; ScratchSize: 0
; MemoryBound: 0
; FloatMode: 240
; IeeeMode: 1
; LDSByteSize: 4164 bytes/workgroup (compile time only)
; SGPRBlocks: 6
; VGPRBlocks: 5
; NumSGPRsForWavesPerEU: 53
; NumVGPRsForWavesPerEU: 44
; AccumOffset: 44
; Occupancy: 8
; WaveLimiterHint : 0
; COMPUTE_PGM_RSRC2:SCRATCH_EN: 0
; COMPUTE_PGM_RSRC2:USER_SGPR: 6
; COMPUTE_PGM_RSRC2:TRAP_HANDLER: 0
; COMPUTE_PGM_RSRC2:TGID_X_EN: 1
; COMPUTE_PGM_RSRC2:TGID_Y_EN: 0
; COMPUTE_PGM_RSRC2:TGID_Z_EN: 0
; COMPUTE_PGM_RSRC2:TIDIG_COMP_CNT: 0
; COMPUTE_PGM_RSRC3_GFX90A:ACCUM_OFFSET: 10
; COMPUTE_PGM_RSRC3_GFX90A:TG_SPLIT: 0
	.section	.text._ZN4vllm31rms_norm_per_block_quant_kernelIfN3c1013Float8_e4m3fnELb1ELb0ELi64EEEvPT0_PfPKT_S8_PKffiiPS6_l,"axG",@progbits,_ZN4vllm31rms_norm_per_block_quant_kernelIfN3c1013Float8_e4m3fnELb1ELb0ELi64EEEvPT0_PfPKT_S8_PKffiiPS6_l,comdat
	.protected	_ZN4vllm31rms_norm_per_block_quant_kernelIfN3c1013Float8_e4m3fnELb1ELb0ELi64EEEvPT0_PfPKT_S8_PKffiiPS6_l ; -- Begin function _ZN4vllm31rms_norm_per_block_quant_kernelIfN3c1013Float8_e4m3fnELb1ELb0ELi64EEEvPT0_PfPKT_S8_PKffiiPS6_l
	.globl	_ZN4vllm31rms_norm_per_block_quant_kernelIfN3c1013Float8_e4m3fnELb1ELb0ELi64EEEvPT0_PfPKT_S8_PKffiiPS6_l
	.p2align	8
	.type	_ZN4vllm31rms_norm_per_block_quant_kernelIfN3c1013Float8_e4m3fnELb1ELb0ELi64EEEvPT0_PfPKT_S8_PKffiiPS6_l,@function
_ZN4vllm31rms_norm_per_block_quant_kernelIfN3c1013Float8_e4m3fnELb1ELb0ELi64EEEvPT0_PfPKT_S8_PKffiiPS6_l: ; @_ZN4vllm31rms_norm_per_block_quant_kernelIfN3c1013Float8_e4m3fnELb1ELb0ELi64EEEvPT0_PfPKT_S8_PKffiiPS6_l
; %bb.0:
	s_load_dwordx4 s[16:19], s[4:5], 0x28
	s_load_dwordx8 s[8:15], s[4:5], 0x0
	s_load_dwordx2 s[0:1], s[4:5], 0x38
	v_mov_b32_e32 v1, 0
	s_waitcnt lgkmcnt(0)
	s_ashr_i32 s2, s18, 31
	s_mul_hi_u32 s3, s18, s6
	s_mul_i32 s2, s2, s6
	s_ashr_i32 s21, s17, 31
	s_add_i32 s3, s3, s2
	s_mul_i32 s2, s18, s6
	s_mul_hi_u32 s7, s17, s6
	s_mul_i32 s18, s21, s6
	s_add_i32 s19, s7, s18
	s_lshl_b64 s[2:3], s[2:3], 2
	s_mul_i32 s18, s17, s6
	s_add_u32 s33, s12, s2
	s_addc_u32 s44, s13, s3
	s_lshl_b64 s[2:3], s[18:19], 2
	s_add_u32 s45, s0, s2
	s_addc_u32 s46, s1, s3
	s_ashr_i32 s12, s17, 2
	s_add_u32 s2, s4, 0x48
	s_mov_b32 s20, s17
	v_cmp_gt_u32_e64 s[0:1], s12, v0
	s_addc_u32 s3, s5, 0
	s_and_saveexec_b64 s[22:23], s[0:1]
	s_cbranch_execz .LBB33_10
; %bb.1:
	s_load_dword s7, s[2:3], 0x0
	v_mov_b32_e32 v3, 0
	v_mov_b32_e32 v9, s44
	;; [unrolled: 1-line block ×4, first 2 shown]
	s_waitcnt lgkmcnt(0)
	s_cmp_lt_u32 s6, s7
	s_cselect_b32 s7, 12, 18
	s_add_u32 s24, s2, s7
	s_addc_u32 s25, s3, 0
	global_load_ushort v8, v3, s[24:25]
	s_mov_b64 s[24:25], 0
	v_mov_b32_e32 v1, v3
                                        ; implicit-def: $sgpr26_sgpr27
	s_waitcnt vmcnt(0)
	v_mul_lo_u32 v11, v8, 3
	v_lshlrev_b32_e32 v12, 1, v8
	s_branch .LBB33_5
.LBB33_2:                               ;   in Loop: Header=BB33_5 Depth=1
	s_or_b64 exec, exec, s[34:35]
	s_orn2_b64 s[34:35], s[36:37], exec
.LBB33_3:                               ;   in Loop: Header=BB33_5 Depth=1
	s_or_b64 exec, exec, s[30:31]
	s_andn2_b64 s[26:27], s[26:27], exec
	s_and_b64 s[30:31], s[34:35], exec
	s_or_b64 s[26:27], s[26:27], s[30:31]
.LBB33_4:                               ;   in Loop: Header=BB33_5 Depth=1
	s_or_b64 exec, exec, s[28:29]
	s_and_b64 s[28:29], exec, s[26:27]
	s_or_b64 s[24:25], s[28:29], s[24:25]
	s_andn2_b64 exec, exec, s[24:25]
	s_cbranch_execz .LBB33_9
.LBB33_5:                               ; =>This Inner Loop Header: Depth=1
	v_lshlrev_b64 v[4:5], 4, v[2:3]
	v_add_co_u32_e32 v6, vcc, s33, v4
	v_addc_co_u32_e32 v7, vcc, v9, v5, vcc
	v_add_co_u32_e32 v4, vcc, s45, v4
	v_addc_co_u32_e32 v5, vcc, v10, v5, vcc
	global_load_dwordx4 v[14:17], v[6:7], off
	global_load_dwordx4 v[18:21], v[4:5], off
	v_add_u32_e32 v4, v2, v8
	v_cmp_gt_u32_e32 vcc, s12, v4
	s_or_b64 s[26:27], s[26:27], exec
	s_waitcnt vmcnt(0)
	v_pk_add_f32 v[6:7], v[14:15], v[18:19]
	v_pk_mul_f32 v[6:7], v[6:7], v[6:7]
	v_pk_add_f32 v[14:15], v[16:17], v[20:21]
	v_add_f32_e32 v1, v1, v6
	v_pk_mul_f32 v[14:15], v[14:15], v[14:15]
	v_add_f32_e32 v1, v1, v7
	v_add_f32_e32 v1, v1, v14
	;; [unrolled: 1-line block ×3, first 2 shown]
	s_and_saveexec_b64 s[28:29], vcc
	s_cbranch_execz .LBB33_4
; %bb.6:                                ;   in Loop: Header=BB33_5 Depth=1
	v_mov_b32_e32 v5, v3
	v_lshlrev_b64 v[6:7], 4, v[4:5]
	v_add_co_u32_e32 v22, vcc, s33, v6
	v_addc_co_u32_e32 v23, vcc, v9, v7, vcc
	v_add_co_u32_e32 v6, vcc, s45, v6
	v_addc_co_u32_e32 v7, vcc, v10, v7, vcc
	global_load_dwordx4 v[14:17], v[22:23], off
	global_load_dwordx4 v[18:21], v[6:7], off
	v_add_u32_e32 v6, v12, v2
	v_cmp_gt_u32_e32 vcc, s12, v6
	s_mov_b64 s[34:35], -1
	s_waitcnt vmcnt(0)
	v_pk_add_f32 v[14:15], v[14:15], v[18:19]
	v_pk_mul_f32 v[14:15], v[14:15], v[14:15]
	v_pk_add_f32 v[16:17], v[16:17], v[20:21]
	v_add_f32_e32 v1, v1, v14
	v_pk_mul_f32 v[16:17], v[16:17], v[16:17]
	v_add_f32_e32 v1, v1, v15
	v_add_f32_e32 v1, v1, v16
	;; [unrolled: 1-line block ×3, first 2 shown]
	s_and_saveexec_b64 s[30:31], vcc
	s_cbranch_execz .LBB33_3
; %bb.7:                                ;   in Loop: Header=BB33_5 Depth=1
	v_mov_b32_e32 v7, v3
	v_lshlrev_b64 v[6:7], 4, v[6:7]
	v_add_co_u32_e32 v22, vcc, s33, v6
	v_addc_co_u32_e32 v23, vcc, v9, v7, vcc
	v_add_co_u32_e32 v6, vcc, s45, v6
	v_addc_co_u32_e32 v7, vcc, v10, v7, vcc
	global_load_dwordx4 v[14:17], v[22:23], off
	global_load_dwordx4 v[18:21], v[6:7], off
	v_add_u32_e32 v2, v11, v2
	v_cmp_gt_u32_e32 vcc, s12, v2
	s_mov_b64 s[36:37], -1
	s_waitcnt vmcnt(0)
	v_pk_add_f32 v[6:7], v[14:15], v[18:19]
	v_pk_mul_f32 v[6:7], v[6:7], v[6:7]
	v_pk_add_f32 v[14:15], v[16:17], v[20:21]
	v_add_f32_e32 v1, v1, v6
	v_pk_mul_f32 v[14:15], v[14:15], v[14:15]
	v_add_f32_e32 v1, v1, v7
	v_add_f32_e32 v1, v1, v14
	;; [unrolled: 1-line block ×3, first 2 shown]
	s_and_saveexec_b64 s[34:35], vcc
	s_xor_b64 s[34:35], exec, s[34:35]
	s_cbranch_execz .LBB33_2
; %bb.8:                                ;   in Loop: Header=BB33_5 Depth=1
	v_lshlrev_b64 v[6:7], 4, v[2:3]
	v_mov_b32_e32 v2, s44
	v_add_co_u32_e32 v22, vcc, s33, v6
	v_addc_co_u32_e32 v23, vcc, v2, v7, vcc
	v_mov_b32_e32 v2, s46
	v_add_co_u32_e32 v6, vcc, s45, v6
	v_addc_co_u32_e32 v7, vcc, v2, v7, vcc
	global_load_dwordx4 v[14:17], v[22:23], off
	global_load_dwordx4 v[18:21], v[6:7], off
	v_add_u32_e32 v2, v8, v8
	v_add_u32_e32 v2, v2, v8
	;; [unrolled: 1-line block ×3, first 2 shown]
	v_cmp_le_u32_e32 vcc, s12, v2
	s_orn2_b64 s[36:37], vcc, exec
	s_waitcnt vmcnt(0)
	v_pk_add_f32 v[4:5], v[14:15], v[18:19]
	v_pk_mul_f32 v[4:5], v[4:5], v[4:5]
	v_pk_add_f32 v[6:7], v[16:17], v[20:21]
	v_add_f32_e32 v1, v1, v4
	v_pk_mul_f32 v[6:7], v[6:7], v[6:7]
	v_add_f32_e32 v1, v1, v5
	v_add_f32_e32 v1, v1, v6
	;; [unrolled: 1-line block ×3, first 2 shown]
	s_branch .LBB33_2
.LBB33_9:
	s_or_b64 exec, exec, s[24:25]
.LBB33_10:
	s_or_b64 exec, exec, s[22:23]
	v_mbcnt_lo_u32_b32 v2, -1, 0
	v_mbcnt_hi_u32_b32 v2, -1, v2
	v_and_b32_e32 v3, 63, v2
	v_cmp_ne_u32_e32 vcc, 63, v3
	s_load_dword s2, s[2:3], 0xc
	v_addc_co_u32_e32 v4, vcc, 0, v2, vcc
	v_lshlrev_b32_e32 v4, 2, v4
	ds_bpermute_b32 v4, v4, v1
	s_waitcnt lgkmcnt(0)
	s_and_b32 s47, s2, 0xffff
	v_and_b32_e32 v5, 0x3c0, v0
	v_sub_u32_e64 v5, s47, v5 clamp
	v_add_u32_e32 v6, 1, v2
	v_add_f32_e32 v4, v1, v4
	v_cmp_lt_u32_e32 vcc, v6, v5
	v_cndmask_b32_e32 v1, v1, v4, vcc
	v_cmp_gt_u32_e32 vcc, 62, v3
	v_cndmask_b32_e64 v4, 0, 1, vcc
	v_lshlrev_b32_e32 v4, 1, v4
	v_add_lshl_u32 v4, v4, v2, 2
	ds_bpermute_b32 v4, v4, v1
	v_add_u32_e32 v6, 2, v2
	v_cmp_lt_u32_e32 vcc, v6, v5
	v_add_u32_e32 v6, 4, v2
	s_waitcnt lgkmcnt(0)
	v_add_f32_e32 v4, v1, v4
	v_cndmask_b32_e32 v1, v1, v4, vcc
	v_cmp_gt_u32_e32 vcc, 60, v3
	v_cndmask_b32_e64 v4, 0, 1, vcc
	v_lshlrev_b32_e32 v4, 2, v4
	v_add_lshl_u32 v4, v4, v2, 2
	ds_bpermute_b32 v4, v4, v1
	v_cmp_lt_u32_e32 vcc, v6, v5
	v_add_u32_e32 v6, 8, v2
	s_waitcnt lgkmcnt(0)
	v_add_f32_e32 v4, v1, v4
	v_cndmask_b32_e32 v1, v1, v4, vcc
	v_cmp_gt_u32_e32 vcc, 56, v3
	v_cndmask_b32_e64 v4, 0, 1, vcc
	v_lshlrev_b32_e32 v4, 3, v4
	v_add_lshl_u32 v4, v4, v2, 2
	ds_bpermute_b32 v4, v4, v1
	;; [unrolled: 10-line block ×3, first 2 shown]
	v_cmp_lt_u32_e32 vcc, v6, v5
	s_waitcnt lgkmcnt(0)
	v_add_f32_e32 v4, v1, v4
	v_cndmask_b32_e32 v1, v1, v4, vcc
	v_cmp_gt_u32_e32 vcc, 32, v3
	v_cndmask_b32_e64 v3, 0, 1, vcc
	v_lshlrev_b32_e32 v3, 5, v3
	v_add_lshl_u32 v3, v3, v2, 2
	ds_bpermute_b32 v3, v3, v1
	v_add_u32_e32 v4, 32, v2
	v_cmp_lt_u32_e32 vcc, v4, v5
	s_waitcnt lgkmcnt(0)
	v_add_f32_e32 v3, v1, v3
	v_cndmask_b32_e32 v1, v1, v3, vcc
	v_cmp_eq_u32_e32 vcc, 0, v2
	s_and_saveexec_b64 s[2:3], vcc
	s_cbranch_execz .LBB33_12
; %bb.11:
	v_lshrrev_b32_e32 v3, 4, v0
	v_and_b32_e32 v3, 60, v3
	ds_write_b32 v3, v1 offset:4096
.LBB33_12:
	s_or_b64 exec, exec, s[2:3]
	v_cmp_gt_u32_e32 vcc, 16, v0
	s_waitcnt lgkmcnt(0)
	s_barrier
	s_and_saveexec_b64 s[22:23], vcc
	s_cbranch_execz .LBB33_14
; %bb.13:
	v_lshlrev_b32_e32 v1, 2, v2
	ds_read_b32 v1, v1 offset:4096
	v_and_b32_e32 v3, 15, v2
	v_cmp_ne_u32_e32 vcc, 15, v3
	v_addc_co_u32_e32 v4, vcc, 0, v2, vcc
	v_lshlrev_b32_e32 v4, 2, v4
	s_waitcnt lgkmcnt(0)
	ds_bpermute_b32 v4, v4, v1
	s_add_i32 s2, s47, 63
	s_lshr_b32 s7, s2, 6
	v_add_u32_e32 v5, 1, v3
	v_cmp_gt_u32_e64 s[2:3], 14, v3
	v_cmp_gt_u32_e32 vcc, s7, v5
	v_cndmask_b32_e64 v5, 0, 1, s[2:3]
	s_waitcnt lgkmcnt(0)
	v_add_f32_e32 v4, v1, v4
	v_lshlrev_b32_e32 v5, 1, v5
	v_cndmask_b32_e32 v4, v1, v4, vcc
	v_add_lshl_u32 v5, v5, v2, 2
	ds_bpermute_b32 v5, v5, v4
	v_add_u32_e32 v6, 2, v3
	v_cmp_gt_u32_e64 s[2:3], s7, v6
	v_add_u32_e32 v6, 4, v3
	s_waitcnt lgkmcnt(0)
	v_add_f32_e32 v5, v4, v5
	v_cndmask_b32_e64 v4, v4, v5, s[2:3]
	v_cmp_gt_u32_e64 s[2:3], 12, v3
	v_cndmask_b32_e64 v5, 0, 1, s[2:3]
	v_lshlrev_b32_e32 v5, 2, v5
	v_add_lshl_u32 v5, v5, v2, 2
	ds_bpermute_b32 v5, v5, v4
	v_cmp_gt_u32_e64 s[2:3], s7, v6
	s_waitcnt lgkmcnt(0)
	v_add_f32_e32 v5, v4, v5
	v_cndmask_b32_e64 v4, v4, v5, s[2:3]
	v_cmp_gt_u32_e64 s[2:3], 8, v3
	v_cndmask_b32_e64 v5, 0, 1, s[2:3]
	v_lshlrev_b32_e32 v5, 3, v5
	v_add_lshl_u32 v2, v5, v2, 2
	ds_bpermute_b32 v2, v2, v4
	v_add_u32_e32 v3, 8, v3
	v_cmp_gt_u32_e64 s[2:3], s7, v3
	s_waitcnt lgkmcnt(0)
	v_add_f32_e32 v2, v4, v2
	v_cndmask_b32_e64 v2, v4, v2, s[2:3]
	v_cndmask_b32_e32 v1, v1, v2, vcc
.LBB33_14:
	s_or_b64 exec, exec, s[22:23]
	v_cmp_eq_u32_e32 vcc, 0, v0
	s_and_saveexec_b64 s[2:3], vcc
	s_cbranch_execz .LBB33_16
; %bb.15:
	v_cvt_f32_i32_e32 v2, s20
	s_mov_b32 s7, 0x800000
	v_div_scale_f32 v3, s[22:23], v2, v2, v1
	v_rcp_f32_e32 v4, v3
	v_div_scale_f32 v5, vcc, v1, v2, v1
	v_fma_f32 v6, -v3, v4, 1.0
	v_fmac_f32_e32 v4, v6, v4
	v_mul_f32_e32 v6, v5, v4
	v_fma_f32 v7, -v3, v6, v5
	v_fmac_f32_e32 v6, v7, v4
	v_fma_f32 v3, -v3, v6, v5
	v_div_fmas_f32 v3, v3, v4, v6
	v_div_fixup_f32 v1, v3, v2, v1
	v_add_f32_e32 v1, s16, v1
	v_mul_f32_e32 v2, 0x4b800000, v1
	v_cmp_gt_f32_e32 vcc, s7, v1
	v_cndmask_b32_e32 v1, v1, v2, vcc
	v_rsq_f32_e32 v1, v1
	v_mul_f32_e32 v2, 0x45800000, v1
	v_cndmask_b32_e32 v1, v1, v2, vcc
	v_mov_b32_e32 v2, 0
	ds_write_b32 v2, v1 offset:4160
.LBB33_16:
	s_or_b64 exec, exec, s[2:3]
	s_ashr_i32 s2, s20, 31
	s_lshr_b32 s2, s2, 26
	s_add_i32 s2, s20, s2
	s_ashr_i32 s16, s2, 6
	s_abs_i32 s3, s16
	v_cvt_f32_u32_e32 v1, s3
	s_sub_i32 s7, 0, s3
	s_ashr_i32 s2, s2, 31
	v_mov_b32_e32 v5, 0
	v_rcp_iflag_f32_e32 v1, v1
	s_waitcnt lgkmcnt(0)
	s_barrier
	v_mul_f32_e32 v1, 0x4f7ffffe, v1
	v_cvt_u32_f32_e32 v1, v1
	ds_read_b32 v36, v5 offset:4160
	v_readfirstlane_b32 s13, v1
	s_mul_i32 s7, s7, s13
	s_mul_hi_u32 s7, s13, s7
	s_add_i32 s13, s13, s7
	s_mul_hi_u32 s7, s47, s13
	s_mul_i32 s13, s7, s3
	s_sub_i32 s13, s47, s13
	s_add_i32 s17, s7, 1
	s_sub_i32 s22, s13, s3
	s_cmp_ge_u32 s13, s3
	s_cselect_b32 s7, s17, s7
	s_cselect_b32 s13, s22, s13
	s_add_i32 s17, s7, 1
	s_cmp_ge_u32 s13, s3
	s_cselect_b32 s3, s17, s7
	s_xor_b32 s3, s3, s2
	s_sub_i32 s2, s3, s2
	s_abs_i32 s7, s2
	v_cvt_f32_u32_e32 v1, s7
	s_sub_i32 s13, 0, s7
	s_ashr_i32 s3, s2, 31
	v_rcp_iflag_f32_e32 v1, v1
	v_mul_f32_e32 v1, 0x4f7ffffe, v1
	v_cvt_u32_f32_e32 v1, v1
	v_mul_lo_u32 v2, s13, v1
	v_mul_hi_u32 v2, v1, v2
	v_add_u32_e32 v1, v1, v2
	v_mul_hi_u32 v1, v0, v1
	v_mul_lo_u32 v2, v1, s7
	v_sub_u32_e32 v2, v0, v2
	v_add_u32_e32 v3, 1, v1
	v_cmp_le_u32_e32 vcc, s7, v2
	v_cndmask_b32_e32 v1, v1, v3, vcc
	v_subrev_u32_e32 v3, s7, v2
	v_cndmask_b32_e32 v2, v2, v3, vcc
	v_add_u32_e32 v3, 1, v1
	v_cmp_le_u32_e32 vcc, s7, v2
	v_cndmask_b32_e32 v1, v1, v3, vcc
	v_xor_b32_e32 v1, s3, v1
	v_subrev_u32_e32 v2, s3, v1
	v_mul_lo_u32 v1, v2, s2
	v_ashrrev_i32_e32 v3, 31, v2
	v_sub_u32_e32 v4, v0, v1
	v_lshlrev_b64 v[8:9], 4, v[2:3]
	v_add_co_u32_e32 v6, vcc, v8, v4
	v_addc_co_u32_e32 v7, vcc, 0, v9, vcc
	v_add_co_u32_e32 v8, vcc, 16, v8
	v_addc_co_u32_e32 v9, vcc, 0, v9, vcc
	s_ashr_i32 s13, s12, 31
	v_mov_b32_e32 v1, s13
	v_cmp_gt_i64_e32 vcc, s[12:13], v[8:9]
	v_cndmask_b32_e32 v9, v1, v9, vcc
	v_mov_b32_e32 v1, s12
	v_cndmask_b32_e32 v8, v1, v8, vcc
	v_ashrrev_i32_e32 v11, 31, v8
	v_mov_b32_e32 v10, v8
	v_cmp_lt_i64_e32 vcc, v[6:7], v[10:11]
	s_and_saveexec_b64 s[22:23], vcc
	s_cbranch_execz .LBB33_26
; %bb.17:
	v_lshlrev_b64 v[12:13], 8, v[2:3]
	v_lshlrev_b64 v[14:15], 4, v[4:5]
	v_add_co_u32_e32 v12, vcc, v12, v14
	v_addc_co_u32_e32 v1, vcc, v13, v15, vcc
	s_lshl_b64 s[24:25], s[2:3], 6
	s_mul_hi_i32 s7, s2, 3
	s_mul_i32 s13, s2, 3
	s_lshl_b64 s[26:27], s[2:3], 1
	s_lshl_b64 s[30:31], s[2:3], 4
	s_mov_b64 s[28:29], 0
	v_mov_b32_e32 v5, 0
	v_mov_b32_e32 v13, s44
	;; [unrolled: 1-line block ×5, first 2 shown]
	v_pk_mov_b32 v[14:15], v[6:7], v[6:7] op_sel:[0,1]
                                        ; implicit-def: $sgpr34_sgpr35
	s_branch .LBB33_21
.LBB33_18:                              ;   in Loop: Header=BB33_21 Depth=1
	s_or_b64 exec, exec, s[40:41]
	s_orn2_b64 s[40:41], s[42:43], exec
.LBB33_19:                              ;   in Loop: Header=BB33_21 Depth=1
	s_or_b64 exec, exec, s[38:39]
	s_andn2_b64 s[34:35], s[34:35], exec
	s_and_b64 s[38:39], s[40:41], exec
	s_or_b64 s[34:35], s[34:35], s[38:39]
.LBB33_20:                              ;   in Loop: Header=BB33_21 Depth=1
	s_or_b64 exec, exec, s[36:37]
	s_and_b64 s[36:37], exec, s[34:35]
	s_or_b64 s[28:29], s[36:37], s[28:29]
	s_andn2_b64 exec, exec, s[28:29]
	s_cbranch_execz .LBB33_25
.LBB33_21:                              ; =>This Inner Loop Header: Depth=1
	v_add_co_u32_e32 v18, vcc, s33, v12
	v_addc_co_u32_e32 v19, vcc, v13, v1, vcc
	v_add_co_u32_e32 v22, vcc, s45, v12
	v_addc_co_u32_e32 v23, vcc, v25, v1, vcc
	global_load_dwordx4 v[28:31], v[18:19], off
	global_load_dwordx4 v[32:35], v[22:23], off
	v_add_co_u32_e32 v20, vcc, s14, v12
	v_addc_co_u32_e32 v21, vcc, v24, v1, vcc
	global_load_dwordx4 v[38:41], v[20:21], off
	v_add_co_u32_e32 v16, vcc, s2, v14
	v_addc_co_u32_e32 v17, vcc, v15, v26, vcc
	v_cmp_lt_i64_e32 vcc, v[16:17], v[10:11]
	s_or_b64 s[34:35], s[34:35], exec
	s_waitcnt vmcnt(1)
	v_add_f32_e32 v27, v28, v32
	v_add_f32_e32 v28, v29, v33
	;; [unrolled: 1-line block ×4, first 2 shown]
	s_waitcnt lgkmcnt(0)
	v_mul_f32_e32 v27, v36, v27
	v_mul_f32_e32 v28, v36, v28
	;; [unrolled: 1-line block ×4, first 2 shown]
	s_waitcnt vmcnt(0)
	v_mul_f32_e32 v27, v38, v27
	v_mul_f32_e32 v28, v39, v28
	;; [unrolled: 1-line block ×4, first 2 shown]
	v_max3_f32 v5, v5, |v27|, |v28|
	v_max3_f32 v5, v5, |v29|, |v30|
	s_and_saveexec_b64 s[36:37], vcc
	s_cbranch_execz .LBB33_20
; %bb.22:                               ;   in Loop: Header=BB33_21 Depth=1
	v_mov_b32_e32 v27, s31
	v_add_co_u32_e32 v18, vcc, s30, v18
	v_addc_co_u32_e32 v19, vcc, v19, v27, vcc
	v_add_co_u32_e32 v22, vcc, s30, v22
	v_addc_co_u32_e32 v23, vcc, v23, v27, vcc
	global_load_dwordx4 v[28:31], v[18:19], off
	global_load_dwordx4 v[32:35], v[22:23], off
	v_add_co_u32_e32 v20, vcc, s30, v20
	v_addc_co_u32_e32 v21, vcc, v21, v27, vcc
	global_load_dwordx4 v[38:41], v[20:21], off
	v_mov_b32_e32 v27, s27
	v_add_co_u32_e32 v42, vcc, s26, v14
	v_addc_co_u32_e32 v43, vcc, v27, v15, vcc
	v_cmp_lt_i64_e32 vcc, v[42:43], v[10:11]
	s_mov_b64 s[40:41], -1
	s_waitcnt vmcnt(1)
	v_add_f32_e32 v27, v28, v32
	v_add_f32_e32 v28, v29, v33
	;; [unrolled: 1-line block ×4, first 2 shown]
	v_mul_f32_e32 v27, v36, v27
	v_mul_f32_e32 v28, v36, v28
	;; [unrolled: 1-line block ×4, first 2 shown]
	s_waitcnt vmcnt(0)
	v_mul_f32_e32 v27, v38, v27
	v_mul_f32_e32 v28, v39, v28
	;; [unrolled: 1-line block ×4, first 2 shown]
	v_max3_f32 v5, v5, |v27|, |v28|
	v_max3_f32 v5, v5, |v29|, |v30|
	s_and_saveexec_b64 s[38:39], vcc
	s_cbranch_execz .LBB33_19
; %bb.23:                               ;   in Loop: Header=BB33_21 Depth=1
	v_mov_b32_e32 v27, s31
	v_add_co_u32_e32 v18, vcc, s30, v18
	v_addc_co_u32_e32 v19, vcc, v19, v27, vcc
	v_add_co_u32_e32 v22, vcc, s30, v22
	v_addc_co_u32_e32 v23, vcc, v23, v27, vcc
	global_load_dwordx4 v[28:31], v[18:19], off
	global_load_dwordx4 v[32:35], v[22:23], off
	v_add_co_u32_e32 v20, vcc, s30, v20
	v_addc_co_u32_e32 v21, vcc, v21, v27, vcc
	global_load_dwordx4 v[38:41], v[20:21], off
	v_mov_b32_e32 v27, s7
	v_add_co_u32_e32 v14, vcc, s13, v14
	v_addc_co_u32_e32 v15, vcc, v27, v15, vcc
	v_cmp_lt_i64_e32 vcc, v[14:15], v[10:11]
	s_mov_b64 s[42:43], -1
	s_waitcnt vmcnt(1)
	v_add_f32_e32 v14, v28, v32
	v_add_f32_e32 v15, v29, v33
	;; [unrolled: 1-line block ×4, first 2 shown]
	v_mul_f32_e32 v14, v36, v14
	v_mul_f32_e32 v15, v36, v15
	;; [unrolled: 1-line block ×4, first 2 shown]
	s_waitcnt vmcnt(0)
	v_mul_f32_e32 v14, v38, v14
	v_mul_f32_e32 v15, v39, v15
	;; [unrolled: 1-line block ×4, first 2 shown]
	v_max3_f32 v5, v5, |v14|, |v15|
	v_max3_f32 v5, v5, |v27|, |v28|
                                        ; implicit-def: $vgpr14_vgpr15
	s_and_saveexec_b64 s[40:41], vcc
	s_xor_b64 s[40:41], exec, s[40:41]
	s_cbranch_execz .LBB33_18
; %bb.24:                               ;   in Loop: Header=BB33_21 Depth=1
	v_mov_b32_e32 v27, s31
	v_add_co_u32_e32 v14, vcc, s30, v18
	v_addc_co_u32_e32 v15, vcc, v19, v27, vcc
	global_load_dwordx4 v[28:31], v[14:15], off
	v_add_co_u32_e32 v14, vcc, s30, v22
	v_addc_co_u32_e32 v15, vcc, v23, v27, vcc
	global_load_dwordx4 v[32:35], v[14:15], off
	;; [unrolled: 3-line block ×3, first 2 shown]
	s_add_u32 s17, s2, s2
	s_addc_u32 s42, s3, s3
	v_mov_b32_e32 v14, s25
	v_add_co_u32_e32 v12, vcc, s24, v12
	s_add_u32 s17, s17, s2
	v_addc_co_u32_e32 v1, vcc, v1, v14, vcc
	s_addc_u32 s42, s42, s3
	v_mov_b32_e32 v15, s42
	v_add_co_u32_e32 v14, vcc, s17, v16
	v_addc_co_u32_e32 v15, vcc, v15, v17, vcc
	v_cmp_ge_i64_e32 vcc, v[14:15], v[10:11]
	s_orn2_b64 s[42:43], vcc, exec
	s_waitcnt vmcnt(1)
	v_add_f32_e32 v16, v28, v32
	v_add_f32_e32 v17, v29, v33
	;; [unrolled: 1-line block ×4, first 2 shown]
	v_mul_f32_e32 v16, v36, v16
	v_mul_f32_e32 v17, v36, v17
	;; [unrolled: 1-line block ×4, first 2 shown]
	s_waitcnt vmcnt(0)
	v_mul_f32_e32 v16, v18, v16
	v_mul_f32_e32 v17, v19, v17
	;; [unrolled: 1-line block ×4, first 2 shown]
	v_max3_f32 v5, v5, |v16|, |v17|
	v_max3_f32 v5, v5, |v18|, |v19|
	s_branch .LBB33_18
.LBB33_25:
	s_or_b64 exec, exec, s[28:29]
.LBB33_26:
	s_or_b64 exec, exec, s[22:23]
	s_lshr_b32 s7, s47, 6
	v_cvt_f32_u32_e32 v10, s7
	v_lshlrev_b32_e32 v1, 2, v0
	ds_write_b32 v1, v5
	s_sub_i32 s23, 0, s7
	v_rcp_iflag_f32_e32 v5, v10
	s_add_i32 s13, s16, s7
	s_add_i32 s13, s13, -1
	s_ashr_i32 s22, s13, 31
	v_mul_f32_e32 v5, 0x4f7ffffe, v5
	v_cvt_u32_f32_e32 v5, v5
	s_abs_i32 s13, s13
	s_ashr_i32 s17, s16, 31
	s_waitcnt lgkmcnt(0)
	v_readfirstlane_b32 s24, v5
	s_mul_i32 s23, s23, s24
	s_mul_hi_u32 s23, s24, s23
	s_add_i32 s24, s24, s23
	s_mul_hi_u32 s23, s13, s24
	s_mul_i32 s24, s23, s7
	s_sub_i32 s13, s13, s24
	s_add_i32 s24, s23, 1
	s_sub_i32 s25, s13, s7
	s_cmp_ge_u32 s13, s7
	s_cselect_b32 s23, s24, s23
	s_cselect_b32 s13, s25, s13
	s_add_i32 s24, s23, 1
	s_cmp_ge_u32 s13, s7
	s_cselect_b32 s13, s24, s23
	s_xor_b32 s13, s13, s22
	s_sub_i32 s22, s13, s22
	s_ashr_i32 s23, s22, 31
	v_cmp_lt_i64_e64 s[24:25], s[22:23], 1
	s_and_b64 vcc, exec, s[24:25]
	s_barrier
	s_cbranch_vccnz .LBB33_48
; %bb.27:
	v_and_b32_e32 v12, 63, v0
	v_add_co_u32_e32 v14, vcc, 32, v12
	v_addc_co_u32_e64 v15, s[24:25], 0, 0, vcc
	v_add_co_u32_e32 v16, vcc, 16, v12
	v_addc_co_u32_e64 v17, s[24:25], 0, 0, vcc
	v_add_co_u32_e32 v18, vcc, 8, v12
	v_lshrrev_b32_e32 v10, 6, v0
	v_addc_co_u32_e64 v19, s[24:25], 0, 0, vcc
	v_add_co_u32_e32 v20, vcc, 4, v12
	v_addc_co_u32_e64 v21, s[24:25], 0, 0, vcc
	v_add_co_u32_e32 v22, vcc, 2, v12
	v_mul_lo_u32 v5, s2, v10
	v_addc_co_u32_e64 v23, s[24:25], 0, 0, vcc
	v_add_co_u32_e32 v24, vcc, 1, v12
	v_lshlrev_b32_e32 v5, 2, v5
	v_lshlrev_b32_e32 v26, 2, v12
	s_movk_i32 s13, 0x100
	v_mov_b32_e32 v11, 0
	v_addc_co_u32_e64 v25, s[24:25], 0, 0, vcc
	v_add3_u32 v5, v5, v26, s13
	s_mul_i32 s13, s2, s7
	v_mov_b32_e32 v13, v11
	s_lshl_b32 s13, s13, 2
	s_mov_b64 s[24:25], 0
	v_mov_b32_e32 v37, s7
	s_mov_b64 s[26:27], src_shared_base
	s_branch .LBB33_30
.LBB33_28:                              ;   in Loop: Header=BB33_30 Depth=1
	s_or_b64 exec, exec, s[30:31]
	v_mov_b32_e32 v27, s27
	flat_load_dword v26, v[26:27] glc
	s_waitcnt vmcnt(0)
.LBB33_29:                              ;   in Loop: Header=BB33_30 Depth=1
	s_or_b64 exec, exec, s[28:29]
	s_add_u32 s24, s24, 1
	s_addc_u32 s25, s25, 0
	s_cmp_eq_u64 s[24:25], s[22:23]
	v_add_u32_e32 v5, s13, v5
	s_cbranch_scc1 .LBB33_48
.LBB33_30:                              ; =>This Loop Header: Depth=1
                                        ;     Child Loop BB33_33 Depth 2
	v_mad_u64_u32 v[30:31], s[28:29], s24, v37, v[10:11]
	s_mul_i32 s26, s25, s7
	v_add_u32_e32 v31, s26, v31
	v_cmp_gt_i64_e32 vcc, s[16:17], v[30:31]
	s_and_saveexec_b64 s[28:29], vcc
	s_cbranch_execz .LBB33_29
; %bb.31:                               ;   in Loop: Header=BB33_30 Depth=1
	v_pk_mov_b32 v[32:33], s[2:3], s[2:3] op_sel:[0,1]
	v_mul_lo_u32 v29, v31, s2
	v_mul_lo_u32 v38, v30, s3
	v_mad_u64_u32 v[32:33], s[30:31], v30, s2, v[32:33]
	v_add3_u32 v33, v29, v33, v38
	v_mov_b32_e32 v28, s21
	v_cmp_gt_i64_e32 vcc, s[20:21], v[32:33]
	s_waitcnt lgkmcnt(0)
	v_mad_u64_u32 v[26:27], s[30:31], v30, s2, v[12:13]
	v_cndmask_b32_e32 v33, v28, v33, vcc
	v_mov_b32_e32 v28, s20
	v_add3_u32 v27, v29, v27, v38
	v_cndmask_b32_e32 v32, v28, v32, vcc
	v_add_co_u32_e32 v34, vcc, 64, v26
	v_addc_co_u32_e32 v35, vcc, 0, v27, vcc
	v_cmp_lt_i64_e32 vcc, v[34:35], v[32:33]
	v_lshlrev_b32_e32 v28, 2, v26
	s_and_saveexec_b64 s[30:31], vcc
	s_cbranch_execz .LBB33_34
; %bb.32:                               ;   in Loop: Header=BB33_30 Depth=1
	ds_read_b32 v31, v28
	s_mov_b64 s[34:35], 0
	v_mov_b32_e32 v27, v5
.LBB33_33:                              ;   Parent Loop BB33_30 Depth=1
                                        ; =>  This Inner Loop Header: Depth=2
	ds_read_b32 v39, v27
	v_add_co_u32_e32 v34, vcc, 64, v34
	v_addc_co_u32_e32 v35, vcc, 0, v35, vcc
	s_waitcnt lgkmcnt(1)
	v_max_f32_e32 v31, v31, v31
	v_cmp_ge_i64_e32 vcc, v[34:35], v[32:33]
	s_waitcnt lgkmcnt(0)
	v_max_f32_e32 v39, v39, v39
	v_add_u32_e32 v27, 0x100, v27
	s_or_b64 s[34:35], vcc, s[34:35]
	v_max_f32_e32 v31, v31, v39
	ds_write_b32 v28, v31
	s_andn2_b64 exec, exec, s[34:35]
	s_cbranch_execnz .LBB33_33
.LBB33_34:                              ;   in Loop: Header=BB33_30 Depth=1
	s_or_b64 exec, exec, s[30:31]
	v_mad_u64_u32 v[30:31], s[30:31], v30, s2, 0
	v_add3_u32 v27, v31, v38, v29
	v_sub_co_u32_e32 v30, vcc, v32, v30
	v_subb_co_u32_e32 v31, vcc, v33, v27, vcc
	v_cmp_gt_i64_e32 vcc, 64, v[30:31]
	v_cndmask_b32_e32 v31, 0, v31, vcc
	v_cndmask_b32_e32 v30, 64, v30, vcc
	v_cmp_lt_i64_e32 vcc, v[14:15], v[30:31]
	s_and_saveexec_b64 s[30:31], vcc
	s_cbranch_execnz .LBB33_46
; %bb.35:                               ;   in Loop: Header=BB33_30 Depth=1
	s_or_b64 exec, exec, s[30:31]
	v_cmp_lt_i64_e32 vcc, v[16:17], v[30:31]
	s_and_saveexec_b64 s[30:31], vcc
	s_cbranch_execnz .LBB33_47
.LBB33_36:                              ;   in Loop: Header=BB33_30 Depth=1
	s_or_b64 exec, exec, s[30:31]
	v_cmp_lt_i64_e32 vcc, v[18:19], v[30:31]
	s_and_saveexec_b64 s[30:31], vcc
	s_cbranch_execz .LBB33_38
.LBB33_37:                              ;   in Loop: Header=BB33_30 Depth=1
	v_mov_b32_e32 v29, s27
	v_add_u32_e32 v32, 32, v28
	v_mov_b32_e32 v33, s27
	flat_load_dword v27, v[28:29] glc
	s_waitcnt vmcnt(0)
	flat_load_dword v34, v[32:33] glc
	s_waitcnt vmcnt(0) lgkmcnt(0)
	v_max_f32_e32 v27, v27, v27
	v_max_f32_e32 v32, v34, v34
	;; [unrolled: 1-line block ×3, first 2 shown]
	flat_store_dword v[28:29], v27
	s_waitcnt vmcnt(0)
.LBB33_38:                              ;   in Loop: Header=BB33_30 Depth=1
	s_or_b64 exec, exec, s[30:31]
	v_cmp_ge_i64_e32 vcc, v[20:21], v[30:31]
	s_and_saveexec_b64 s[30:31], vcc
	s_xor_b64 s[30:31], exec, s[30:31]
; %bb.39:                               ;   in Loop: Header=BB33_30 Depth=1
                                        ; implicit-def: $vgpr28
; %bb.40:                               ;   in Loop: Header=BB33_30 Depth=1
	s_andn2_saveexec_b64 s[30:31], s[30:31]
	s_cbranch_execz .LBB33_42
; %bb.41:                               ;   in Loop: Header=BB33_30 Depth=1
	v_mov_b32_e32 v29, s27
	v_add_u32_e32 v32, 16, v28
	v_mov_b32_e32 v33, s27
	flat_load_dword v27, v[28:29] glc
	s_waitcnt vmcnt(0)
	flat_load_dword v34, v[32:33] glc
	s_waitcnt vmcnt(0) lgkmcnt(0)
	v_max_f32_e32 v27, v27, v27
	v_max_f32_e32 v32, v34, v34
	;; [unrolled: 1-line block ×3, first 2 shown]
	flat_store_dword v[28:29], v27
	s_waitcnt vmcnt(0)
.LBB33_42:                              ;   in Loop: Header=BB33_30 Depth=1
	s_or_b64 exec, exec, s[30:31]
	v_cmp_lt_i64_e32 vcc, v[22:23], v[30:31]
	v_lshlrev_b32_e32 v26, 2, v26
	s_and_saveexec_b64 s[30:31], vcc
	s_cbranch_execz .LBB33_44
; %bb.43:                               ;   in Loop: Header=BB33_30 Depth=1
	v_mov_b32_e32 v27, s27
	v_add_u32_e32 v28, 8, v26
	v_mov_b32_e32 v29, s27
	flat_load_dword v32, v[26:27] glc
	s_waitcnt vmcnt(0)
	flat_load_dword v33, v[28:29] glc
	s_waitcnt vmcnt(0) lgkmcnt(0)
	v_max_f32_e32 v28, v32, v32
	v_max_f32_e32 v29, v33, v33
	;; [unrolled: 1-line block ×3, first 2 shown]
	flat_store_dword v[26:27], v28
	s_waitcnt vmcnt(0)
.LBB33_44:                              ;   in Loop: Header=BB33_30 Depth=1
	s_or_b64 exec, exec, s[30:31]
	v_cmp_lt_i64_e32 vcc, v[24:25], v[30:31]
	s_and_saveexec_b64 s[30:31], vcc
	s_cbranch_execz .LBB33_28
; %bb.45:                               ;   in Loop: Header=BB33_30 Depth=1
	v_mov_b32_e32 v27, s27
	v_add_u32_e32 v28, 4, v26
	v_mov_b32_e32 v29, s27
	flat_load_dword v30, v[26:27] glc
	s_waitcnt vmcnt(0)
	flat_load_dword v31, v[28:29] glc
	s_waitcnt vmcnt(0) lgkmcnt(0)
	v_max_f32_e32 v28, v30, v30
	v_max_f32_e32 v29, v31, v31
	;; [unrolled: 1-line block ×3, first 2 shown]
	flat_store_dword v[26:27], v28
	s_waitcnt vmcnt(0)
	s_branch .LBB33_28
.LBB33_46:                              ;   in Loop: Header=BB33_30 Depth=1
	v_mov_b32_e32 v29, s27
	v_add_u32_e32 v32, 0x80, v28
	v_mov_b32_e32 v33, s27
	flat_load_dword v27, v[28:29] glc
	s_waitcnt vmcnt(0)
	flat_load_dword v34, v[32:33] glc
	s_waitcnt vmcnt(0) lgkmcnt(0)
	v_max_f32_e32 v27, v27, v27
	v_max_f32_e32 v32, v34, v34
	;; [unrolled: 1-line block ×3, first 2 shown]
	flat_store_dword v[28:29], v27
	s_waitcnt vmcnt(0)
	s_or_b64 exec, exec, s[30:31]
	v_cmp_lt_i64_e32 vcc, v[16:17], v[30:31]
	s_and_saveexec_b64 s[30:31], vcc
	s_cbranch_execz .LBB33_36
.LBB33_47:                              ;   in Loop: Header=BB33_30 Depth=1
	v_mov_b32_e32 v29, s27
	v_add_u32_e32 v32, 64, v28
	v_mov_b32_e32 v33, s27
	flat_load_dword v27, v[28:29] glc
	s_waitcnt vmcnt(0)
	flat_load_dword v34, v[32:33] glc
	s_waitcnt vmcnt(0) lgkmcnt(0)
	v_max_f32_e32 v27, v27, v27
	v_max_f32_e32 v32, v34, v34
	;; [unrolled: 1-line block ×3, first 2 shown]
	flat_store_dword v[28:29], v27
	s_waitcnt vmcnt(0)
	s_or_b64 exec, exec, s[30:31]
	v_cmp_lt_i64_e32 vcc, v[18:19], v[30:31]
	s_and_saveexec_b64 s[30:31], vcc
	s_cbranch_execnz .LBB33_37
	s_branch .LBB33_38
.LBB33_48:
	v_cmp_eq_u32_e32 vcc, 0, v4
	v_cmp_lt_i64_e64 s[2:3], v[6:7], v[8:9]
	s_and_b64 s[22:23], vcc, s[2:3]
	s_mul_i32 s17, s17, s6
	s_mul_hi_u32 s20, s16, s6
	s_mul_i32 s2, s16, s6
	s_waitcnt lgkmcnt(0)
	s_barrier
	s_and_saveexec_b64 s[6:7], s[22:23]
	s_cbranch_execz .LBB33_52
; %bb.49:
	s_load_dwordx2 s[4:5], s[4:5], 0x20
	ds_read_b32 v1, v1
	s_waitcnt lgkmcnt(0)
	s_cmp_eq_u64 s[4:5], 0
	s_cbranch_scc1 .LBB33_51
; %bb.50:
	s_load_dword s3, s[4:5], 0x0
	v_max_f32_e32 v1, v1, v1
	s_waitcnt lgkmcnt(0)
	v_max_f32_e64 v4, s3, s3
	v_min_f32_e32 v1, v1, v4
.LBB33_51:
	s_mov_b32 s3, 0x43e00000
	v_div_scale_f32 v4, s[4:5], s3, s3, v1
	v_rcp_f32_e32 v5, v4
	v_div_scale_f32 v6, vcc, v1, s3, v1
	v_lshlrev_b64 v[2:3], 2, v[2:3]
	v_fma_f32 v7, -v4, v5, 1.0
	v_fmac_f32_e32 v5, v7, v5
	v_mul_f32_e32 v7, v6, v5
	v_fma_f32 v8, -v4, v7, v6
	v_fmac_f32_e32 v7, v8, v5
	v_fma_f32 v4, -v4, v7, v6
	v_div_fmas_f32 v4, v4, v5, v7
	v_div_fixup_f32 v1, v4, s3, v1
	s_add_i32 s3, s20, s17
	s_lshl_b64 s[4:5], s[2:3], 2
	s_add_u32 s3, s10, s4
	s_addc_u32 s4, s11, s5
	v_mov_b32_e32 v4, s4
	v_add_co_u32_e32 v2, vcc, s3, v2
	v_max_f32_e32 v1, 0x36924925, v1
	v_addc_co_u32_e32 v3, vcc, v4, v3, vcc
	global_store_dword v[2:3], v1, off
.LBB33_52:
	s_or_b64 exec, exec, s[6:7]
	s_barrier
	s_and_saveexec_b64 s[4:5], s[0:1]
	s_cbranch_execz .LBB33_157
; %bb.53:
	s_add_u32 s13, s8, s18
	s_addc_u32 s18, s9, s19
	s_add_i32 s3, s20, s17
	s_lshl_b64 s[0:1], s[2:3], 2
	s_add_u32 s0, s10, s0
	s_addc_u32 s1, s11, s1
	s_mul_i32 s19, s47, 3
	s_lshl_b32 s20, s47, 1
	s_mov_b64 s[2:3], 0
	v_mov_b32_e32 v1, 0
	v_mov_b32_e32 v14, s44
	;; [unrolled: 1-line block ×4, first 2 shown]
	s_mov_b32 s21, 0x43f00000
	s_mov_b32 s22, 0x3c7fffff
	;; [unrolled: 1-line block ×4, first 2 shown]
	s_movk_i32 s25, 0x80
	s_movk_i32 s26, 0xff
	s_branch .LBB33_59
.LBB33_54:                              ;   in Loop: Header=BB33_59 Depth=1
	s_or_b64 exec, exec, s[16:17]
.LBB33_55:                              ;   in Loop: Header=BB33_59 Depth=1
	s_or_b64 exec, exec, s[10:11]
	v_and_b32_sdwa v12, v8, s25 dst_sel:DWORD dst_unused:UNUSED_PAD src0_sel:BYTE_3 src1_sel:DWORD
	v_lshlrev_b64 v[8:9], 2, v[0:1]
	v_and_b32_sdwa v3, v3, s25 dst_sel:DWORD dst_unused:UNUSED_PAD src0_sel:BYTE_3 src1_sel:DWORD
	v_mov_b32_e32 v0, s18
	v_add_co_u32_e32 v8, vcc, s13, v8
	v_and_or_b32 v4, v4, s26, v12
	v_lshrrev_b32_e32 v6, 24, v6
	v_addc_co_u32_e32 v9, vcc, v0, v9, vcc
	v_lshlrev_b32_e32 v0, 24, v7
	v_and_b32_e32 v5, 0x80000000, v5
	v_lshlrev_b32_e32 v4, 16, v4
	v_and_or_b32 v3, v11, s26, v3
	v_and_b32_e32 v2, 0xff, v2
	v_or3_b32 v0, v5, v0, v4
	v_lshlrev_b32_e32 v3, 8, v3
	v_and_or_b32 v2, v6, s25, v2
	s_add_i32 s10, s47, s47
	v_or3_b32 v0, v0, v3, v2
	s_add_i32 s10, s10, s47
	global_store_dword v[8:9], v0, off
	v_add_u32_e32 v0, s10, v10
	v_cmp_le_u32_e32 vcc, s12, v0
	s_orn2_b64 s[10:11], vcc, exec
.LBB33_56:                              ;   in Loop: Header=BB33_59 Depth=1
	s_or_b64 exec, exec, s[8:9]
	s_orn2_b64 s[8:9], s[10:11], exec
.LBB33_57:                              ;   in Loop: Header=BB33_59 Depth=1
	s_or_b64 exec, exec, s[6:7]
	s_orn2_b64 s[6:7], s[8:9], exec
.LBB33_58:                              ;   in Loop: Header=BB33_59 Depth=1
	s_or_b64 exec, exec, s[4:5]
	s_and_b64 s[4:5], exec, s[6:7]
	s_or_b64 s[2:3], s[4:5], s[2:3]
	s_andn2_b64 exec, exec, s[2:3]
	s_cbranch_execz .LBB33_157
.LBB33_59:                              ; =>This Inner Loop Header: Depth=1
	v_lshlrev_b64 v[2:3], 4, v[0:1]
	v_add_co_u32_e32 v4, vcc, s33, v2
	v_addc_co_u32_e32 v5, vcc, v14, v3, vcc
	v_add_co_u32_e32 v12, vcc, s45, v2
	v_addc_co_u32_e32 v13, vcc, v16, v3, vcc
	global_load_dwordx4 v[6:9], v[4:5], off
	global_load_dwordx4 v[18:21], v[12:13], off
	v_add_co_u32_e32 v2, vcc, s14, v2
	v_addc_co_u32_e32 v3, vcc, v15, v3, vcc
	v_lshrrev_b32_e32 v10, 2, v0
	global_load_dwordx4 v[2:5], v[2:3], off
	v_and_b32_e32 v10, 0xffffffc, v10
	global_load_dword v11, v10, s[0:1]
	v_mov_b32_e32 v10, 0x7f
	s_waitcnt vmcnt(2)
	v_pk_add_f32 v[6:7], v[6:7], v[18:19]
	v_mul_f32_e32 v17, v36, v6
	v_pk_add_f32 v[8:9], v[8:9], v[20:21]
	global_store_dwordx4 v[12:13], v[6:9], off
	s_waitcnt vmcnt(2)
	v_mul_f32_e32 v2, v2, v17
	s_waitcnt vmcnt(1)
	v_div_scale_f32 v17, s[4:5], v11, v11, v2
	v_rcp_f32_e32 v18, v17
	v_div_scale_f32 v6, vcc, v2, v11, v2
	v_fma_f32 v12, -v17, v18, 1.0
	v_fmac_f32_e32 v18, v12, v18
	v_mul_f32_e32 v12, v6, v18
	v_fma_f32 v13, -v17, v12, v6
	v_fmac_f32_e32 v12, v13, v18
	v_fma_f32 v6, -v17, v12, v6
	v_div_fmas_f32 v6, v6, v18, v12
	v_div_fixup_f32 v2, v6, v11, v2
	v_min_f32_e32 v2, 0x43e00000, v2
	v_max_f32_e32 v6, 0xc3e00000, v2
	v_and_b32_e32 v12, 0x7fffffff, v6
	v_cmp_gt_u32_e32 vcc, s21, v12
	v_mov_b32_e32 v2, 0x7f
	s_and_saveexec_b64 s[4:5], vcc
	s_cbranch_execz .LBB33_65
; %bb.60:                               ;   in Loop: Header=BB33_59 Depth=1
	v_cmp_lt_u32_e32 vcc, s22, v12
                                        ; implicit-def: $vgpr2
	s_and_saveexec_b64 s[6:7], vcc
	s_xor_b64 s[6:7], exec, s[6:7]
; %bb.61:                               ;   in Loop: Header=BB33_59 Depth=1
	v_bfe_u32 v2, v6, 20, 1
	v_add3_u32 v2, v6, v2, s23
	v_lshrrev_b32_e32 v2, 20, v2
; %bb.62:                               ;   in Loop: Header=BB33_59 Depth=1
	s_andn2_saveexec_b64 s[6:7], s[6:7]
; %bb.63:                               ;   in Loop: Header=BB33_59 Depth=1
	v_add_f32_e64 v2, |v6|, s24
; %bb.64:                               ;   in Loop: Header=BB33_59 Depth=1
	s_or_b64 exec, exec, s[6:7]
.LBB33_65:                              ;   in Loop: Header=BB33_59 Depth=1
	s_or_b64 exec, exec, s[4:5]
	v_mul_f32_e32 v7, v36, v7
	v_mul_f32_e32 v3, v3, v7
	v_div_scale_f32 v7, s[4:5], v11, v11, v3
	v_rcp_f32_e32 v12, v7
	v_div_scale_f32 v13, vcc, v3, v11, v3
	v_fma_f32 v17, -v7, v12, 1.0
	v_fmac_f32_e32 v12, v17, v12
	v_mul_f32_e32 v17, v13, v12
	v_fma_f32 v18, -v7, v17, v13
	v_fmac_f32_e32 v17, v18, v12
	v_fma_f32 v7, -v7, v17, v13
	v_div_fmas_f32 v7, v7, v12, v17
	v_div_fixup_f32 v3, v7, v11, v3
	v_min_f32_e32 v3, 0x43e00000, v3
	v_max_f32_e32 v3, 0xc3e00000, v3
	v_and_b32_e32 v7, 0x7fffffff, v3
	v_cmp_gt_u32_e32 vcc, s21, v7
	s_and_saveexec_b64 s[4:5], vcc
	s_cbranch_execz .LBB33_71
; %bb.66:                               ;   in Loop: Header=BB33_59 Depth=1
	v_cmp_lt_u32_e32 vcc, s22, v7
                                        ; implicit-def: $vgpr10
	s_and_saveexec_b64 s[6:7], vcc
	s_xor_b64 s[6:7], exec, s[6:7]
; %bb.67:                               ;   in Loop: Header=BB33_59 Depth=1
	v_bfe_u32 v7, v3, 20, 1
	v_add3_u32 v7, v3, v7, s23
	v_lshrrev_b32_e32 v10, 20, v7
; %bb.68:                               ;   in Loop: Header=BB33_59 Depth=1
	s_andn2_saveexec_b64 s[6:7], s[6:7]
; %bb.69:                               ;   in Loop: Header=BB33_59 Depth=1
	v_add_f32_e64 v10, |v3|, s24
; %bb.70:                               ;   in Loop: Header=BB33_59 Depth=1
	s_or_b64 exec, exec, s[6:7]
.LBB33_71:                              ;   in Loop: Header=BB33_59 Depth=1
	s_or_b64 exec, exec, s[4:5]
	v_mul_f32_e32 v7, v36, v8
	v_mul_f32_e32 v4, v4, v7
	v_div_scale_f32 v7, s[4:5], v11, v11, v4
	v_rcp_f32_e32 v8, v7
	v_div_scale_f32 v12, vcc, v4, v11, v4
	v_fma_f32 v13, -v7, v8, 1.0
	v_fmac_f32_e32 v8, v13, v8
	v_mul_f32_e32 v13, v12, v8
	v_fma_f32 v17, -v7, v13, v12
	v_fmac_f32_e32 v13, v17, v8
	v_fma_f32 v7, -v7, v13, v12
	v_div_fmas_f32 v7, v7, v8, v13
	v_div_fixup_f32 v4, v7, v11, v4
	v_min_f32_e32 v4, 0x43e00000, v4
	v_max_f32_e32 v8, 0xc3e00000, v4
	v_and_b32_e32 v12, 0x7fffffff, v8
	v_cmp_gt_u32_e32 vcc, s21, v12
	v_mov_b32_e32 v7, 0x7f
	v_mov_b32_e32 v4, 0x7f
	s_and_saveexec_b64 s[4:5], vcc
	s_cbranch_execz .LBB33_77
; %bb.72:                               ;   in Loop: Header=BB33_59 Depth=1
	v_cmp_lt_u32_e32 vcc, s22, v12
                                        ; implicit-def: $vgpr4
	s_and_saveexec_b64 s[6:7], vcc
	s_xor_b64 s[6:7], exec, s[6:7]
; %bb.73:                               ;   in Loop: Header=BB33_59 Depth=1
	v_bfe_u32 v4, v8, 20, 1
	v_add3_u32 v4, v8, v4, s23
	v_lshrrev_b32_e32 v4, 20, v4
; %bb.74:                               ;   in Loop: Header=BB33_59 Depth=1
	s_andn2_saveexec_b64 s[6:7], s[6:7]
; %bb.75:                               ;   in Loop: Header=BB33_59 Depth=1
	v_add_f32_e64 v4, |v8|, s24
; %bb.76:                               ;   in Loop: Header=BB33_59 Depth=1
	s_or_b64 exec, exec, s[6:7]
.LBB33_77:                              ;   in Loop: Header=BB33_59 Depth=1
	s_or_b64 exec, exec, s[4:5]
	v_mul_f32_e32 v9, v36, v9
	v_mul_f32_e32 v5, v5, v9
	v_div_scale_f32 v9, s[4:5], v11, v11, v5
	v_rcp_f32_e32 v12, v9
	v_div_scale_f32 v13, vcc, v5, v11, v5
	v_fma_f32 v17, -v9, v12, 1.0
	v_fmac_f32_e32 v12, v17, v12
	v_mul_f32_e32 v17, v13, v12
	v_fma_f32 v18, -v9, v17, v13
	v_fmac_f32_e32 v17, v18, v12
	v_fma_f32 v9, -v9, v17, v13
	v_div_fmas_f32 v9, v9, v12, v17
	v_div_fixup_f32 v5, v9, v11, v5
	v_min_f32_e32 v5, 0x43e00000, v5
	v_max_f32_e32 v5, 0xc3e00000, v5
	v_and_b32_e32 v9, 0x7fffffff, v5
	v_cmp_gt_u32_e32 vcc, s21, v9
	s_and_saveexec_b64 s[4:5], vcc
	s_cbranch_execz .LBB33_83
; %bb.78:                               ;   in Loop: Header=BB33_59 Depth=1
	v_cmp_lt_u32_e32 vcc, s22, v9
                                        ; implicit-def: $vgpr7
	s_and_saveexec_b64 s[6:7], vcc
	s_xor_b64 s[6:7], exec, s[6:7]
; %bb.79:                               ;   in Loop: Header=BB33_59 Depth=1
	v_bfe_u32 v7, v5, 20, 1
	v_add3_u32 v7, v5, v7, s23
	v_lshrrev_b32_e32 v7, 20, v7
; %bb.80:                               ;   in Loop: Header=BB33_59 Depth=1
	s_andn2_saveexec_b64 s[6:7], s[6:7]
; %bb.81:                               ;   in Loop: Header=BB33_59 Depth=1
	v_add_f32_e64 v7, |v5|, s24
; %bb.82:                               ;   in Loop: Header=BB33_59 Depth=1
	s_or_b64 exec, exec, s[6:7]
.LBB33_83:                              ;   in Loop: Header=BB33_59 Depth=1
	s_or_b64 exec, exec, s[4:5]
	v_and_b32_sdwa v11, v8, s25 dst_sel:DWORD dst_unused:UNUSED_PAD src0_sel:BYTE_3 src1_sel:DWORD
	v_and_b32_sdwa v3, v3, s25 dst_sel:DWORD dst_unused:UNUSED_PAD src0_sel:BYTE_3 src1_sel:DWORD
	v_lshlrev_b64 v[8:9], 2, v[0:1]
	v_and_or_b32 v4, v4, s26, v11
	v_lshrrev_b32_e32 v6, 24, v6
	v_mov_b32_e32 v12, s18
	v_add_co_u32_e32 v8, vcc, s13, v8
	v_lshlrev_b32_e32 v7, 24, v7
	v_and_b32_e32 v5, 0x80000000, v5
	v_lshlrev_b32_e32 v4, 16, v4
	v_and_or_b32 v3, v10, s26, v3
	v_and_b32_e32 v2, 0xff, v2
	v_addc_co_u32_e32 v9, vcc, v12, v9, vcc
	v_or3_b32 v4, v5, v7, v4
	v_lshlrev_b32_e32 v3, 8, v3
	v_and_or_b32 v2, v6, s25, v2
	v_add_u32_e32 v10, s47, v0
	v_or3_b32 v2, v4, v3, v2
	v_cmp_gt_u32_e32 vcc, s12, v10
	s_mov_b64 s[6:7], -1
	global_store_dword v[8:9], v2, off
	s_and_saveexec_b64 s[4:5], vcc
	s_cbranch_execz .LBB33_58
; %bb.84:                               ;   in Loop: Header=BB33_59 Depth=1
	v_mov_b32_e32 v11, v1
	v_lshlrev_b64 v[2:3], 4, v[10:11]
	v_mov_b32_e32 v5, s44
	v_add_co_u32_e32 v4, vcc, s33, v2
	v_addc_co_u32_e32 v5, vcc, v5, v3, vcc
	v_mov_b32_e32 v6, s46
	v_add_co_u32_e32 v22, vcc, s45, v2
	v_addc_co_u32_e32 v23, vcc, v6, v3, vcc
	v_mov_b32_e32 v12, s15
	global_load_dwordx4 v[6:9], v[4:5], off
	global_load_dwordx4 v[18:21], v[22:23], off
	v_add_co_u32_e32 v2, vcc, s14, v2
	v_addc_co_u32_e32 v3, vcc, v12, v3, vcc
	v_lshrrev_b32_e32 v12, 2, v10
	global_load_dwordx4 v[2:5], v[2:3], off
	v_and_b32_e32 v12, 0xffffffc, v12
	global_load_dword v13, v12, s[0:1]
	v_mov_b32_e32 v12, 0x7f
	s_waitcnt vmcnt(2)
	v_pk_add_f32 v[6:7], v[6:7], v[18:19]
	v_mul_f32_e32 v17, v36, v6
	v_pk_add_f32 v[8:9], v[8:9], v[20:21]
	global_store_dwordx4 v[22:23], v[6:9], off
	s_waitcnt vmcnt(2)
	v_mul_f32_e32 v2, v2, v17
	s_waitcnt vmcnt(1)
	v_div_scale_f32 v17, s[6:7], v13, v13, v2
	v_rcp_f32_e32 v18, v17
	v_div_scale_f32 v6, vcc, v2, v13, v2
	v_fma_f32 v19, -v17, v18, 1.0
	v_fmac_f32_e32 v18, v19, v18
	v_mul_f32_e32 v19, v6, v18
	v_fma_f32 v20, -v17, v19, v6
	v_fmac_f32_e32 v19, v20, v18
	v_fma_f32 v6, -v17, v19, v6
	v_div_fmas_f32 v6, v6, v18, v19
	v_div_fixup_f32 v2, v6, v13, v2
	v_min_f32_e32 v2, 0x43e00000, v2
	v_max_f32_e32 v6, 0xc3e00000, v2
	v_and_b32_e32 v17, 0x7fffffff, v6
	v_cmp_gt_u32_e32 vcc, s21, v17
	v_mov_b32_e32 v2, 0x7f
	s_and_saveexec_b64 s[6:7], vcc
	s_cbranch_execz .LBB33_90
; %bb.85:                               ;   in Loop: Header=BB33_59 Depth=1
	v_cmp_lt_u32_e32 vcc, s22, v17
                                        ; implicit-def: $vgpr2
	s_and_saveexec_b64 s[8:9], vcc
	s_xor_b64 s[8:9], exec, s[8:9]
; %bb.86:                               ;   in Loop: Header=BB33_59 Depth=1
	v_bfe_u32 v2, v6, 20, 1
	v_add3_u32 v2, v6, v2, s23
	v_lshrrev_b32_e32 v2, 20, v2
; %bb.87:                               ;   in Loop: Header=BB33_59 Depth=1
	s_andn2_saveexec_b64 s[8:9], s[8:9]
; %bb.88:                               ;   in Loop: Header=BB33_59 Depth=1
	v_add_f32_e64 v2, |v6|, s24
; %bb.89:                               ;   in Loop: Header=BB33_59 Depth=1
	s_or_b64 exec, exec, s[8:9]
.LBB33_90:                              ;   in Loop: Header=BB33_59 Depth=1
	s_or_b64 exec, exec, s[6:7]
	v_mul_f32_e32 v7, v36, v7
	v_mul_f32_e32 v3, v3, v7
	v_div_scale_f32 v7, s[6:7], v13, v13, v3
	v_rcp_f32_e32 v17, v7
	v_div_scale_f32 v18, vcc, v3, v13, v3
	v_fma_f32 v19, -v7, v17, 1.0
	v_fmac_f32_e32 v17, v19, v17
	v_mul_f32_e32 v19, v18, v17
	v_fma_f32 v20, -v7, v19, v18
	v_fmac_f32_e32 v19, v20, v17
	v_fma_f32 v7, -v7, v19, v18
	v_div_fmas_f32 v7, v7, v17, v19
	v_div_fixup_f32 v3, v7, v13, v3
	v_min_f32_e32 v3, 0x43e00000, v3
	v_max_f32_e32 v3, 0xc3e00000, v3
	v_and_b32_e32 v7, 0x7fffffff, v3
	v_cmp_gt_u32_e32 vcc, s21, v7
	s_and_saveexec_b64 s[6:7], vcc
	s_cbranch_execz .LBB33_96
; %bb.91:                               ;   in Loop: Header=BB33_59 Depth=1
	v_cmp_lt_u32_e32 vcc, s22, v7
                                        ; implicit-def: $vgpr12
	s_and_saveexec_b64 s[8:9], vcc
	s_xor_b64 s[8:9], exec, s[8:9]
; %bb.92:                               ;   in Loop: Header=BB33_59 Depth=1
	v_bfe_u32 v7, v3, 20, 1
	v_add3_u32 v7, v3, v7, s23
	v_lshrrev_b32_e32 v12, 20, v7
; %bb.93:                               ;   in Loop: Header=BB33_59 Depth=1
	s_andn2_saveexec_b64 s[8:9], s[8:9]
; %bb.94:                               ;   in Loop: Header=BB33_59 Depth=1
	v_add_f32_e64 v12, |v3|, s24
; %bb.95:                               ;   in Loop: Header=BB33_59 Depth=1
	s_or_b64 exec, exec, s[8:9]
.LBB33_96:                              ;   in Loop: Header=BB33_59 Depth=1
	s_or_b64 exec, exec, s[6:7]
	v_mul_f32_e32 v7, v36, v8
	v_mul_f32_e32 v4, v4, v7
	v_div_scale_f32 v7, s[6:7], v13, v13, v4
	v_rcp_f32_e32 v8, v7
	v_div_scale_f32 v17, vcc, v4, v13, v4
	v_fma_f32 v18, -v7, v8, 1.0
	v_fmac_f32_e32 v8, v18, v8
	v_mul_f32_e32 v18, v17, v8
	v_fma_f32 v19, -v7, v18, v17
	v_fmac_f32_e32 v18, v19, v8
	v_fma_f32 v7, -v7, v18, v17
	v_div_fmas_f32 v7, v7, v8, v18
	v_div_fixup_f32 v4, v7, v13, v4
	v_min_f32_e32 v4, 0x43e00000, v4
	v_max_f32_e32 v8, 0xc3e00000, v4
	v_and_b32_e32 v17, 0x7fffffff, v8
	v_cmp_gt_u32_e32 vcc, s21, v17
	v_mov_b32_e32 v7, 0x7f
	v_mov_b32_e32 v4, 0x7f
	s_and_saveexec_b64 s[6:7], vcc
	s_cbranch_execz .LBB33_102
; %bb.97:                               ;   in Loop: Header=BB33_59 Depth=1
	v_cmp_lt_u32_e32 vcc, s22, v17
                                        ; implicit-def: $vgpr4
	s_and_saveexec_b64 s[8:9], vcc
	s_xor_b64 s[8:9], exec, s[8:9]
; %bb.98:                               ;   in Loop: Header=BB33_59 Depth=1
	v_bfe_u32 v4, v8, 20, 1
	v_add3_u32 v4, v8, v4, s23
	v_lshrrev_b32_e32 v4, 20, v4
; %bb.99:                               ;   in Loop: Header=BB33_59 Depth=1
	s_andn2_saveexec_b64 s[8:9], s[8:9]
; %bb.100:                              ;   in Loop: Header=BB33_59 Depth=1
	v_add_f32_e64 v4, |v8|, s24
; %bb.101:                              ;   in Loop: Header=BB33_59 Depth=1
	s_or_b64 exec, exec, s[8:9]
.LBB33_102:                             ;   in Loop: Header=BB33_59 Depth=1
	s_or_b64 exec, exec, s[6:7]
	v_mul_f32_e32 v9, v36, v9
	v_mul_f32_e32 v5, v5, v9
	v_div_scale_f32 v9, s[6:7], v13, v13, v5
	v_rcp_f32_e32 v17, v9
	v_div_scale_f32 v18, vcc, v5, v13, v5
	v_fma_f32 v19, -v9, v17, 1.0
	v_fmac_f32_e32 v17, v19, v17
	v_mul_f32_e32 v19, v18, v17
	v_fma_f32 v20, -v9, v19, v18
	v_fmac_f32_e32 v19, v20, v17
	v_fma_f32 v9, -v9, v19, v18
	v_div_fmas_f32 v9, v9, v17, v19
	v_div_fixup_f32 v5, v9, v13, v5
	v_min_f32_e32 v5, 0x43e00000, v5
	v_max_f32_e32 v5, 0xc3e00000, v5
	v_and_b32_e32 v9, 0x7fffffff, v5
	v_cmp_gt_u32_e32 vcc, s21, v9
	s_and_saveexec_b64 s[6:7], vcc
	s_cbranch_execz .LBB33_108
; %bb.103:                              ;   in Loop: Header=BB33_59 Depth=1
	v_cmp_lt_u32_e32 vcc, s22, v9
                                        ; implicit-def: $vgpr7
	s_and_saveexec_b64 s[8:9], vcc
	s_xor_b64 s[8:9], exec, s[8:9]
; %bb.104:                              ;   in Loop: Header=BB33_59 Depth=1
	v_bfe_u32 v7, v5, 20, 1
	v_add3_u32 v7, v5, v7, s23
	v_lshrrev_b32_e32 v7, 20, v7
; %bb.105:                              ;   in Loop: Header=BB33_59 Depth=1
	s_andn2_saveexec_b64 s[8:9], s[8:9]
; %bb.106:                              ;   in Loop: Header=BB33_59 Depth=1
	v_add_f32_e64 v7, |v5|, s24
; %bb.107:                              ;   in Loop: Header=BB33_59 Depth=1
	s_or_b64 exec, exec, s[8:9]
.LBB33_108:                             ;   in Loop: Header=BB33_59 Depth=1
	s_or_b64 exec, exec, s[6:7]
	v_and_b32_sdwa v13, v8, s25 dst_sel:DWORD dst_unused:UNUSED_PAD src0_sel:BYTE_3 src1_sel:DWORD
	v_and_b32_sdwa v3, v3, s25 dst_sel:DWORD dst_unused:UNUSED_PAD src0_sel:BYTE_3 src1_sel:DWORD
	v_lshlrev_b64 v[8:9], 2, v[10:11]
	v_and_or_b32 v4, v4, s26, v13
	v_lshrrev_b32_e32 v6, 24, v6
	v_mov_b32_e32 v11, s18
	v_add_co_u32_e32 v8, vcc, s13, v8
	v_lshlrev_b32_e32 v7, 24, v7
	v_and_b32_e32 v5, 0x80000000, v5
	v_lshlrev_b32_e32 v4, 16, v4
	v_and_or_b32 v3, v12, s26, v3
	v_and_b32_e32 v2, 0xff, v2
	v_addc_co_u32_e32 v9, vcc, v11, v9, vcc
	v_or3_b32 v4, v5, v7, v4
	v_lshlrev_b32_e32 v3, 8, v3
	v_and_or_b32 v2, v6, s25, v2
	v_add_u32_e32 v12, s20, v0
	v_or3_b32 v2, v4, v3, v2
	v_cmp_gt_u32_e32 vcc, s12, v12
	s_mov_b64 s[8:9], -1
	global_store_dword v[8:9], v2, off
	s_and_saveexec_b64 s[6:7], vcc
	s_cbranch_execz .LBB33_57
; %bb.109:                              ;   in Loop: Header=BB33_59 Depth=1
	v_mov_b32_e32 v13, v1
	v_lshlrev_b64 v[2:3], 4, v[12:13]
	v_mov_b32_e32 v5, s44
	v_add_co_u32_e32 v4, vcc, s33, v2
	v_addc_co_u32_e32 v5, vcc, v5, v3, vcc
	v_mov_b32_e32 v6, s46
	v_add_co_u32_e32 v22, vcc, s45, v2
	v_addc_co_u32_e32 v23, vcc, v6, v3, vcc
	v_mov_b32_e32 v11, s15
	global_load_dwordx4 v[6:9], v[4:5], off
	global_load_dwordx4 v[18:21], v[22:23], off
	v_add_co_u32_e32 v2, vcc, s14, v2
	v_addc_co_u32_e32 v3, vcc, v11, v3, vcc
	v_lshrrev_b32_e32 v11, 2, v12
	global_load_dwordx4 v[2:5], v[2:3], off
	v_and_b32_e32 v11, 0xffffffc, v11
	global_load_dword v17, v11, s[0:1]
	v_mov_b32_e32 v11, 0x7f
	s_waitcnt vmcnt(2)
	v_pk_add_f32 v[6:7], v[6:7], v[18:19]
	v_mul_f32_e32 v18, v36, v6
	v_pk_add_f32 v[8:9], v[8:9], v[20:21]
	global_store_dwordx4 v[22:23], v[6:9], off
	s_waitcnt vmcnt(2)
	v_mul_f32_e32 v2, v2, v18
	s_waitcnt vmcnt(1)
	v_div_scale_f32 v18, s[8:9], v17, v17, v2
	v_rcp_f32_e32 v19, v18
	v_div_scale_f32 v6, vcc, v2, v17, v2
	v_fma_f32 v20, -v18, v19, 1.0
	v_fmac_f32_e32 v19, v20, v19
	v_mul_f32_e32 v20, v6, v19
	v_fma_f32 v21, -v18, v20, v6
	v_fmac_f32_e32 v20, v21, v19
	v_fma_f32 v6, -v18, v20, v6
	v_div_fmas_f32 v6, v6, v19, v20
	v_div_fixup_f32 v2, v6, v17, v2
	v_min_f32_e32 v2, 0x43e00000, v2
	v_max_f32_e32 v6, 0xc3e00000, v2
	v_and_b32_e32 v18, 0x7fffffff, v6
	v_cmp_gt_u32_e32 vcc, s21, v18
	v_mov_b32_e32 v2, 0x7f
	s_and_saveexec_b64 s[8:9], vcc
	s_cbranch_execz .LBB33_115
; %bb.110:                              ;   in Loop: Header=BB33_59 Depth=1
	v_cmp_lt_u32_e32 vcc, s22, v18
                                        ; implicit-def: $vgpr2
	s_and_saveexec_b64 s[10:11], vcc
	s_xor_b64 s[10:11], exec, s[10:11]
; %bb.111:                              ;   in Loop: Header=BB33_59 Depth=1
	v_bfe_u32 v2, v6, 20, 1
	v_add3_u32 v2, v6, v2, s23
	v_lshrrev_b32_e32 v2, 20, v2
; %bb.112:                              ;   in Loop: Header=BB33_59 Depth=1
	s_andn2_saveexec_b64 s[10:11], s[10:11]
; %bb.113:                              ;   in Loop: Header=BB33_59 Depth=1
	v_add_f32_e64 v2, |v6|, s24
; %bb.114:                              ;   in Loop: Header=BB33_59 Depth=1
	s_or_b64 exec, exec, s[10:11]
.LBB33_115:                             ;   in Loop: Header=BB33_59 Depth=1
	s_or_b64 exec, exec, s[8:9]
	v_mul_f32_e32 v7, v36, v7
	v_mul_f32_e32 v3, v3, v7
	v_div_scale_f32 v7, s[8:9], v17, v17, v3
	v_rcp_f32_e32 v18, v7
	v_div_scale_f32 v19, vcc, v3, v17, v3
	v_fma_f32 v20, -v7, v18, 1.0
	v_fmac_f32_e32 v18, v20, v18
	v_mul_f32_e32 v20, v19, v18
	v_fma_f32 v21, -v7, v20, v19
	v_fmac_f32_e32 v20, v21, v18
	v_fma_f32 v7, -v7, v20, v19
	v_div_fmas_f32 v7, v7, v18, v20
	v_div_fixup_f32 v3, v7, v17, v3
	v_min_f32_e32 v3, 0x43e00000, v3
	v_max_f32_e32 v3, 0xc3e00000, v3
	v_and_b32_e32 v7, 0x7fffffff, v3
	v_cmp_gt_u32_e32 vcc, s21, v7
	s_and_saveexec_b64 s[8:9], vcc
	s_cbranch_execz .LBB33_121
; %bb.116:                              ;   in Loop: Header=BB33_59 Depth=1
	v_cmp_lt_u32_e32 vcc, s22, v7
                                        ; implicit-def: $vgpr11
	s_and_saveexec_b64 s[10:11], vcc
	s_xor_b64 s[10:11], exec, s[10:11]
; %bb.117:                              ;   in Loop: Header=BB33_59 Depth=1
	v_bfe_u32 v7, v3, 20, 1
	v_add3_u32 v7, v3, v7, s23
	v_lshrrev_b32_e32 v11, 20, v7
; %bb.118:                              ;   in Loop: Header=BB33_59 Depth=1
	s_andn2_saveexec_b64 s[10:11], s[10:11]
; %bb.119:                              ;   in Loop: Header=BB33_59 Depth=1
	v_add_f32_e64 v11, |v3|, s24
; %bb.120:                              ;   in Loop: Header=BB33_59 Depth=1
	s_or_b64 exec, exec, s[10:11]
.LBB33_121:                             ;   in Loop: Header=BB33_59 Depth=1
	s_or_b64 exec, exec, s[8:9]
	v_mul_f32_e32 v7, v36, v8
	v_mul_f32_e32 v4, v4, v7
	v_div_scale_f32 v7, s[8:9], v17, v17, v4
	v_rcp_f32_e32 v8, v7
	v_div_scale_f32 v18, vcc, v4, v17, v4
	v_fma_f32 v19, -v7, v8, 1.0
	v_fmac_f32_e32 v8, v19, v8
	v_mul_f32_e32 v19, v18, v8
	v_fma_f32 v20, -v7, v19, v18
	v_fmac_f32_e32 v19, v20, v8
	v_fma_f32 v7, -v7, v19, v18
	v_div_fmas_f32 v7, v7, v8, v19
	v_div_fixup_f32 v4, v7, v17, v4
	v_min_f32_e32 v4, 0x43e00000, v4
	v_max_f32_e32 v8, 0xc3e00000, v4
	v_and_b32_e32 v18, 0x7fffffff, v8
	v_cmp_gt_u32_e32 vcc, s21, v18
	v_mov_b32_e32 v7, 0x7f
	v_mov_b32_e32 v4, 0x7f
	s_and_saveexec_b64 s[8:9], vcc
	s_cbranch_execz .LBB33_127
; %bb.122:                              ;   in Loop: Header=BB33_59 Depth=1
	v_cmp_lt_u32_e32 vcc, s22, v18
                                        ; implicit-def: $vgpr4
	s_and_saveexec_b64 s[10:11], vcc
	s_xor_b64 s[10:11], exec, s[10:11]
; %bb.123:                              ;   in Loop: Header=BB33_59 Depth=1
	v_bfe_u32 v4, v8, 20, 1
	v_add3_u32 v4, v8, v4, s23
	v_lshrrev_b32_e32 v4, 20, v4
; %bb.124:                              ;   in Loop: Header=BB33_59 Depth=1
	s_andn2_saveexec_b64 s[10:11], s[10:11]
; %bb.125:                              ;   in Loop: Header=BB33_59 Depth=1
	v_add_f32_e64 v4, |v8|, s24
; %bb.126:                              ;   in Loop: Header=BB33_59 Depth=1
	s_or_b64 exec, exec, s[10:11]
.LBB33_127:                             ;   in Loop: Header=BB33_59 Depth=1
	s_or_b64 exec, exec, s[8:9]
	v_mul_f32_e32 v9, v36, v9
	v_mul_f32_e32 v5, v5, v9
	v_div_scale_f32 v9, s[8:9], v17, v17, v5
	v_rcp_f32_e32 v18, v9
	v_div_scale_f32 v19, vcc, v5, v17, v5
	v_fma_f32 v20, -v9, v18, 1.0
	v_fmac_f32_e32 v18, v20, v18
	v_mul_f32_e32 v20, v19, v18
	v_fma_f32 v21, -v9, v20, v19
	v_fmac_f32_e32 v20, v21, v18
	v_fma_f32 v9, -v9, v20, v19
	v_div_fmas_f32 v9, v9, v18, v20
	v_div_fixup_f32 v5, v9, v17, v5
	v_min_f32_e32 v5, 0x43e00000, v5
	v_max_f32_e32 v5, 0xc3e00000, v5
	v_and_b32_e32 v9, 0x7fffffff, v5
	v_cmp_gt_u32_e32 vcc, s21, v9
	s_and_saveexec_b64 s[8:9], vcc
	s_cbranch_execz .LBB33_133
; %bb.128:                              ;   in Loop: Header=BB33_59 Depth=1
	v_cmp_lt_u32_e32 vcc, s22, v9
                                        ; implicit-def: $vgpr7
	s_and_saveexec_b64 s[10:11], vcc
	s_xor_b64 s[10:11], exec, s[10:11]
; %bb.129:                              ;   in Loop: Header=BB33_59 Depth=1
	v_bfe_u32 v7, v5, 20, 1
	v_add3_u32 v7, v5, v7, s23
	v_lshrrev_b32_e32 v7, 20, v7
; %bb.130:                              ;   in Loop: Header=BB33_59 Depth=1
	s_andn2_saveexec_b64 s[10:11], s[10:11]
; %bb.131:                              ;   in Loop: Header=BB33_59 Depth=1
	v_add_f32_e64 v7, |v5|, s24
; %bb.132:                              ;   in Loop: Header=BB33_59 Depth=1
	s_or_b64 exec, exec, s[10:11]
.LBB33_133:                             ;   in Loop: Header=BB33_59 Depth=1
	s_or_b64 exec, exec, s[8:9]
	v_and_b32_sdwa v17, v8, s25 dst_sel:DWORD dst_unused:UNUSED_PAD src0_sel:BYTE_3 src1_sel:DWORD
	v_and_b32_sdwa v3, v3, s25 dst_sel:DWORD dst_unused:UNUSED_PAD src0_sel:BYTE_3 src1_sel:DWORD
	v_lshlrev_b64 v[8:9], 2, v[12:13]
	v_and_or_b32 v4, v4, s26, v17
	v_lshrrev_b32_e32 v6, 24, v6
	v_mov_b32_e32 v12, s18
	v_add_co_u32_e32 v8, vcc, s13, v8
	v_lshlrev_b32_e32 v7, 24, v7
	v_and_b32_e32 v5, 0x80000000, v5
	v_lshlrev_b32_e32 v4, 16, v4
	v_and_or_b32 v3, v11, s26, v3
	v_and_b32_e32 v2, 0xff, v2
	v_addc_co_u32_e32 v9, vcc, v12, v9, vcc
	v_or3_b32 v4, v5, v7, v4
	v_lshlrev_b32_e32 v3, 8, v3
	v_and_or_b32 v2, v6, s25, v2
	v_add_u32_e32 v0, s19, v0
	v_or3_b32 v2, v4, v3, v2
	v_cmp_gt_u32_e32 vcc, s12, v0
	s_mov_b64 s[10:11], -1
	global_store_dword v[8:9], v2, off
	s_and_saveexec_b64 s[8:9], vcc
	s_cbranch_execz .LBB33_56
; %bb.134:                              ;   in Loop: Header=BB33_59 Depth=1
	v_lshlrev_b64 v[2:3], 4, v[0:1]
	v_mov_b32_e32 v5, s44
	v_add_co_u32_e32 v4, vcc, s33, v2
	v_addc_co_u32_e32 v5, vcc, v5, v3, vcc
	v_mov_b32_e32 v6, s46
	v_add_co_u32_e32 v22, vcc, s45, v2
	v_addc_co_u32_e32 v23, vcc, v6, v3, vcc
	v_mov_b32_e32 v11, s15
	global_load_dwordx4 v[6:9], v[4:5], off
	global_load_dwordx4 v[18:21], v[22:23], off
	v_add_co_u32_e32 v2, vcc, s14, v2
	v_addc_co_u32_e32 v3, vcc, v11, v3, vcc
	v_lshrrev_b32_e32 v11, 2, v0
	global_load_dwordx4 v[2:5], v[2:3], off
	v_and_b32_e32 v11, 0xffffffc, v11
	global_load_dword v12, v11, s[0:1]
	v_mov_b32_e32 v11, 0x7f
	s_waitcnt vmcnt(2)
	v_pk_add_f32 v[6:7], v[6:7], v[18:19]
	v_mul_f32_e32 v13, v36, v6
	v_pk_add_f32 v[8:9], v[8:9], v[20:21]
	global_store_dwordx4 v[22:23], v[6:9], off
	s_waitcnt vmcnt(2)
	v_mul_f32_e32 v2, v2, v13
	s_waitcnt vmcnt(1)
	v_div_scale_f32 v13, s[10:11], v12, v12, v2
	v_rcp_f32_e32 v17, v13
	v_div_scale_f32 v6, vcc, v2, v12, v2
	v_fma_f32 v18, -v13, v17, 1.0
	v_fmac_f32_e32 v17, v18, v17
	v_mul_f32_e32 v18, v6, v17
	v_fma_f32 v19, -v13, v18, v6
	v_fmac_f32_e32 v18, v19, v17
	v_fma_f32 v6, -v13, v18, v6
	v_div_fmas_f32 v6, v6, v17, v18
	v_div_fixup_f32 v2, v6, v12, v2
	v_min_f32_e32 v2, 0x43e00000, v2
	v_max_f32_e32 v6, 0xc3e00000, v2
	v_and_b32_e32 v13, 0x7fffffff, v6
	v_cmp_gt_u32_e32 vcc, s21, v13
	v_mov_b32_e32 v2, 0x7f
	s_and_saveexec_b64 s[10:11], vcc
	s_cbranch_execz .LBB33_140
; %bb.135:                              ;   in Loop: Header=BB33_59 Depth=1
	v_cmp_lt_u32_e32 vcc, s22, v13
                                        ; implicit-def: $vgpr2
	s_and_saveexec_b64 s[16:17], vcc
	s_xor_b64 s[16:17], exec, s[16:17]
; %bb.136:                              ;   in Loop: Header=BB33_59 Depth=1
	v_bfe_u32 v2, v6, 20, 1
	v_add3_u32 v2, v6, v2, s23
	v_lshrrev_b32_e32 v2, 20, v2
; %bb.137:                              ;   in Loop: Header=BB33_59 Depth=1
	s_andn2_saveexec_b64 s[16:17], s[16:17]
; %bb.138:                              ;   in Loop: Header=BB33_59 Depth=1
	v_add_f32_e64 v2, |v6|, s24
; %bb.139:                              ;   in Loop: Header=BB33_59 Depth=1
	s_or_b64 exec, exec, s[16:17]
.LBB33_140:                             ;   in Loop: Header=BB33_59 Depth=1
	s_or_b64 exec, exec, s[10:11]
	v_mul_f32_e32 v7, v36, v7
	v_mul_f32_e32 v3, v3, v7
	v_div_scale_f32 v7, s[10:11], v12, v12, v3
	v_rcp_f32_e32 v13, v7
	v_div_scale_f32 v17, vcc, v3, v12, v3
	v_fma_f32 v18, -v7, v13, 1.0
	v_fmac_f32_e32 v13, v18, v13
	v_mul_f32_e32 v18, v17, v13
	v_fma_f32 v19, -v7, v18, v17
	v_fmac_f32_e32 v18, v19, v13
	v_fma_f32 v7, -v7, v18, v17
	v_div_fmas_f32 v7, v7, v13, v18
	v_div_fixup_f32 v3, v7, v12, v3
	v_min_f32_e32 v3, 0x43e00000, v3
	v_max_f32_e32 v3, 0xc3e00000, v3
	v_and_b32_e32 v7, 0x7fffffff, v3
	v_cmp_gt_u32_e32 vcc, s21, v7
	s_and_saveexec_b64 s[10:11], vcc
	s_cbranch_execz .LBB33_146
; %bb.141:                              ;   in Loop: Header=BB33_59 Depth=1
	v_cmp_lt_u32_e32 vcc, s22, v7
                                        ; implicit-def: $vgpr11
	s_and_saveexec_b64 s[16:17], vcc
	s_xor_b64 s[16:17], exec, s[16:17]
; %bb.142:                              ;   in Loop: Header=BB33_59 Depth=1
	v_bfe_u32 v7, v3, 20, 1
	v_add3_u32 v7, v3, v7, s23
	v_lshrrev_b32_e32 v11, 20, v7
; %bb.143:                              ;   in Loop: Header=BB33_59 Depth=1
	s_andn2_saveexec_b64 s[16:17], s[16:17]
; %bb.144:                              ;   in Loop: Header=BB33_59 Depth=1
	v_add_f32_e64 v11, |v3|, s24
; %bb.145:                              ;   in Loop: Header=BB33_59 Depth=1
	s_or_b64 exec, exec, s[16:17]
.LBB33_146:                             ;   in Loop: Header=BB33_59 Depth=1
	s_or_b64 exec, exec, s[10:11]
	v_mul_f32_e32 v7, v36, v8
	v_mul_f32_e32 v4, v4, v7
	v_div_scale_f32 v7, s[10:11], v12, v12, v4
	v_rcp_f32_e32 v8, v7
	v_div_scale_f32 v13, vcc, v4, v12, v4
	v_fma_f32 v17, -v7, v8, 1.0
	v_fmac_f32_e32 v8, v17, v8
	v_mul_f32_e32 v17, v13, v8
	v_fma_f32 v18, -v7, v17, v13
	v_fmac_f32_e32 v17, v18, v8
	v_fma_f32 v7, -v7, v17, v13
	v_div_fmas_f32 v7, v7, v8, v17
	v_div_fixup_f32 v4, v7, v12, v4
	v_min_f32_e32 v4, 0x43e00000, v4
	v_max_f32_e32 v8, 0xc3e00000, v4
	v_and_b32_e32 v13, 0x7fffffff, v8
	v_cmp_gt_u32_e32 vcc, s21, v13
	v_mov_b32_e32 v7, 0x7f
	v_mov_b32_e32 v4, 0x7f
	s_and_saveexec_b64 s[10:11], vcc
	s_cbranch_execz .LBB33_152
; %bb.147:                              ;   in Loop: Header=BB33_59 Depth=1
	v_cmp_lt_u32_e32 vcc, s22, v13
                                        ; implicit-def: $vgpr4
	s_and_saveexec_b64 s[16:17], vcc
	s_xor_b64 s[16:17], exec, s[16:17]
; %bb.148:                              ;   in Loop: Header=BB33_59 Depth=1
	v_bfe_u32 v4, v8, 20, 1
	v_add3_u32 v4, v8, v4, s23
	v_lshrrev_b32_e32 v4, 20, v4
; %bb.149:                              ;   in Loop: Header=BB33_59 Depth=1
	s_andn2_saveexec_b64 s[16:17], s[16:17]
; %bb.150:                              ;   in Loop: Header=BB33_59 Depth=1
	v_add_f32_e64 v4, |v8|, s24
; %bb.151:                              ;   in Loop: Header=BB33_59 Depth=1
	s_or_b64 exec, exec, s[16:17]
.LBB33_152:                             ;   in Loop: Header=BB33_59 Depth=1
	s_or_b64 exec, exec, s[10:11]
	v_mul_f32_e32 v9, v36, v9
	v_mul_f32_e32 v5, v5, v9
	v_div_scale_f32 v9, s[10:11], v12, v12, v5
	v_rcp_f32_e32 v13, v9
	v_div_scale_f32 v17, vcc, v5, v12, v5
	v_fma_f32 v18, -v9, v13, 1.0
	v_fmac_f32_e32 v13, v18, v13
	v_mul_f32_e32 v18, v17, v13
	v_fma_f32 v19, -v9, v18, v17
	v_fmac_f32_e32 v18, v19, v13
	v_fma_f32 v9, -v9, v18, v17
	v_div_fmas_f32 v9, v9, v13, v18
	v_div_fixup_f32 v5, v9, v12, v5
	v_min_f32_e32 v5, 0x43e00000, v5
	v_max_f32_e32 v5, 0xc3e00000, v5
	v_and_b32_e32 v9, 0x7fffffff, v5
	v_cmp_gt_u32_e32 vcc, s21, v9
	s_and_saveexec_b64 s[10:11], vcc
	s_cbranch_execz .LBB33_55
; %bb.153:                              ;   in Loop: Header=BB33_59 Depth=1
	v_cmp_lt_u32_e32 vcc, s22, v9
                                        ; implicit-def: $vgpr7
	s_and_saveexec_b64 s[16:17], vcc
	s_xor_b64 s[16:17], exec, s[16:17]
; %bb.154:                              ;   in Loop: Header=BB33_59 Depth=1
	v_bfe_u32 v7, v5, 20, 1
	v_add3_u32 v7, v5, v7, s23
	v_lshrrev_b32_e32 v7, 20, v7
; %bb.155:                              ;   in Loop: Header=BB33_59 Depth=1
	s_andn2_saveexec_b64 s[16:17], s[16:17]
	s_cbranch_execz .LBB33_54
; %bb.156:                              ;   in Loop: Header=BB33_59 Depth=1
	v_add_f32_e64 v7, |v5|, s24
	s_branch .LBB33_54
.LBB33_157:
	s_endpgm
	.section	.rodata,"a",@progbits
	.p2align	6, 0x0
	.amdhsa_kernel _ZN4vllm31rms_norm_per_block_quant_kernelIfN3c1013Float8_e4m3fnELb1ELb0ELi64EEEvPT0_PfPKT_S8_PKffiiPS6_l
		.amdhsa_group_segment_fixed_size 4164
		.amdhsa_private_segment_fixed_size 0
		.amdhsa_kernarg_size 328
		.amdhsa_user_sgpr_count 6
		.amdhsa_user_sgpr_private_segment_buffer 1
		.amdhsa_user_sgpr_dispatch_ptr 0
		.amdhsa_user_sgpr_queue_ptr 0
		.amdhsa_user_sgpr_kernarg_segment_ptr 1
		.amdhsa_user_sgpr_dispatch_id 0
		.amdhsa_user_sgpr_flat_scratch_init 0
		.amdhsa_user_sgpr_kernarg_preload_length 0
		.amdhsa_user_sgpr_kernarg_preload_offset 0
		.amdhsa_user_sgpr_private_segment_size 0
		.amdhsa_uses_dynamic_stack 0
		.amdhsa_system_sgpr_private_segment_wavefront_offset 0
		.amdhsa_system_sgpr_workgroup_id_x 1
		.amdhsa_system_sgpr_workgroup_id_y 0
		.amdhsa_system_sgpr_workgroup_id_z 0
		.amdhsa_system_sgpr_workgroup_info 0
		.amdhsa_system_vgpr_workitem_id 0
		.amdhsa_next_free_vgpr 44
		.amdhsa_next_free_sgpr 48
		.amdhsa_accum_offset 44
		.amdhsa_reserve_vcc 1
		.amdhsa_reserve_flat_scratch 0
		.amdhsa_float_round_mode_32 0
		.amdhsa_float_round_mode_16_64 0
		.amdhsa_float_denorm_mode_32 3
		.amdhsa_float_denorm_mode_16_64 3
		.amdhsa_dx10_clamp 1
		.amdhsa_ieee_mode 1
		.amdhsa_fp16_overflow 0
		.amdhsa_tg_split 0
		.amdhsa_exception_fp_ieee_invalid_op 0
		.amdhsa_exception_fp_denorm_src 0
		.amdhsa_exception_fp_ieee_div_zero 0
		.amdhsa_exception_fp_ieee_overflow 0
		.amdhsa_exception_fp_ieee_underflow 0
		.amdhsa_exception_fp_ieee_inexact 0
		.amdhsa_exception_int_div_zero 0
	.end_amdhsa_kernel
	.section	.text._ZN4vllm31rms_norm_per_block_quant_kernelIfN3c1013Float8_e4m3fnELb1ELb0ELi64EEEvPT0_PfPKT_S8_PKffiiPS6_l,"axG",@progbits,_ZN4vllm31rms_norm_per_block_quant_kernelIfN3c1013Float8_e4m3fnELb1ELb0ELi64EEEvPT0_PfPKT_S8_PKffiiPS6_l,comdat
.Lfunc_end33:
	.size	_ZN4vllm31rms_norm_per_block_quant_kernelIfN3c1013Float8_e4m3fnELb1ELb0ELi64EEEvPT0_PfPKT_S8_PKffiiPS6_l, .Lfunc_end33-_ZN4vllm31rms_norm_per_block_quant_kernelIfN3c1013Float8_e4m3fnELb1ELb0ELi64EEEvPT0_PfPKT_S8_PKffiiPS6_l
                                        ; -- End function
	.section	.AMDGPU.csdata,"",@progbits
; Kernel info:
; codeLenInByte = 8000
; NumSgprs: 52
; NumVgprs: 44
; NumAgprs: 0
; TotalNumVgprs: 44
; ScratchSize: 0
; MemoryBound: 0
; FloatMode: 240
; IeeeMode: 1
; LDSByteSize: 4164 bytes/workgroup (compile time only)
; SGPRBlocks: 6
; VGPRBlocks: 5
; NumSGPRsForWavesPerEU: 52
; NumVGPRsForWavesPerEU: 44
; AccumOffset: 44
; Occupancy: 8
; WaveLimiterHint : 0
; COMPUTE_PGM_RSRC2:SCRATCH_EN: 0
; COMPUTE_PGM_RSRC2:USER_SGPR: 6
; COMPUTE_PGM_RSRC2:TRAP_HANDLER: 0
; COMPUTE_PGM_RSRC2:TGID_X_EN: 1
; COMPUTE_PGM_RSRC2:TGID_Y_EN: 0
; COMPUTE_PGM_RSRC2:TGID_Z_EN: 0
; COMPUTE_PGM_RSRC2:TIDIG_COMP_CNT: 0
; COMPUTE_PGM_RSRC3_GFX90A:ACCUM_OFFSET: 10
; COMPUTE_PGM_RSRC3_GFX90A:TG_SPLIT: 0
	.section	.text._ZN4vllm31rms_norm_per_block_quant_kernelIfN3c1015Float8_e4m3fnuzELb1ELb0ELi64EEEvPT0_PfPKT_S8_PKffiiPS6_l,"axG",@progbits,_ZN4vllm31rms_norm_per_block_quant_kernelIfN3c1015Float8_e4m3fnuzELb1ELb0ELi64EEEvPT0_PfPKT_S8_PKffiiPS6_l,comdat
	.protected	_ZN4vllm31rms_norm_per_block_quant_kernelIfN3c1015Float8_e4m3fnuzELb1ELb0ELi64EEEvPT0_PfPKT_S8_PKffiiPS6_l ; -- Begin function _ZN4vllm31rms_norm_per_block_quant_kernelIfN3c1015Float8_e4m3fnuzELb1ELb0ELi64EEEvPT0_PfPKT_S8_PKffiiPS6_l
	.globl	_ZN4vllm31rms_norm_per_block_quant_kernelIfN3c1015Float8_e4m3fnuzELb1ELb0ELi64EEEvPT0_PfPKT_S8_PKffiiPS6_l
	.p2align	8
	.type	_ZN4vllm31rms_norm_per_block_quant_kernelIfN3c1015Float8_e4m3fnuzELb1ELb0ELi64EEEvPT0_PfPKT_S8_PKffiiPS6_l,@function
_ZN4vllm31rms_norm_per_block_quant_kernelIfN3c1015Float8_e4m3fnuzELb1ELb0ELi64EEEvPT0_PfPKT_S8_PKffiiPS6_l: ; @_ZN4vllm31rms_norm_per_block_quant_kernelIfN3c1015Float8_e4m3fnuzELb1ELb0ELi64EEEvPT0_PfPKT_S8_PKffiiPS6_l
; %bb.0:
	s_load_dwordx4 s[16:19], s[4:5], 0x28
	s_load_dwordx8 s[8:15], s[4:5], 0x0
	s_load_dwordx2 s[0:1], s[4:5], 0x38
	v_mov_b32_e32 v1, 0
	s_waitcnt lgkmcnt(0)
	s_ashr_i32 s2, s18, 31
	s_mul_hi_u32 s3, s18, s6
	s_mul_i32 s2, s2, s6
	s_ashr_i32 s21, s17, 31
	s_add_i32 s3, s3, s2
	s_mul_i32 s2, s18, s6
	s_mul_hi_u32 s7, s17, s6
	s_mul_i32 s18, s21, s6
	s_add_i32 s19, s7, s18
	s_lshl_b64 s[2:3], s[2:3], 2
	s_mul_i32 s18, s17, s6
	s_add_u32 s33, s12, s2
	s_addc_u32 s44, s13, s3
	s_lshl_b64 s[2:3], s[18:19], 2
	s_add_u32 s45, s0, s2
	s_addc_u32 s46, s1, s3
	s_ashr_i32 s12, s17, 2
	s_add_u32 s2, s4, 0x48
	s_mov_b32 s20, s17
	v_cmp_gt_u32_e64 s[0:1], s12, v0
	s_addc_u32 s3, s5, 0
	s_and_saveexec_b64 s[22:23], s[0:1]
	s_cbranch_execz .LBB34_10
; %bb.1:
	s_load_dword s7, s[2:3], 0x0
	v_mov_b32_e32 v3, 0
	v_mov_b32_e32 v9, s44
	;; [unrolled: 1-line block ×4, first 2 shown]
	s_waitcnt lgkmcnt(0)
	s_cmp_lt_u32 s6, s7
	s_cselect_b32 s7, 12, 18
	s_add_u32 s24, s2, s7
	s_addc_u32 s25, s3, 0
	global_load_ushort v8, v3, s[24:25]
	s_mov_b64 s[24:25], 0
	v_mov_b32_e32 v1, v3
                                        ; implicit-def: $sgpr26_sgpr27
	s_waitcnt vmcnt(0)
	v_mul_lo_u32 v11, v8, 3
	v_lshlrev_b32_e32 v12, 1, v8
	s_branch .LBB34_5
.LBB34_2:                               ;   in Loop: Header=BB34_5 Depth=1
	s_or_b64 exec, exec, s[34:35]
	s_orn2_b64 s[34:35], s[36:37], exec
.LBB34_3:                               ;   in Loop: Header=BB34_5 Depth=1
	s_or_b64 exec, exec, s[30:31]
	s_andn2_b64 s[26:27], s[26:27], exec
	s_and_b64 s[30:31], s[34:35], exec
	s_or_b64 s[26:27], s[26:27], s[30:31]
.LBB34_4:                               ;   in Loop: Header=BB34_5 Depth=1
	s_or_b64 exec, exec, s[28:29]
	s_and_b64 s[28:29], exec, s[26:27]
	s_or_b64 s[24:25], s[28:29], s[24:25]
	s_andn2_b64 exec, exec, s[24:25]
	s_cbranch_execz .LBB34_9
.LBB34_5:                               ; =>This Inner Loop Header: Depth=1
	v_lshlrev_b64 v[4:5], 4, v[2:3]
	v_add_co_u32_e32 v6, vcc, s33, v4
	v_addc_co_u32_e32 v7, vcc, v9, v5, vcc
	v_add_co_u32_e32 v4, vcc, s45, v4
	v_addc_co_u32_e32 v5, vcc, v10, v5, vcc
	global_load_dwordx4 v[14:17], v[6:7], off
	global_load_dwordx4 v[18:21], v[4:5], off
	v_add_u32_e32 v4, v2, v8
	v_cmp_gt_u32_e32 vcc, s12, v4
	s_or_b64 s[26:27], s[26:27], exec
	s_waitcnt vmcnt(0)
	v_pk_add_f32 v[6:7], v[14:15], v[18:19]
	v_pk_mul_f32 v[6:7], v[6:7], v[6:7]
	v_pk_add_f32 v[14:15], v[16:17], v[20:21]
	v_add_f32_e32 v1, v1, v6
	v_pk_mul_f32 v[14:15], v[14:15], v[14:15]
	v_add_f32_e32 v1, v1, v7
	v_add_f32_e32 v1, v1, v14
	;; [unrolled: 1-line block ×3, first 2 shown]
	s_and_saveexec_b64 s[28:29], vcc
	s_cbranch_execz .LBB34_4
; %bb.6:                                ;   in Loop: Header=BB34_5 Depth=1
	v_mov_b32_e32 v5, v3
	v_lshlrev_b64 v[6:7], 4, v[4:5]
	v_add_co_u32_e32 v22, vcc, s33, v6
	v_addc_co_u32_e32 v23, vcc, v9, v7, vcc
	v_add_co_u32_e32 v6, vcc, s45, v6
	v_addc_co_u32_e32 v7, vcc, v10, v7, vcc
	global_load_dwordx4 v[14:17], v[22:23], off
	global_load_dwordx4 v[18:21], v[6:7], off
	v_add_u32_e32 v6, v12, v2
	v_cmp_gt_u32_e32 vcc, s12, v6
	s_mov_b64 s[34:35], -1
	s_waitcnt vmcnt(0)
	v_pk_add_f32 v[14:15], v[14:15], v[18:19]
	v_pk_mul_f32 v[14:15], v[14:15], v[14:15]
	v_pk_add_f32 v[16:17], v[16:17], v[20:21]
	v_add_f32_e32 v1, v1, v14
	v_pk_mul_f32 v[16:17], v[16:17], v[16:17]
	v_add_f32_e32 v1, v1, v15
	v_add_f32_e32 v1, v1, v16
	;; [unrolled: 1-line block ×3, first 2 shown]
	s_and_saveexec_b64 s[30:31], vcc
	s_cbranch_execz .LBB34_3
; %bb.7:                                ;   in Loop: Header=BB34_5 Depth=1
	v_mov_b32_e32 v7, v3
	v_lshlrev_b64 v[6:7], 4, v[6:7]
	v_add_co_u32_e32 v22, vcc, s33, v6
	v_addc_co_u32_e32 v23, vcc, v9, v7, vcc
	v_add_co_u32_e32 v6, vcc, s45, v6
	v_addc_co_u32_e32 v7, vcc, v10, v7, vcc
	global_load_dwordx4 v[14:17], v[22:23], off
	global_load_dwordx4 v[18:21], v[6:7], off
	v_add_u32_e32 v2, v11, v2
	v_cmp_gt_u32_e32 vcc, s12, v2
	s_mov_b64 s[36:37], -1
	s_waitcnt vmcnt(0)
	v_pk_add_f32 v[6:7], v[14:15], v[18:19]
	v_pk_mul_f32 v[6:7], v[6:7], v[6:7]
	v_pk_add_f32 v[14:15], v[16:17], v[20:21]
	v_add_f32_e32 v1, v1, v6
	v_pk_mul_f32 v[14:15], v[14:15], v[14:15]
	v_add_f32_e32 v1, v1, v7
	v_add_f32_e32 v1, v1, v14
	;; [unrolled: 1-line block ×3, first 2 shown]
	s_and_saveexec_b64 s[34:35], vcc
	s_xor_b64 s[34:35], exec, s[34:35]
	s_cbranch_execz .LBB34_2
; %bb.8:                                ;   in Loop: Header=BB34_5 Depth=1
	v_lshlrev_b64 v[6:7], 4, v[2:3]
	v_mov_b32_e32 v2, s44
	v_add_co_u32_e32 v22, vcc, s33, v6
	v_addc_co_u32_e32 v23, vcc, v2, v7, vcc
	v_mov_b32_e32 v2, s46
	v_add_co_u32_e32 v6, vcc, s45, v6
	v_addc_co_u32_e32 v7, vcc, v2, v7, vcc
	global_load_dwordx4 v[14:17], v[22:23], off
	global_load_dwordx4 v[18:21], v[6:7], off
	v_add_u32_e32 v2, v8, v8
	v_add_u32_e32 v2, v2, v8
	;; [unrolled: 1-line block ×3, first 2 shown]
	v_cmp_le_u32_e32 vcc, s12, v2
	s_orn2_b64 s[36:37], vcc, exec
	s_waitcnt vmcnt(0)
	v_pk_add_f32 v[4:5], v[14:15], v[18:19]
	v_pk_mul_f32 v[4:5], v[4:5], v[4:5]
	v_pk_add_f32 v[6:7], v[16:17], v[20:21]
	v_add_f32_e32 v1, v1, v4
	v_pk_mul_f32 v[6:7], v[6:7], v[6:7]
	v_add_f32_e32 v1, v1, v5
	v_add_f32_e32 v1, v1, v6
	;; [unrolled: 1-line block ×3, first 2 shown]
	s_branch .LBB34_2
.LBB34_9:
	s_or_b64 exec, exec, s[24:25]
.LBB34_10:
	s_or_b64 exec, exec, s[22:23]
	v_mbcnt_lo_u32_b32 v2, -1, 0
	v_mbcnt_hi_u32_b32 v2, -1, v2
	v_and_b32_e32 v3, 63, v2
	v_cmp_ne_u32_e32 vcc, 63, v3
	s_load_dword s2, s[2:3], 0xc
	v_addc_co_u32_e32 v4, vcc, 0, v2, vcc
	v_lshlrev_b32_e32 v4, 2, v4
	ds_bpermute_b32 v4, v4, v1
	s_waitcnt lgkmcnt(0)
	s_and_b32 s47, s2, 0xffff
	v_and_b32_e32 v5, 0x3c0, v0
	v_sub_u32_e64 v5, s47, v5 clamp
	v_add_u32_e32 v6, 1, v2
	v_add_f32_e32 v4, v1, v4
	v_cmp_lt_u32_e32 vcc, v6, v5
	v_cndmask_b32_e32 v1, v1, v4, vcc
	v_cmp_gt_u32_e32 vcc, 62, v3
	v_cndmask_b32_e64 v4, 0, 1, vcc
	v_lshlrev_b32_e32 v4, 1, v4
	v_add_lshl_u32 v4, v4, v2, 2
	ds_bpermute_b32 v4, v4, v1
	v_add_u32_e32 v6, 2, v2
	v_cmp_lt_u32_e32 vcc, v6, v5
	v_add_u32_e32 v6, 4, v2
	s_waitcnt lgkmcnt(0)
	v_add_f32_e32 v4, v1, v4
	v_cndmask_b32_e32 v1, v1, v4, vcc
	v_cmp_gt_u32_e32 vcc, 60, v3
	v_cndmask_b32_e64 v4, 0, 1, vcc
	v_lshlrev_b32_e32 v4, 2, v4
	v_add_lshl_u32 v4, v4, v2, 2
	ds_bpermute_b32 v4, v4, v1
	v_cmp_lt_u32_e32 vcc, v6, v5
	v_add_u32_e32 v6, 8, v2
	s_waitcnt lgkmcnt(0)
	v_add_f32_e32 v4, v1, v4
	v_cndmask_b32_e32 v1, v1, v4, vcc
	v_cmp_gt_u32_e32 vcc, 56, v3
	v_cndmask_b32_e64 v4, 0, 1, vcc
	v_lshlrev_b32_e32 v4, 3, v4
	v_add_lshl_u32 v4, v4, v2, 2
	ds_bpermute_b32 v4, v4, v1
	;; [unrolled: 10-line block ×3, first 2 shown]
	v_cmp_lt_u32_e32 vcc, v6, v5
	s_waitcnt lgkmcnt(0)
	v_add_f32_e32 v4, v1, v4
	v_cndmask_b32_e32 v1, v1, v4, vcc
	v_cmp_gt_u32_e32 vcc, 32, v3
	v_cndmask_b32_e64 v3, 0, 1, vcc
	v_lshlrev_b32_e32 v3, 5, v3
	v_add_lshl_u32 v3, v3, v2, 2
	ds_bpermute_b32 v3, v3, v1
	v_add_u32_e32 v4, 32, v2
	v_cmp_lt_u32_e32 vcc, v4, v5
	s_waitcnt lgkmcnt(0)
	v_add_f32_e32 v3, v1, v3
	v_cndmask_b32_e32 v1, v1, v3, vcc
	v_cmp_eq_u32_e32 vcc, 0, v2
	s_and_saveexec_b64 s[2:3], vcc
	s_cbranch_execz .LBB34_12
; %bb.11:
	v_lshrrev_b32_e32 v3, 4, v0
	v_and_b32_e32 v3, 60, v3
	ds_write_b32 v3, v1 offset:4096
.LBB34_12:
	s_or_b64 exec, exec, s[2:3]
	v_cmp_gt_u32_e32 vcc, 16, v0
	s_waitcnt lgkmcnt(0)
	s_barrier
	s_and_saveexec_b64 s[22:23], vcc
	s_cbranch_execz .LBB34_14
; %bb.13:
	v_lshlrev_b32_e32 v1, 2, v2
	ds_read_b32 v1, v1 offset:4096
	v_and_b32_e32 v3, 15, v2
	v_cmp_ne_u32_e32 vcc, 15, v3
	v_addc_co_u32_e32 v4, vcc, 0, v2, vcc
	v_lshlrev_b32_e32 v4, 2, v4
	s_waitcnt lgkmcnt(0)
	ds_bpermute_b32 v4, v4, v1
	s_add_i32 s2, s47, 63
	s_lshr_b32 s7, s2, 6
	v_add_u32_e32 v5, 1, v3
	v_cmp_gt_u32_e64 s[2:3], 14, v3
	v_cmp_gt_u32_e32 vcc, s7, v5
	v_cndmask_b32_e64 v5, 0, 1, s[2:3]
	s_waitcnt lgkmcnt(0)
	v_add_f32_e32 v4, v1, v4
	v_lshlrev_b32_e32 v5, 1, v5
	v_cndmask_b32_e32 v4, v1, v4, vcc
	v_add_lshl_u32 v5, v5, v2, 2
	ds_bpermute_b32 v5, v5, v4
	v_add_u32_e32 v6, 2, v3
	v_cmp_gt_u32_e64 s[2:3], s7, v6
	v_add_u32_e32 v6, 4, v3
	s_waitcnt lgkmcnt(0)
	v_add_f32_e32 v5, v4, v5
	v_cndmask_b32_e64 v4, v4, v5, s[2:3]
	v_cmp_gt_u32_e64 s[2:3], 12, v3
	v_cndmask_b32_e64 v5, 0, 1, s[2:3]
	v_lshlrev_b32_e32 v5, 2, v5
	v_add_lshl_u32 v5, v5, v2, 2
	ds_bpermute_b32 v5, v5, v4
	v_cmp_gt_u32_e64 s[2:3], s7, v6
	s_waitcnt lgkmcnt(0)
	v_add_f32_e32 v5, v4, v5
	v_cndmask_b32_e64 v4, v4, v5, s[2:3]
	v_cmp_gt_u32_e64 s[2:3], 8, v3
	v_cndmask_b32_e64 v5, 0, 1, s[2:3]
	v_lshlrev_b32_e32 v5, 3, v5
	v_add_lshl_u32 v2, v5, v2, 2
	ds_bpermute_b32 v2, v2, v4
	v_add_u32_e32 v3, 8, v3
	v_cmp_gt_u32_e64 s[2:3], s7, v3
	s_waitcnt lgkmcnt(0)
	v_add_f32_e32 v2, v4, v2
	v_cndmask_b32_e64 v2, v4, v2, s[2:3]
	v_cndmask_b32_e32 v1, v1, v2, vcc
.LBB34_14:
	s_or_b64 exec, exec, s[22:23]
	v_cmp_eq_u32_e32 vcc, 0, v0
	s_and_saveexec_b64 s[2:3], vcc
	s_cbranch_execz .LBB34_16
; %bb.15:
	v_cvt_f32_i32_e32 v2, s20
	s_mov_b32 s7, 0x800000
	v_div_scale_f32 v3, s[22:23], v2, v2, v1
	v_rcp_f32_e32 v4, v3
	v_div_scale_f32 v5, vcc, v1, v2, v1
	v_fma_f32 v6, -v3, v4, 1.0
	v_fmac_f32_e32 v4, v6, v4
	v_mul_f32_e32 v6, v5, v4
	v_fma_f32 v7, -v3, v6, v5
	v_fmac_f32_e32 v6, v7, v4
	v_fma_f32 v3, -v3, v6, v5
	v_div_fmas_f32 v3, v3, v4, v6
	v_div_fixup_f32 v1, v3, v2, v1
	v_add_f32_e32 v1, s16, v1
	v_mul_f32_e32 v2, 0x4b800000, v1
	v_cmp_gt_f32_e32 vcc, s7, v1
	v_cndmask_b32_e32 v1, v1, v2, vcc
	v_rsq_f32_e32 v1, v1
	v_mul_f32_e32 v2, 0x45800000, v1
	v_cndmask_b32_e32 v1, v1, v2, vcc
	v_mov_b32_e32 v2, 0
	ds_write_b32 v2, v1 offset:4160
.LBB34_16:
	s_or_b64 exec, exec, s[2:3]
	s_ashr_i32 s2, s20, 31
	s_lshr_b32 s2, s2, 26
	s_add_i32 s2, s20, s2
	s_ashr_i32 s16, s2, 6
	s_abs_i32 s3, s16
	v_cvt_f32_u32_e32 v1, s3
	s_sub_i32 s7, 0, s3
	s_ashr_i32 s2, s2, 31
	v_mov_b32_e32 v5, 0
	v_rcp_iflag_f32_e32 v1, v1
	s_waitcnt lgkmcnt(0)
	s_barrier
	v_mul_f32_e32 v1, 0x4f7ffffe, v1
	v_cvt_u32_f32_e32 v1, v1
	ds_read_b32 v36, v5 offset:4160
	v_readfirstlane_b32 s13, v1
	s_mul_i32 s7, s7, s13
	s_mul_hi_u32 s7, s13, s7
	s_add_i32 s13, s13, s7
	s_mul_hi_u32 s7, s47, s13
	s_mul_i32 s13, s7, s3
	s_sub_i32 s13, s47, s13
	s_add_i32 s17, s7, 1
	s_sub_i32 s22, s13, s3
	s_cmp_ge_u32 s13, s3
	s_cselect_b32 s7, s17, s7
	s_cselect_b32 s13, s22, s13
	s_add_i32 s17, s7, 1
	s_cmp_ge_u32 s13, s3
	s_cselect_b32 s3, s17, s7
	s_xor_b32 s3, s3, s2
	s_sub_i32 s2, s3, s2
	s_abs_i32 s7, s2
	v_cvt_f32_u32_e32 v1, s7
	s_sub_i32 s13, 0, s7
	s_ashr_i32 s3, s2, 31
	v_rcp_iflag_f32_e32 v1, v1
	v_mul_f32_e32 v1, 0x4f7ffffe, v1
	v_cvt_u32_f32_e32 v1, v1
	v_mul_lo_u32 v2, s13, v1
	v_mul_hi_u32 v2, v1, v2
	v_add_u32_e32 v1, v1, v2
	v_mul_hi_u32 v1, v0, v1
	v_mul_lo_u32 v2, v1, s7
	v_sub_u32_e32 v2, v0, v2
	v_add_u32_e32 v3, 1, v1
	v_cmp_le_u32_e32 vcc, s7, v2
	v_cndmask_b32_e32 v1, v1, v3, vcc
	v_subrev_u32_e32 v3, s7, v2
	v_cndmask_b32_e32 v2, v2, v3, vcc
	v_add_u32_e32 v3, 1, v1
	v_cmp_le_u32_e32 vcc, s7, v2
	v_cndmask_b32_e32 v1, v1, v3, vcc
	v_xor_b32_e32 v1, s3, v1
	v_subrev_u32_e32 v2, s3, v1
	v_mul_lo_u32 v1, v2, s2
	v_ashrrev_i32_e32 v3, 31, v2
	v_sub_u32_e32 v4, v0, v1
	v_lshlrev_b64 v[8:9], 4, v[2:3]
	v_add_co_u32_e32 v6, vcc, v8, v4
	v_addc_co_u32_e32 v7, vcc, 0, v9, vcc
	v_add_co_u32_e32 v8, vcc, 16, v8
	v_addc_co_u32_e32 v9, vcc, 0, v9, vcc
	s_ashr_i32 s13, s12, 31
	v_mov_b32_e32 v1, s13
	v_cmp_gt_i64_e32 vcc, s[12:13], v[8:9]
	v_cndmask_b32_e32 v9, v1, v9, vcc
	v_mov_b32_e32 v1, s12
	v_cndmask_b32_e32 v8, v1, v8, vcc
	v_ashrrev_i32_e32 v11, 31, v8
	v_mov_b32_e32 v10, v8
	v_cmp_lt_i64_e32 vcc, v[6:7], v[10:11]
	s_and_saveexec_b64 s[22:23], vcc
	s_cbranch_execz .LBB34_26
; %bb.17:
	v_lshlrev_b64 v[12:13], 8, v[2:3]
	v_lshlrev_b64 v[14:15], 4, v[4:5]
	v_add_co_u32_e32 v12, vcc, v12, v14
	v_addc_co_u32_e32 v1, vcc, v13, v15, vcc
	s_lshl_b64 s[24:25], s[2:3], 6
	s_mul_hi_i32 s7, s2, 3
	s_mul_i32 s13, s2, 3
	s_lshl_b64 s[26:27], s[2:3], 1
	s_lshl_b64 s[30:31], s[2:3], 4
	s_mov_b64 s[28:29], 0
	v_mov_b32_e32 v5, 0
	v_mov_b32_e32 v13, s44
	;; [unrolled: 1-line block ×5, first 2 shown]
	v_pk_mov_b32 v[14:15], v[6:7], v[6:7] op_sel:[0,1]
                                        ; implicit-def: $sgpr34_sgpr35
	s_branch .LBB34_21
.LBB34_18:                              ;   in Loop: Header=BB34_21 Depth=1
	s_or_b64 exec, exec, s[40:41]
	s_orn2_b64 s[40:41], s[42:43], exec
.LBB34_19:                              ;   in Loop: Header=BB34_21 Depth=1
	s_or_b64 exec, exec, s[38:39]
	s_andn2_b64 s[34:35], s[34:35], exec
	s_and_b64 s[38:39], s[40:41], exec
	s_or_b64 s[34:35], s[34:35], s[38:39]
.LBB34_20:                              ;   in Loop: Header=BB34_21 Depth=1
	s_or_b64 exec, exec, s[36:37]
	s_and_b64 s[36:37], exec, s[34:35]
	s_or_b64 s[28:29], s[36:37], s[28:29]
	s_andn2_b64 exec, exec, s[28:29]
	s_cbranch_execz .LBB34_25
.LBB34_21:                              ; =>This Inner Loop Header: Depth=1
	v_add_co_u32_e32 v18, vcc, s33, v12
	v_addc_co_u32_e32 v19, vcc, v13, v1, vcc
	v_add_co_u32_e32 v22, vcc, s45, v12
	v_addc_co_u32_e32 v23, vcc, v25, v1, vcc
	global_load_dwordx4 v[28:31], v[18:19], off
	global_load_dwordx4 v[32:35], v[22:23], off
	v_add_co_u32_e32 v20, vcc, s14, v12
	v_addc_co_u32_e32 v21, vcc, v24, v1, vcc
	global_load_dwordx4 v[38:41], v[20:21], off
	v_add_co_u32_e32 v16, vcc, s2, v14
	v_addc_co_u32_e32 v17, vcc, v15, v26, vcc
	v_cmp_lt_i64_e32 vcc, v[16:17], v[10:11]
	s_or_b64 s[34:35], s[34:35], exec
	s_waitcnt vmcnt(1)
	v_add_f32_e32 v27, v28, v32
	v_add_f32_e32 v28, v29, v33
	;; [unrolled: 1-line block ×4, first 2 shown]
	s_waitcnt lgkmcnt(0)
	v_mul_f32_e32 v27, v36, v27
	v_mul_f32_e32 v28, v36, v28
	;; [unrolled: 1-line block ×4, first 2 shown]
	s_waitcnt vmcnt(0)
	v_mul_f32_e32 v27, v38, v27
	v_mul_f32_e32 v28, v39, v28
	;; [unrolled: 1-line block ×4, first 2 shown]
	v_max3_f32 v5, v5, |v27|, |v28|
	v_max3_f32 v5, v5, |v29|, |v30|
	s_and_saveexec_b64 s[36:37], vcc
	s_cbranch_execz .LBB34_20
; %bb.22:                               ;   in Loop: Header=BB34_21 Depth=1
	v_mov_b32_e32 v27, s31
	v_add_co_u32_e32 v18, vcc, s30, v18
	v_addc_co_u32_e32 v19, vcc, v19, v27, vcc
	v_add_co_u32_e32 v22, vcc, s30, v22
	v_addc_co_u32_e32 v23, vcc, v23, v27, vcc
	global_load_dwordx4 v[28:31], v[18:19], off
	global_load_dwordx4 v[32:35], v[22:23], off
	v_add_co_u32_e32 v20, vcc, s30, v20
	v_addc_co_u32_e32 v21, vcc, v21, v27, vcc
	global_load_dwordx4 v[38:41], v[20:21], off
	v_mov_b32_e32 v27, s27
	v_add_co_u32_e32 v42, vcc, s26, v14
	v_addc_co_u32_e32 v43, vcc, v27, v15, vcc
	v_cmp_lt_i64_e32 vcc, v[42:43], v[10:11]
	s_mov_b64 s[40:41], -1
	s_waitcnt vmcnt(1)
	v_add_f32_e32 v27, v28, v32
	v_add_f32_e32 v28, v29, v33
	;; [unrolled: 1-line block ×4, first 2 shown]
	v_mul_f32_e32 v27, v36, v27
	v_mul_f32_e32 v28, v36, v28
	;; [unrolled: 1-line block ×4, first 2 shown]
	s_waitcnt vmcnt(0)
	v_mul_f32_e32 v27, v38, v27
	v_mul_f32_e32 v28, v39, v28
	;; [unrolled: 1-line block ×4, first 2 shown]
	v_max3_f32 v5, v5, |v27|, |v28|
	v_max3_f32 v5, v5, |v29|, |v30|
	s_and_saveexec_b64 s[38:39], vcc
	s_cbranch_execz .LBB34_19
; %bb.23:                               ;   in Loop: Header=BB34_21 Depth=1
	v_mov_b32_e32 v27, s31
	v_add_co_u32_e32 v18, vcc, s30, v18
	v_addc_co_u32_e32 v19, vcc, v19, v27, vcc
	v_add_co_u32_e32 v22, vcc, s30, v22
	v_addc_co_u32_e32 v23, vcc, v23, v27, vcc
	global_load_dwordx4 v[28:31], v[18:19], off
	global_load_dwordx4 v[32:35], v[22:23], off
	v_add_co_u32_e32 v20, vcc, s30, v20
	v_addc_co_u32_e32 v21, vcc, v21, v27, vcc
	global_load_dwordx4 v[38:41], v[20:21], off
	v_mov_b32_e32 v27, s7
	v_add_co_u32_e32 v14, vcc, s13, v14
	v_addc_co_u32_e32 v15, vcc, v27, v15, vcc
	v_cmp_lt_i64_e32 vcc, v[14:15], v[10:11]
	s_mov_b64 s[42:43], -1
	s_waitcnt vmcnt(1)
	v_add_f32_e32 v14, v28, v32
	v_add_f32_e32 v15, v29, v33
	;; [unrolled: 1-line block ×4, first 2 shown]
	v_mul_f32_e32 v14, v36, v14
	v_mul_f32_e32 v15, v36, v15
	;; [unrolled: 1-line block ×4, first 2 shown]
	s_waitcnt vmcnt(0)
	v_mul_f32_e32 v14, v38, v14
	v_mul_f32_e32 v15, v39, v15
	;; [unrolled: 1-line block ×4, first 2 shown]
	v_max3_f32 v5, v5, |v14|, |v15|
	v_max3_f32 v5, v5, |v27|, |v28|
                                        ; implicit-def: $vgpr14_vgpr15
	s_and_saveexec_b64 s[40:41], vcc
	s_xor_b64 s[40:41], exec, s[40:41]
	s_cbranch_execz .LBB34_18
; %bb.24:                               ;   in Loop: Header=BB34_21 Depth=1
	v_mov_b32_e32 v27, s31
	v_add_co_u32_e32 v14, vcc, s30, v18
	v_addc_co_u32_e32 v15, vcc, v19, v27, vcc
	global_load_dwordx4 v[28:31], v[14:15], off
	v_add_co_u32_e32 v14, vcc, s30, v22
	v_addc_co_u32_e32 v15, vcc, v23, v27, vcc
	global_load_dwordx4 v[32:35], v[14:15], off
	v_add_co_u32_e32 v14, vcc, s30, v20
	v_addc_co_u32_e32 v15, vcc, v21, v27, vcc
	global_load_dwordx4 v[18:21], v[14:15], off
	s_add_u32 s17, s2, s2
	s_addc_u32 s42, s3, s3
	v_mov_b32_e32 v14, s25
	v_add_co_u32_e32 v12, vcc, s24, v12
	s_add_u32 s17, s17, s2
	v_addc_co_u32_e32 v1, vcc, v1, v14, vcc
	s_addc_u32 s42, s42, s3
	v_mov_b32_e32 v15, s42
	v_add_co_u32_e32 v14, vcc, s17, v16
	v_addc_co_u32_e32 v15, vcc, v15, v17, vcc
	v_cmp_ge_i64_e32 vcc, v[14:15], v[10:11]
	s_orn2_b64 s[42:43], vcc, exec
	s_waitcnt vmcnt(1)
	v_add_f32_e32 v16, v28, v32
	v_add_f32_e32 v17, v29, v33
	;; [unrolled: 1-line block ×4, first 2 shown]
	v_mul_f32_e32 v16, v36, v16
	v_mul_f32_e32 v17, v36, v17
	;; [unrolled: 1-line block ×4, first 2 shown]
	s_waitcnt vmcnt(0)
	v_mul_f32_e32 v16, v18, v16
	v_mul_f32_e32 v17, v19, v17
	;; [unrolled: 1-line block ×4, first 2 shown]
	v_max3_f32 v5, v5, |v16|, |v17|
	v_max3_f32 v5, v5, |v18|, |v19|
	s_branch .LBB34_18
.LBB34_25:
	s_or_b64 exec, exec, s[28:29]
.LBB34_26:
	s_or_b64 exec, exec, s[22:23]
	s_lshr_b32 s7, s47, 6
	v_cvt_f32_u32_e32 v10, s7
	v_lshlrev_b32_e32 v1, 2, v0
	ds_write_b32 v1, v5
	s_sub_i32 s23, 0, s7
	v_rcp_iflag_f32_e32 v5, v10
	s_add_i32 s13, s16, s7
	s_add_i32 s13, s13, -1
	s_ashr_i32 s22, s13, 31
	v_mul_f32_e32 v5, 0x4f7ffffe, v5
	v_cvt_u32_f32_e32 v5, v5
	s_abs_i32 s13, s13
	s_ashr_i32 s17, s16, 31
	s_waitcnt lgkmcnt(0)
	v_readfirstlane_b32 s24, v5
	s_mul_i32 s23, s23, s24
	s_mul_hi_u32 s23, s24, s23
	s_add_i32 s24, s24, s23
	s_mul_hi_u32 s23, s13, s24
	s_mul_i32 s24, s23, s7
	s_sub_i32 s13, s13, s24
	s_add_i32 s24, s23, 1
	s_sub_i32 s25, s13, s7
	s_cmp_ge_u32 s13, s7
	s_cselect_b32 s23, s24, s23
	s_cselect_b32 s13, s25, s13
	s_add_i32 s24, s23, 1
	s_cmp_ge_u32 s13, s7
	s_cselect_b32 s13, s24, s23
	s_xor_b32 s13, s13, s22
	s_sub_i32 s22, s13, s22
	s_ashr_i32 s23, s22, 31
	v_cmp_lt_i64_e64 s[24:25], s[22:23], 1
	s_and_b64 vcc, exec, s[24:25]
	s_barrier
	s_cbranch_vccnz .LBB34_48
; %bb.27:
	v_and_b32_e32 v12, 63, v0
	v_add_co_u32_e32 v14, vcc, 32, v12
	v_addc_co_u32_e64 v15, s[24:25], 0, 0, vcc
	v_add_co_u32_e32 v16, vcc, 16, v12
	v_addc_co_u32_e64 v17, s[24:25], 0, 0, vcc
	v_add_co_u32_e32 v18, vcc, 8, v12
	v_lshrrev_b32_e32 v10, 6, v0
	v_addc_co_u32_e64 v19, s[24:25], 0, 0, vcc
	v_add_co_u32_e32 v20, vcc, 4, v12
	v_addc_co_u32_e64 v21, s[24:25], 0, 0, vcc
	v_add_co_u32_e32 v22, vcc, 2, v12
	v_mul_lo_u32 v5, s2, v10
	v_addc_co_u32_e64 v23, s[24:25], 0, 0, vcc
	v_add_co_u32_e32 v24, vcc, 1, v12
	v_lshlrev_b32_e32 v5, 2, v5
	v_lshlrev_b32_e32 v26, 2, v12
	s_movk_i32 s13, 0x100
	v_mov_b32_e32 v11, 0
	v_addc_co_u32_e64 v25, s[24:25], 0, 0, vcc
	v_add3_u32 v5, v5, v26, s13
	s_mul_i32 s13, s2, s7
	v_mov_b32_e32 v13, v11
	s_lshl_b32 s13, s13, 2
	s_mov_b64 s[24:25], 0
	v_mov_b32_e32 v37, s7
	s_mov_b64 s[26:27], src_shared_base
	s_branch .LBB34_30
.LBB34_28:                              ;   in Loop: Header=BB34_30 Depth=1
	s_or_b64 exec, exec, s[30:31]
	v_mov_b32_e32 v27, s27
	flat_load_dword v26, v[26:27] glc
	s_waitcnt vmcnt(0)
.LBB34_29:                              ;   in Loop: Header=BB34_30 Depth=1
	s_or_b64 exec, exec, s[28:29]
	s_add_u32 s24, s24, 1
	s_addc_u32 s25, s25, 0
	s_cmp_eq_u64 s[24:25], s[22:23]
	v_add_u32_e32 v5, s13, v5
	s_cbranch_scc1 .LBB34_48
.LBB34_30:                              ; =>This Loop Header: Depth=1
                                        ;     Child Loop BB34_33 Depth 2
	v_mad_u64_u32 v[30:31], s[28:29], s24, v37, v[10:11]
	s_mul_i32 s26, s25, s7
	v_add_u32_e32 v31, s26, v31
	v_cmp_gt_i64_e32 vcc, s[16:17], v[30:31]
	s_and_saveexec_b64 s[28:29], vcc
	s_cbranch_execz .LBB34_29
; %bb.31:                               ;   in Loop: Header=BB34_30 Depth=1
	v_pk_mov_b32 v[32:33], s[2:3], s[2:3] op_sel:[0,1]
	v_mul_lo_u32 v29, v31, s2
	v_mul_lo_u32 v38, v30, s3
	v_mad_u64_u32 v[32:33], s[30:31], v30, s2, v[32:33]
	v_add3_u32 v33, v29, v33, v38
	v_mov_b32_e32 v28, s21
	v_cmp_gt_i64_e32 vcc, s[20:21], v[32:33]
	s_waitcnt lgkmcnt(0)
	v_mad_u64_u32 v[26:27], s[30:31], v30, s2, v[12:13]
	v_cndmask_b32_e32 v33, v28, v33, vcc
	v_mov_b32_e32 v28, s20
	v_add3_u32 v27, v29, v27, v38
	v_cndmask_b32_e32 v32, v28, v32, vcc
	v_add_co_u32_e32 v34, vcc, 64, v26
	v_addc_co_u32_e32 v35, vcc, 0, v27, vcc
	v_cmp_lt_i64_e32 vcc, v[34:35], v[32:33]
	v_lshlrev_b32_e32 v28, 2, v26
	s_and_saveexec_b64 s[30:31], vcc
	s_cbranch_execz .LBB34_34
; %bb.32:                               ;   in Loop: Header=BB34_30 Depth=1
	ds_read_b32 v31, v28
	s_mov_b64 s[34:35], 0
	v_mov_b32_e32 v27, v5
.LBB34_33:                              ;   Parent Loop BB34_30 Depth=1
                                        ; =>  This Inner Loop Header: Depth=2
	ds_read_b32 v39, v27
	v_add_co_u32_e32 v34, vcc, 64, v34
	v_addc_co_u32_e32 v35, vcc, 0, v35, vcc
	s_waitcnt lgkmcnt(1)
	v_max_f32_e32 v31, v31, v31
	v_cmp_ge_i64_e32 vcc, v[34:35], v[32:33]
	s_waitcnt lgkmcnt(0)
	v_max_f32_e32 v39, v39, v39
	v_add_u32_e32 v27, 0x100, v27
	s_or_b64 s[34:35], vcc, s[34:35]
	v_max_f32_e32 v31, v31, v39
	ds_write_b32 v28, v31
	s_andn2_b64 exec, exec, s[34:35]
	s_cbranch_execnz .LBB34_33
.LBB34_34:                              ;   in Loop: Header=BB34_30 Depth=1
	s_or_b64 exec, exec, s[30:31]
	v_mad_u64_u32 v[30:31], s[30:31], v30, s2, 0
	v_add3_u32 v27, v31, v38, v29
	v_sub_co_u32_e32 v30, vcc, v32, v30
	v_subb_co_u32_e32 v31, vcc, v33, v27, vcc
	v_cmp_gt_i64_e32 vcc, 64, v[30:31]
	v_cndmask_b32_e32 v31, 0, v31, vcc
	v_cndmask_b32_e32 v30, 64, v30, vcc
	v_cmp_lt_i64_e32 vcc, v[14:15], v[30:31]
	s_and_saveexec_b64 s[30:31], vcc
	s_cbranch_execnz .LBB34_46
; %bb.35:                               ;   in Loop: Header=BB34_30 Depth=1
	s_or_b64 exec, exec, s[30:31]
	v_cmp_lt_i64_e32 vcc, v[16:17], v[30:31]
	s_and_saveexec_b64 s[30:31], vcc
	s_cbranch_execnz .LBB34_47
.LBB34_36:                              ;   in Loop: Header=BB34_30 Depth=1
	s_or_b64 exec, exec, s[30:31]
	v_cmp_lt_i64_e32 vcc, v[18:19], v[30:31]
	s_and_saveexec_b64 s[30:31], vcc
	s_cbranch_execz .LBB34_38
.LBB34_37:                              ;   in Loop: Header=BB34_30 Depth=1
	v_mov_b32_e32 v29, s27
	v_add_u32_e32 v32, 32, v28
	v_mov_b32_e32 v33, s27
	flat_load_dword v27, v[28:29] glc
	s_waitcnt vmcnt(0)
	flat_load_dword v34, v[32:33] glc
	s_waitcnt vmcnt(0) lgkmcnt(0)
	v_max_f32_e32 v27, v27, v27
	v_max_f32_e32 v32, v34, v34
	;; [unrolled: 1-line block ×3, first 2 shown]
	flat_store_dword v[28:29], v27
	s_waitcnt vmcnt(0)
.LBB34_38:                              ;   in Loop: Header=BB34_30 Depth=1
	s_or_b64 exec, exec, s[30:31]
	v_cmp_ge_i64_e32 vcc, v[20:21], v[30:31]
	s_and_saveexec_b64 s[30:31], vcc
	s_xor_b64 s[30:31], exec, s[30:31]
; %bb.39:                               ;   in Loop: Header=BB34_30 Depth=1
                                        ; implicit-def: $vgpr28
; %bb.40:                               ;   in Loop: Header=BB34_30 Depth=1
	s_andn2_saveexec_b64 s[30:31], s[30:31]
	s_cbranch_execz .LBB34_42
; %bb.41:                               ;   in Loop: Header=BB34_30 Depth=1
	v_mov_b32_e32 v29, s27
	v_add_u32_e32 v32, 16, v28
	v_mov_b32_e32 v33, s27
	flat_load_dword v27, v[28:29] glc
	s_waitcnt vmcnt(0)
	flat_load_dword v34, v[32:33] glc
	s_waitcnt vmcnt(0) lgkmcnt(0)
	v_max_f32_e32 v27, v27, v27
	v_max_f32_e32 v32, v34, v34
	;; [unrolled: 1-line block ×3, first 2 shown]
	flat_store_dword v[28:29], v27
	s_waitcnt vmcnt(0)
.LBB34_42:                              ;   in Loop: Header=BB34_30 Depth=1
	s_or_b64 exec, exec, s[30:31]
	v_cmp_lt_i64_e32 vcc, v[22:23], v[30:31]
	v_lshlrev_b32_e32 v26, 2, v26
	s_and_saveexec_b64 s[30:31], vcc
	s_cbranch_execz .LBB34_44
; %bb.43:                               ;   in Loop: Header=BB34_30 Depth=1
	v_mov_b32_e32 v27, s27
	v_add_u32_e32 v28, 8, v26
	v_mov_b32_e32 v29, s27
	flat_load_dword v32, v[26:27] glc
	s_waitcnt vmcnt(0)
	flat_load_dword v33, v[28:29] glc
	s_waitcnt vmcnt(0) lgkmcnt(0)
	v_max_f32_e32 v28, v32, v32
	v_max_f32_e32 v29, v33, v33
	;; [unrolled: 1-line block ×3, first 2 shown]
	flat_store_dword v[26:27], v28
	s_waitcnt vmcnt(0)
.LBB34_44:                              ;   in Loop: Header=BB34_30 Depth=1
	s_or_b64 exec, exec, s[30:31]
	v_cmp_lt_i64_e32 vcc, v[24:25], v[30:31]
	s_and_saveexec_b64 s[30:31], vcc
	s_cbranch_execz .LBB34_28
; %bb.45:                               ;   in Loop: Header=BB34_30 Depth=1
	v_mov_b32_e32 v27, s27
	v_add_u32_e32 v28, 4, v26
	v_mov_b32_e32 v29, s27
	flat_load_dword v30, v[26:27] glc
	s_waitcnt vmcnt(0)
	flat_load_dword v31, v[28:29] glc
	s_waitcnt vmcnt(0) lgkmcnt(0)
	v_max_f32_e32 v28, v30, v30
	v_max_f32_e32 v29, v31, v31
	;; [unrolled: 1-line block ×3, first 2 shown]
	flat_store_dword v[26:27], v28
	s_waitcnt vmcnt(0)
	s_branch .LBB34_28
.LBB34_46:                              ;   in Loop: Header=BB34_30 Depth=1
	v_mov_b32_e32 v29, s27
	v_add_u32_e32 v32, 0x80, v28
	v_mov_b32_e32 v33, s27
	flat_load_dword v27, v[28:29] glc
	s_waitcnt vmcnt(0)
	flat_load_dword v34, v[32:33] glc
	s_waitcnt vmcnt(0) lgkmcnt(0)
	v_max_f32_e32 v27, v27, v27
	v_max_f32_e32 v32, v34, v34
	;; [unrolled: 1-line block ×3, first 2 shown]
	flat_store_dword v[28:29], v27
	s_waitcnt vmcnt(0)
	s_or_b64 exec, exec, s[30:31]
	v_cmp_lt_i64_e32 vcc, v[16:17], v[30:31]
	s_and_saveexec_b64 s[30:31], vcc
	s_cbranch_execz .LBB34_36
.LBB34_47:                              ;   in Loop: Header=BB34_30 Depth=1
	v_mov_b32_e32 v29, s27
	v_add_u32_e32 v32, 64, v28
	v_mov_b32_e32 v33, s27
	flat_load_dword v27, v[28:29] glc
	s_waitcnt vmcnt(0)
	flat_load_dword v34, v[32:33] glc
	s_waitcnt vmcnt(0) lgkmcnt(0)
	v_max_f32_e32 v27, v27, v27
	v_max_f32_e32 v32, v34, v34
	;; [unrolled: 1-line block ×3, first 2 shown]
	flat_store_dword v[28:29], v27
	s_waitcnt vmcnt(0)
	s_or_b64 exec, exec, s[30:31]
	v_cmp_lt_i64_e32 vcc, v[18:19], v[30:31]
	s_and_saveexec_b64 s[30:31], vcc
	s_cbranch_execnz .LBB34_37
	s_branch .LBB34_38
.LBB34_48:
	v_cmp_eq_u32_e32 vcc, 0, v4
	v_cmp_lt_i64_e64 s[2:3], v[6:7], v[8:9]
	s_and_b64 s[22:23], vcc, s[2:3]
	s_mul_i32 s17, s17, s6
	s_mul_hi_u32 s21, s16, s6
	s_mul_i32 s2, s16, s6
	s_waitcnt lgkmcnt(0)
	s_barrier
	s_and_saveexec_b64 s[6:7], s[22:23]
	s_cbranch_execz .LBB34_52
; %bb.49:
	s_load_dwordx2 s[4:5], s[4:5], 0x20
	ds_read_b32 v1, v1
	s_waitcnt lgkmcnt(0)
	s_cmp_eq_u64 s[4:5], 0
	s_cbranch_scc1 .LBB34_51
; %bb.50:
	s_load_dword s3, s[4:5], 0x0
	v_max_f32_e32 v1, v1, v1
	s_waitcnt lgkmcnt(0)
	v_max_f32_e64 v4, s3, s3
	v_min_f32_e32 v1, v1, v4
.LBB34_51:
	s_mov_b32 s3, 0x43600000
	v_div_scale_f32 v4, s[4:5], s3, s3, v1
	v_rcp_f32_e32 v5, v4
	v_div_scale_f32 v6, vcc, v1, s3, v1
	v_lshlrev_b64 v[2:3], 2, v[2:3]
	v_fma_f32 v7, -v4, v5, 1.0
	v_fmac_f32_e32 v5, v7, v5
	v_mul_f32_e32 v7, v6, v5
	v_fma_f32 v8, -v4, v7, v6
	v_fmac_f32_e32 v7, v8, v5
	v_fma_f32 v4, -v4, v7, v6
	v_div_fmas_f32 v4, v4, v5, v7
	v_div_fixup_f32 v1, v4, s3, v1
	s_add_i32 s3, s21, s17
	s_lshl_b64 s[4:5], s[2:3], 2
	s_add_u32 s3, s10, s4
	s_addc_u32 s4, s11, s5
	v_mov_b32_e32 v4, s4
	v_add_co_u32_e32 v2, vcc, s3, v2
	v_max_f32_e32 v1, 0x37124925, v1
	v_addc_co_u32_e32 v3, vcc, v4, v3, vcc
	global_store_dword v[2:3], v1, off
.LBB34_52:
	s_or_b64 exec, exec, s[6:7]
	s_barrier
	s_and_saveexec_b64 s[4:5], s[0:1]
	s_cbranch_execz .LBB34_189
; %bb.53:
	s_add_u32 s13, s8, s18
	s_addc_u32 s20, s9, s19
	s_add_i32 s3, s21, s17
	s_lshl_b64 s[0:1], s[2:3], 2
	s_add_u32 s0, s10, s0
	s_addc_u32 s1, s11, s1
	s_mul_i32 s21, s47, 3
	s_lshl_b32 s22, s47, 1
	s_mov_b64 s[2:3], 0
	v_mov_b32_e32 v1, 0
	v_mov_b32_e32 v14, s44
	;; [unrolled: 1-line block ×4, first 2 shown]
	s_mov_b32 s23, 0x43800000
	s_mov_b32 s24, 0x3bffffff
	;; [unrolled: 1-line block ×4, first 2 shown]
	s_movk_i32 s27, 0x80
	s_mov_b32 s28, 0x4020c0c
	s_branch .LBB34_59
.LBB34_54:                              ;   in Loop: Header=BB34_59 Depth=1
	s_or_b64 exec, exec, s[18:19]
.LBB34_55:                              ;   in Loop: Header=BB34_59 Depth=1
	s_or_b64 exec, exec, s[10:11]
	v_lshlrev_b64 v[6:7], 2, v[0:1]
	v_mov_b32_e32 v0, s20
	v_add_co_u32_e32 v6, vcc, s13, v6
	v_addc_co_u32_e32 v7, vcc, v0, v7, vcc
	v_lshlrev_b32_e32 v0, 16, v4
	v_perm_b32 v0, v3, v0, s28
	v_lshlrev_b32_e32 v3, 8, v11
	v_and_b32_e32 v3, 0xff00, v3
	v_and_b32_e32 v2, 0xff, v2
	s_add_i32 s10, s47, s47
	v_or3_b32 v0, v0, v3, v2
	s_add_i32 s10, s10, s47
	global_store_dword v[6:7], v0, off
	v_add_u32_e32 v0, s10, v10
	v_cmp_le_u32_e32 vcc, s12, v0
	s_orn2_b64 s[10:11], vcc, exec
.LBB34_56:                              ;   in Loop: Header=BB34_59 Depth=1
	s_or_b64 exec, exec, s[8:9]
	s_orn2_b64 s[8:9], s[10:11], exec
.LBB34_57:                              ;   in Loop: Header=BB34_59 Depth=1
	s_or_b64 exec, exec, s[6:7]
	s_orn2_b64 s[6:7], s[8:9], exec
.LBB34_58:                              ;   in Loop: Header=BB34_59 Depth=1
	s_or_b64 exec, exec, s[4:5]
	s_and_b64 s[4:5], exec, s[6:7]
	s_or_b64 s[2:3], s[4:5], s[2:3]
	s_andn2_b64 exec, exec, s[2:3]
	s_cbranch_execz .LBB34_189
.LBB34_59:                              ; =>This Inner Loop Header: Depth=1
	v_lshlrev_b64 v[2:3], 4, v[0:1]
	v_add_co_u32_e32 v4, vcc, s33, v2
	v_addc_co_u32_e32 v5, vcc, v14, v3, vcc
	v_add_co_u32_e32 v12, vcc, s45, v2
	v_addc_co_u32_e32 v13, vcc, v16, v3, vcc
	global_load_dwordx4 v[6:9], v[4:5], off
	global_load_dwordx4 v[18:21], v[12:13], off
	v_add_co_u32_e32 v2, vcc, s14, v2
	v_addc_co_u32_e32 v3, vcc, v15, v3, vcc
	v_lshrrev_b32_e32 v10, 2, v0
	global_load_dwordx4 v[2:5], v[2:3], off
	v_and_b32_e32 v10, 0xffffffc, v10
	global_load_dword v11, v10, s[0:1]
	v_mov_b32_e32 v10, 0x80
	s_waitcnt vmcnt(2)
	v_pk_add_f32 v[6:7], v[6:7], v[18:19]
	v_mul_f32_e32 v17, v36, v6
	v_pk_add_f32 v[8:9], v[8:9], v[20:21]
	global_store_dwordx4 v[12:13], v[6:9], off
	s_waitcnt vmcnt(2)
	v_mul_f32_e32 v2, v2, v17
	s_waitcnt vmcnt(1)
	v_div_scale_f32 v17, s[4:5], v11, v11, v2
	v_rcp_f32_e32 v18, v17
	v_div_scale_f32 v6, vcc, v2, v11, v2
	v_fma_f32 v12, -v17, v18, 1.0
	v_fmac_f32_e32 v18, v12, v18
	v_mul_f32_e32 v12, v6, v18
	v_fma_f32 v13, -v17, v12, v6
	v_fmac_f32_e32 v12, v13, v18
	v_fma_f32 v6, -v17, v12, v6
	v_div_fmas_f32 v6, v6, v18, v12
	v_div_fixup_f32 v2, v6, v11, v2
	v_min_f32_e32 v2, 0x43600000, v2
	v_max_f32_e32 v6, 0xc3600000, v2
	v_and_b32_e32 v12, 0x7fffffff, v6
	v_cmp_gt_u32_e32 vcc, s23, v12
	v_mov_b32_e32 v2, 0x80
	s_and_saveexec_b64 s[4:5], vcc
	s_cbranch_execz .LBB34_65
; %bb.60:                               ;   in Loop: Header=BB34_59 Depth=1
	v_cmp_lt_u32_e32 vcc, s24, v12
	s_mov_b64 s[6:7], 0
                                        ; implicit-def: $vgpr12
	s_and_saveexec_b64 s[8:9], vcc
	s_xor_b64 s[8:9], exec, s[8:9]
	s_cbranch_execnz .LBB34_156
; %bb.61:                               ;   in Loop: Header=BB34_59 Depth=1
	s_or_saveexec_b64 s[8:9], s[8:9]
                                        ; implicit-def: $sgpr10
	s_xor_b64 exec, exec, s[8:9]
	s_cbranch_execnz .LBB34_157
.LBB34_62:                              ;   in Loop: Header=BB34_59 Depth=1
	s_or_b64 exec, exec, s[8:9]
	v_mov_b32_e32 v2, s10
	s_and_saveexec_b64 s[8:9], s[6:7]
.LBB34_63:                              ;   in Loop: Header=BB34_59 Depth=1
	v_lshrrev_b32_e32 v2, 24, v6
	v_and_or_b32 v2, v2, s27, v12
.LBB34_64:                              ;   in Loop: Header=BB34_59 Depth=1
	s_or_b64 exec, exec, s[8:9]
.LBB34_65:                              ;   in Loop: Header=BB34_59 Depth=1
	s_or_b64 exec, exec, s[4:5]
	v_mul_f32_e32 v6, v36, v7
	v_mul_f32_e32 v3, v3, v6
	v_div_scale_f32 v6, s[4:5], v11, v11, v3
	v_rcp_f32_e32 v7, v6
	v_div_scale_f32 v12, vcc, v3, v11, v3
	v_fma_f32 v13, -v6, v7, 1.0
	v_fmac_f32_e32 v7, v13, v7
	v_mul_f32_e32 v13, v12, v7
	v_fma_f32 v17, -v6, v13, v12
	v_fmac_f32_e32 v13, v17, v7
	v_fma_f32 v6, -v6, v13, v12
	v_div_fmas_f32 v6, v6, v7, v13
	v_div_fixup_f32 v3, v6, v11, v3
	v_min_f32_e32 v3, 0x43600000, v3
	v_max_f32_e32 v3, 0xc3600000, v3
	v_and_b32_e32 v6, 0x7fffffff, v3
	v_cmp_gt_u32_e32 vcc, s23, v6
	s_and_saveexec_b64 s[4:5], vcc
	s_cbranch_execz .LBB34_71
; %bb.66:                               ;   in Loop: Header=BB34_59 Depth=1
	v_cmp_lt_u32_e32 vcc, s24, v6
	s_mov_b64 s[6:7], 0
                                        ; implicit-def: $vgpr6
	s_and_saveexec_b64 s[8:9], vcc
	s_xor_b64 s[8:9], exec, s[8:9]
	s_cbranch_execnz .LBB34_158
; %bb.67:                               ;   in Loop: Header=BB34_59 Depth=1
	s_or_saveexec_b64 s[8:9], s[8:9]
                                        ; implicit-def: $sgpr10
	s_xor_b64 exec, exec, s[8:9]
	s_cbranch_execnz .LBB34_159
.LBB34_68:                              ;   in Loop: Header=BB34_59 Depth=1
	s_or_b64 exec, exec, s[8:9]
	v_mov_b32_e32 v10, s10
	s_and_saveexec_b64 s[8:9], s[6:7]
.LBB34_69:                              ;   in Loop: Header=BB34_59 Depth=1
	v_lshrrev_b32_e32 v3, 24, v3
	v_and_or_b32 v10, v3, s27, v6
.LBB34_70:                              ;   in Loop: Header=BB34_59 Depth=1
	s_or_b64 exec, exec, s[8:9]
.LBB34_71:                              ;   in Loop: Header=BB34_59 Depth=1
	s_or_b64 exec, exec, s[4:5]
	v_mul_f32_e32 v3, v36, v8
	v_mul_f32_e32 v3, v4, v3
	v_div_scale_f32 v4, s[4:5], v11, v11, v3
	v_rcp_f32_e32 v6, v4
	v_div_scale_f32 v7, vcc, v3, v11, v3
	v_fma_f32 v8, -v4, v6, 1.0
	v_fmac_f32_e32 v6, v8, v6
	v_mul_f32_e32 v8, v7, v6
	v_fma_f32 v12, -v4, v8, v7
	v_fmac_f32_e32 v8, v12, v6
	v_fma_f32 v4, -v4, v8, v7
	v_div_fmas_f32 v4, v4, v6, v8
	v_div_fixup_f32 v3, v4, v11, v3
	v_min_f32_e32 v3, 0x43600000, v3
	v_max_f32_e32 v6, 0xc3600000, v3
	v_and_b32_e32 v7, 0x7fffffff, v6
	v_cmp_gt_u32_e32 vcc, s23, v7
	v_mov_b32_e32 v3, 0x80
	v_mov_b32_e32 v4, 0x80
	s_and_saveexec_b64 s[4:5], vcc
	s_cbranch_execz .LBB34_77
; %bb.72:                               ;   in Loop: Header=BB34_59 Depth=1
	v_cmp_lt_u32_e32 vcc, s24, v7
	s_mov_b64 s[6:7], 0
                                        ; implicit-def: $vgpr7
	s_and_saveexec_b64 s[8:9], vcc
	s_xor_b64 s[8:9], exec, s[8:9]
	s_cbranch_execnz .LBB34_160
; %bb.73:                               ;   in Loop: Header=BB34_59 Depth=1
	s_or_saveexec_b64 s[8:9], s[8:9]
                                        ; implicit-def: $sgpr10
	s_xor_b64 exec, exec, s[8:9]
	s_cbranch_execnz .LBB34_161
.LBB34_74:                              ;   in Loop: Header=BB34_59 Depth=1
	s_or_b64 exec, exec, s[8:9]
	v_mov_b32_e32 v4, s10
	s_and_saveexec_b64 s[8:9], s[6:7]
.LBB34_75:                              ;   in Loop: Header=BB34_59 Depth=1
	v_lshrrev_b32_e32 v4, 24, v6
	v_and_or_b32 v4, v4, s27, v7
.LBB34_76:                              ;   in Loop: Header=BB34_59 Depth=1
	s_or_b64 exec, exec, s[8:9]
.LBB34_77:                              ;   in Loop: Header=BB34_59 Depth=1
	s_or_b64 exec, exec, s[4:5]
	v_mul_f32_e32 v6, v36, v9
	v_mul_f32_e32 v5, v5, v6
	v_div_scale_f32 v6, s[4:5], v11, v11, v5
	v_rcp_f32_e32 v7, v6
	v_div_scale_f32 v8, vcc, v5, v11, v5
	v_fma_f32 v9, -v6, v7, 1.0
	v_fmac_f32_e32 v7, v9, v7
	v_mul_f32_e32 v9, v8, v7
	v_fma_f32 v12, -v6, v9, v8
	v_fmac_f32_e32 v9, v12, v7
	v_fma_f32 v6, -v6, v9, v8
	v_div_fmas_f32 v6, v6, v7, v9
	v_div_fixup_f32 v5, v6, v11, v5
	v_min_f32_e32 v5, 0x43600000, v5
	v_max_f32_e32 v5, 0xc3600000, v5
	v_and_b32_e32 v6, 0x7fffffff, v5
	v_cmp_gt_u32_e32 vcc, s23, v6
	s_and_saveexec_b64 s[4:5], vcc
	s_cbranch_execz .LBB34_83
; %bb.78:                               ;   in Loop: Header=BB34_59 Depth=1
	v_cmp_lt_u32_e32 vcc, s24, v6
	s_mov_b64 s[6:7], 0
                                        ; implicit-def: $vgpr6
	s_and_saveexec_b64 s[8:9], vcc
	s_xor_b64 s[8:9], exec, s[8:9]
	s_cbranch_execnz .LBB34_162
; %bb.79:                               ;   in Loop: Header=BB34_59 Depth=1
	s_or_saveexec_b64 s[8:9], s[8:9]
                                        ; implicit-def: $sgpr10
	s_xor_b64 exec, exec, s[8:9]
	s_cbranch_execnz .LBB34_163
.LBB34_80:                              ;   in Loop: Header=BB34_59 Depth=1
	s_or_b64 exec, exec, s[8:9]
	v_mov_b32_e32 v3, s10
	s_and_saveexec_b64 s[8:9], s[6:7]
.LBB34_81:                              ;   in Loop: Header=BB34_59 Depth=1
	v_lshrrev_b32_e32 v3, 24, v5
	v_and_or_b32 v3, v3, s27, v6
.LBB34_82:                              ;   in Loop: Header=BB34_59 Depth=1
	s_or_b64 exec, exec, s[8:9]
.LBB34_83:                              ;   in Loop: Header=BB34_59 Depth=1
	s_or_b64 exec, exec, s[4:5]
	v_lshlrev_b64 v[6:7], 2, v[0:1]
	v_lshlrev_b32_e32 v4, 16, v4
	v_mov_b32_e32 v5, s20
	v_add_co_u32_e32 v6, vcc, s13, v6
	v_perm_b32 v3, v3, v4, s28
	v_lshlrev_b32_e32 v4, 8, v10
	v_addc_co_u32_e32 v7, vcc, v5, v7, vcc
	v_and_b32_e32 v4, 0xff00, v4
	v_and_b32_e32 v2, 0xff, v2
	v_add_u32_e32 v10, s47, v0
	v_or3_b32 v2, v3, v4, v2
	v_cmp_gt_u32_e32 vcc, s12, v10
	s_mov_b64 s[6:7], -1
	global_store_dword v[6:7], v2, off
	s_and_saveexec_b64 s[4:5], vcc
	s_cbranch_execz .LBB34_58
; %bb.84:                               ;   in Loop: Header=BB34_59 Depth=1
	v_mov_b32_e32 v11, v1
	v_lshlrev_b64 v[2:3], 4, v[10:11]
	v_mov_b32_e32 v5, s44
	v_add_co_u32_e32 v4, vcc, s33, v2
	v_addc_co_u32_e32 v5, vcc, v5, v3, vcc
	v_mov_b32_e32 v6, s46
	v_add_co_u32_e32 v22, vcc, s45, v2
	v_addc_co_u32_e32 v23, vcc, v6, v3, vcc
	v_mov_b32_e32 v12, s15
	global_load_dwordx4 v[6:9], v[4:5], off
	global_load_dwordx4 v[18:21], v[22:23], off
	v_add_co_u32_e32 v2, vcc, s14, v2
	v_addc_co_u32_e32 v3, vcc, v12, v3, vcc
	v_lshrrev_b32_e32 v12, 2, v10
	global_load_dwordx4 v[2:5], v[2:3], off
	v_and_b32_e32 v12, 0xffffffc, v12
	global_load_dword v13, v12, s[0:1]
	v_mov_b32_e32 v12, 0x80
	s_waitcnt vmcnt(2)
	v_pk_add_f32 v[6:7], v[6:7], v[18:19]
	v_mul_f32_e32 v17, v36, v6
	v_pk_add_f32 v[8:9], v[8:9], v[20:21]
	global_store_dwordx4 v[22:23], v[6:9], off
	s_waitcnt vmcnt(2)
	v_mul_f32_e32 v2, v2, v17
	s_waitcnt vmcnt(1)
	v_div_scale_f32 v17, s[6:7], v13, v13, v2
	v_rcp_f32_e32 v18, v17
	v_div_scale_f32 v6, vcc, v2, v13, v2
	v_fma_f32 v19, -v17, v18, 1.0
	v_fmac_f32_e32 v18, v19, v18
	v_mul_f32_e32 v19, v6, v18
	v_fma_f32 v20, -v17, v19, v6
	v_fmac_f32_e32 v19, v20, v18
	v_fma_f32 v6, -v17, v19, v6
	v_div_fmas_f32 v6, v6, v18, v19
	v_div_fixup_f32 v2, v6, v13, v2
	v_min_f32_e32 v2, 0x43600000, v2
	v_max_f32_e32 v6, 0xc3600000, v2
	v_and_b32_e32 v17, 0x7fffffff, v6
	v_cmp_gt_u32_e32 vcc, s23, v17
	v_mov_b32_e32 v2, 0x80
	s_and_saveexec_b64 s[6:7], vcc
	s_cbranch_execz .LBB34_90
; %bb.85:                               ;   in Loop: Header=BB34_59 Depth=1
	v_cmp_lt_u32_e32 vcc, s24, v17
	s_mov_b64 s[8:9], 0
                                        ; implicit-def: $vgpr17
	s_and_saveexec_b64 s[10:11], vcc
	s_xor_b64 s[10:11], exec, s[10:11]
	s_cbranch_execnz .LBB34_164
; %bb.86:                               ;   in Loop: Header=BB34_59 Depth=1
	s_or_saveexec_b64 s[10:11], s[10:11]
                                        ; implicit-def: $sgpr16
	s_xor_b64 exec, exec, s[10:11]
	s_cbranch_execnz .LBB34_165
.LBB34_87:                              ;   in Loop: Header=BB34_59 Depth=1
	s_or_b64 exec, exec, s[10:11]
	v_mov_b32_e32 v2, s16
	s_and_saveexec_b64 s[10:11], s[8:9]
.LBB34_88:                              ;   in Loop: Header=BB34_59 Depth=1
	v_lshrrev_b32_e32 v2, 24, v6
	v_and_or_b32 v2, v2, s27, v17
.LBB34_89:                              ;   in Loop: Header=BB34_59 Depth=1
	s_or_b64 exec, exec, s[10:11]
.LBB34_90:                              ;   in Loop: Header=BB34_59 Depth=1
	s_or_b64 exec, exec, s[6:7]
	v_mul_f32_e32 v6, v36, v7
	v_mul_f32_e32 v3, v3, v6
	v_div_scale_f32 v6, s[6:7], v13, v13, v3
	v_rcp_f32_e32 v7, v6
	v_div_scale_f32 v17, vcc, v3, v13, v3
	v_fma_f32 v18, -v6, v7, 1.0
	v_fmac_f32_e32 v7, v18, v7
	v_mul_f32_e32 v18, v17, v7
	v_fma_f32 v19, -v6, v18, v17
	v_fmac_f32_e32 v18, v19, v7
	v_fma_f32 v6, -v6, v18, v17
	v_div_fmas_f32 v6, v6, v7, v18
	v_div_fixup_f32 v3, v6, v13, v3
	v_min_f32_e32 v3, 0x43600000, v3
	v_max_f32_e32 v3, 0xc3600000, v3
	v_and_b32_e32 v6, 0x7fffffff, v3
	v_cmp_gt_u32_e32 vcc, s23, v6
	s_and_saveexec_b64 s[6:7], vcc
	s_cbranch_execz .LBB34_96
; %bb.91:                               ;   in Loop: Header=BB34_59 Depth=1
	v_cmp_lt_u32_e32 vcc, s24, v6
	s_mov_b64 s[8:9], 0
                                        ; implicit-def: $vgpr6
	s_and_saveexec_b64 s[10:11], vcc
	s_xor_b64 s[10:11], exec, s[10:11]
	s_cbranch_execnz .LBB34_166
; %bb.92:                               ;   in Loop: Header=BB34_59 Depth=1
	s_or_saveexec_b64 s[10:11], s[10:11]
                                        ; implicit-def: $sgpr16
	s_xor_b64 exec, exec, s[10:11]
	s_cbranch_execnz .LBB34_167
.LBB34_93:                              ;   in Loop: Header=BB34_59 Depth=1
	s_or_b64 exec, exec, s[10:11]
	v_mov_b32_e32 v12, s16
	s_and_saveexec_b64 s[10:11], s[8:9]
.LBB34_94:                              ;   in Loop: Header=BB34_59 Depth=1
	v_lshrrev_b32_e32 v3, 24, v3
	v_and_or_b32 v12, v3, s27, v6
.LBB34_95:                              ;   in Loop: Header=BB34_59 Depth=1
	s_or_b64 exec, exec, s[10:11]
.LBB34_96:                              ;   in Loop: Header=BB34_59 Depth=1
	s_or_b64 exec, exec, s[6:7]
	v_mul_f32_e32 v3, v36, v8
	v_mul_f32_e32 v3, v4, v3
	v_div_scale_f32 v4, s[6:7], v13, v13, v3
	v_rcp_f32_e32 v6, v4
	v_div_scale_f32 v7, vcc, v3, v13, v3
	v_fma_f32 v8, -v4, v6, 1.0
	v_fmac_f32_e32 v6, v8, v6
	v_mul_f32_e32 v8, v7, v6
	v_fma_f32 v17, -v4, v8, v7
	v_fmac_f32_e32 v8, v17, v6
	v_fma_f32 v4, -v4, v8, v7
	v_div_fmas_f32 v4, v4, v6, v8
	v_div_fixup_f32 v3, v4, v13, v3
	v_min_f32_e32 v3, 0x43600000, v3
	v_max_f32_e32 v6, 0xc3600000, v3
	v_and_b32_e32 v7, 0x7fffffff, v6
	v_cmp_gt_u32_e32 vcc, s23, v7
	v_mov_b32_e32 v3, 0x80
	v_mov_b32_e32 v4, 0x80
	s_and_saveexec_b64 s[6:7], vcc
	s_cbranch_execz .LBB34_102
; %bb.97:                               ;   in Loop: Header=BB34_59 Depth=1
	v_cmp_lt_u32_e32 vcc, s24, v7
	s_mov_b64 s[8:9], 0
                                        ; implicit-def: $vgpr7
	s_and_saveexec_b64 s[10:11], vcc
	s_xor_b64 s[10:11], exec, s[10:11]
	s_cbranch_execnz .LBB34_168
; %bb.98:                               ;   in Loop: Header=BB34_59 Depth=1
	s_or_saveexec_b64 s[10:11], s[10:11]
                                        ; implicit-def: $sgpr16
	s_xor_b64 exec, exec, s[10:11]
	s_cbranch_execnz .LBB34_169
.LBB34_99:                              ;   in Loop: Header=BB34_59 Depth=1
	s_or_b64 exec, exec, s[10:11]
	v_mov_b32_e32 v4, s16
	s_and_saveexec_b64 s[10:11], s[8:9]
.LBB34_100:                             ;   in Loop: Header=BB34_59 Depth=1
	v_lshrrev_b32_e32 v4, 24, v6
	v_and_or_b32 v4, v4, s27, v7
.LBB34_101:                             ;   in Loop: Header=BB34_59 Depth=1
	s_or_b64 exec, exec, s[10:11]
.LBB34_102:                             ;   in Loop: Header=BB34_59 Depth=1
	s_or_b64 exec, exec, s[6:7]
	v_mul_f32_e32 v6, v36, v9
	v_mul_f32_e32 v5, v5, v6
	v_div_scale_f32 v6, s[6:7], v13, v13, v5
	v_rcp_f32_e32 v7, v6
	v_div_scale_f32 v8, vcc, v5, v13, v5
	v_fma_f32 v9, -v6, v7, 1.0
	v_fmac_f32_e32 v7, v9, v7
	v_mul_f32_e32 v9, v8, v7
	v_fma_f32 v17, -v6, v9, v8
	v_fmac_f32_e32 v9, v17, v7
	v_fma_f32 v6, -v6, v9, v8
	v_div_fmas_f32 v6, v6, v7, v9
	v_div_fixup_f32 v5, v6, v13, v5
	v_min_f32_e32 v5, 0x43600000, v5
	v_max_f32_e32 v5, 0xc3600000, v5
	v_and_b32_e32 v6, 0x7fffffff, v5
	v_cmp_gt_u32_e32 vcc, s23, v6
	s_and_saveexec_b64 s[6:7], vcc
	s_cbranch_execz .LBB34_108
; %bb.103:                              ;   in Loop: Header=BB34_59 Depth=1
	v_cmp_lt_u32_e32 vcc, s24, v6
	s_mov_b64 s[8:9], 0
                                        ; implicit-def: $vgpr6
	s_and_saveexec_b64 s[10:11], vcc
	s_xor_b64 s[10:11], exec, s[10:11]
	s_cbranch_execnz .LBB34_170
; %bb.104:                              ;   in Loop: Header=BB34_59 Depth=1
	s_or_saveexec_b64 s[10:11], s[10:11]
                                        ; implicit-def: $sgpr16
	s_xor_b64 exec, exec, s[10:11]
	s_cbranch_execnz .LBB34_171
.LBB34_105:                             ;   in Loop: Header=BB34_59 Depth=1
	s_or_b64 exec, exec, s[10:11]
	v_mov_b32_e32 v3, s16
	s_and_saveexec_b64 s[10:11], s[8:9]
.LBB34_106:                             ;   in Loop: Header=BB34_59 Depth=1
	v_lshrrev_b32_e32 v3, 24, v5
	v_and_or_b32 v3, v3, s27, v6
.LBB34_107:                             ;   in Loop: Header=BB34_59 Depth=1
	s_or_b64 exec, exec, s[10:11]
.LBB34_108:                             ;   in Loop: Header=BB34_59 Depth=1
	s_or_b64 exec, exec, s[6:7]
	v_lshlrev_b64 v[6:7], 2, v[10:11]
	v_lshlrev_b32_e32 v4, 16, v4
	v_mov_b32_e32 v5, s20
	v_add_co_u32_e32 v6, vcc, s13, v6
	v_perm_b32 v3, v3, v4, s28
	v_lshlrev_b32_e32 v4, 8, v12
	v_addc_co_u32_e32 v7, vcc, v5, v7, vcc
	v_and_b32_e32 v4, 0xff00, v4
	v_and_b32_e32 v2, 0xff, v2
	v_add_u32_e32 v12, s22, v0
	v_or3_b32 v2, v3, v4, v2
	v_cmp_gt_u32_e32 vcc, s12, v12
	s_mov_b64 s[8:9], -1
	global_store_dword v[6:7], v2, off
	s_and_saveexec_b64 s[6:7], vcc
	s_cbranch_execz .LBB34_57
; %bb.109:                              ;   in Loop: Header=BB34_59 Depth=1
	v_mov_b32_e32 v13, v1
	v_lshlrev_b64 v[2:3], 4, v[12:13]
	v_mov_b32_e32 v5, s44
	v_add_co_u32_e32 v4, vcc, s33, v2
	v_addc_co_u32_e32 v5, vcc, v5, v3, vcc
	v_mov_b32_e32 v6, s46
	v_add_co_u32_e32 v22, vcc, s45, v2
	v_addc_co_u32_e32 v23, vcc, v6, v3, vcc
	v_mov_b32_e32 v11, s15
	global_load_dwordx4 v[6:9], v[4:5], off
	global_load_dwordx4 v[18:21], v[22:23], off
	v_add_co_u32_e32 v2, vcc, s14, v2
	v_addc_co_u32_e32 v3, vcc, v11, v3, vcc
	v_lshrrev_b32_e32 v11, 2, v12
	global_load_dwordx4 v[2:5], v[2:3], off
	v_and_b32_e32 v11, 0xffffffc, v11
	global_load_dword v17, v11, s[0:1]
	v_mov_b32_e32 v11, 0x80
	s_waitcnt vmcnt(2)
	v_pk_add_f32 v[6:7], v[6:7], v[18:19]
	v_mul_f32_e32 v18, v36, v6
	v_pk_add_f32 v[8:9], v[8:9], v[20:21]
	global_store_dwordx4 v[22:23], v[6:9], off
	s_waitcnt vmcnt(2)
	v_mul_f32_e32 v2, v2, v18
	s_waitcnt vmcnt(1)
	v_div_scale_f32 v18, s[8:9], v17, v17, v2
	v_rcp_f32_e32 v19, v18
	v_div_scale_f32 v6, vcc, v2, v17, v2
	v_fma_f32 v20, -v18, v19, 1.0
	v_fmac_f32_e32 v19, v20, v19
	v_mul_f32_e32 v20, v6, v19
	v_fma_f32 v21, -v18, v20, v6
	v_fmac_f32_e32 v20, v21, v19
	v_fma_f32 v6, -v18, v20, v6
	v_div_fmas_f32 v6, v6, v19, v20
	v_div_fixup_f32 v2, v6, v17, v2
	v_min_f32_e32 v2, 0x43600000, v2
	v_max_f32_e32 v6, 0xc3600000, v2
	v_and_b32_e32 v18, 0x7fffffff, v6
	v_cmp_gt_u32_e32 vcc, s23, v18
	v_mov_b32_e32 v2, 0x80
	s_and_saveexec_b64 s[8:9], vcc
	s_cbranch_execz .LBB34_115
; %bb.110:                              ;   in Loop: Header=BB34_59 Depth=1
	v_cmp_lt_u32_e32 vcc, s24, v18
	s_mov_b64 s[10:11], 0
                                        ; implicit-def: $vgpr18
	s_and_saveexec_b64 s[16:17], vcc
	s_xor_b64 s[16:17], exec, s[16:17]
	s_cbranch_execnz .LBB34_172
; %bb.111:                              ;   in Loop: Header=BB34_59 Depth=1
	s_or_saveexec_b64 s[16:17], s[16:17]
                                        ; implicit-def: $sgpr18
	s_xor_b64 exec, exec, s[16:17]
	s_cbranch_execnz .LBB34_173
.LBB34_112:                             ;   in Loop: Header=BB34_59 Depth=1
	s_or_b64 exec, exec, s[16:17]
	v_mov_b32_e32 v2, s18
	s_and_saveexec_b64 s[16:17], s[10:11]
.LBB34_113:                             ;   in Loop: Header=BB34_59 Depth=1
	v_lshrrev_b32_e32 v2, 24, v6
	v_and_or_b32 v2, v2, s27, v18
.LBB34_114:                             ;   in Loop: Header=BB34_59 Depth=1
	s_or_b64 exec, exec, s[16:17]
.LBB34_115:                             ;   in Loop: Header=BB34_59 Depth=1
	s_or_b64 exec, exec, s[8:9]
	v_mul_f32_e32 v6, v36, v7
	v_mul_f32_e32 v3, v3, v6
	v_div_scale_f32 v6, s[8:9], v17, v17, v3
	v_rcp_f32_e32 v7, v6
	v_div_scale_f32 v18, vcc, v3, v17, v3
	v_fma_f32 v19, -v6, v7, 1.0
	v_fmac_f32_e32 v7, v19, v7
	v_mul_f32_e32 v19, v18, v7
	v_fma_f32 v20, -v6, v19, v18
	v_fmac_f32_e32 v19, v20, v7
	v_fma_f32 v6, -v6, v19, v18
	v_div_fmas_f32 v6, v6, v7, v19
	v_div_fixup_f32 v3, v6, v17, v3
	v_min_f32_e32 v3, 0x43600000, v3
	v_max_f32_e32 v3, 0xc3600000, v3
	v_and_b32_e32 v6, 0x7fffffff, v3
	v_cmp_gt_u32_e32 vcc, s23, v6
	s_and_saveexec_b64 s[8:9], vcc
	s_cbranch_execz .LBB34_121
; %bb.116:                              ;   in Loop: Header=BB34_59 Depth=1
	v_cmp_lt_u32_e32 vcc, s24, v6
	s_mov_b64 s[10:11], 0
                                        ; implicit-def: $vgpr6
	s_and_saveexec_b64 s[16:17], vcc
	s_xor_b64 s[16:17], exec, s[16:17]
	s_cbranch_execnz .LBB34_174
; %bb.117:                              ;   in Loop: Header=BB34_59 Depth=1
	s_or_saveexec_b64 s[16:17], s[16:17]
                                        ; implicit-def: $sgpr18
	s_xor_b64 exec, exec, s[16:17]
	s_cbranch_execnz .LBB34_175
.LBB34_118:                             ;   in Loop: Header=BB34_59 Depth=1
	s_or_b64 exec, exec, s[16:17]
	v_mov_b32_e32 v11, s18
	s_and_saveexec_b64 s[16:17], s[10:11]
.LBB34_119:                             ;   in Loop: Header=BB34_59 Depth=1
	v_lshrrev_b32_e32 v3, 24, v3
	v_and_or_b32 v11, v3, s27, v6
.LBB34_120:                             ;   in Loop: Header=BB34_59 Depth=1
	s_or_b64 exec, exec, s[16:17]
.LBB34_121:                             ;   in Loop: Header=BB34_59 Depth=1
	s_or_b64 exec, exec, s[8:9]
	v_mul_f32_e32 v3, v36, v8
	v_mul_f32_e32 v3, v4, v3
	v_div_scale_f32 v4, s[8:9], v17, v17, v3
	v_rcp_f32_e32 v6, v4
	v_div_scale_f32 v7, vcc, v3, v17, v3
	v_fma_f32 v8, -v4, v6, 1.0
	v_fmac_f32_e32 v6, v8, v6
	v_mul_f32_e32 v8, v7, v6
	v_fma_f32 v18, -v4, v8, v7
	v_fmac_f32_e32 v8, v18, v6
	v_fma_f32 v4, -v4, v8, v7
	v_div_fmas_f32 v4, v4, v6, v8
	v_div_fixup_f32 v3, v4, v17, v3
	v_min_f32_e32 v3, 0x43600000, v3
	v_max_f32_e32 v6, 0xc3600000, v3
	v_and_b32_e32 v7, 0x7fffffff, v6
	v_cmp_gt_u32_e32 vcc, s23, v7
	v_mov_b32_e32 v3, 0x80
	v_mov_b32_e32 v4, 0x80
	s_and_saveexec_b64 s[8:9], vcc
	s_cbranch_execz .LBB34_127
; %bb.122:                              ;   in Loop: Header=BB34_59 Depth=1
	v_cmp_lt_u32_e32 vcc, s24, v7
	s_mov_b64 s[10:11], 0
                                        ; implicit-def: $vgpr7
	s_and_saveexec_b64 s[16:17], vcc
	s_xor_b64 s[16:17], exec, s[16:17]
	s_cbranch_execnz .LBB34_176
; %bb.123:                              ;   in Loop: Header=BB34_59 Depth=1
	s_or_saveexec_b64 s[16:17], s[16:17]
                                        ; implicit-def: $sgpr18
	s_xor_b64 exec, exec, s[16:17]
	s_cbranch_execnz .LBB34_177
.LBB34_124:                             ;   in Loop: Header=BB34_59 Depth=1
	s_or_b64 exec, exec, s[16:17]
	v_mov_b32_e32 v4, s18
	s_and_saveexec_b64 s[16:17], s[10:11]
.LBB34_125:                             ;   in Loop: Header=BB34_59 Depth=1
	v_lshrrev_b32_e32 v4, 24, v6
	v_and_or_b32 v4, v4, s27, v7
.LBB34_126:                             ;   in Loop: Header=BB34_59 Depth=1
	s_or_b64 exec, exec, s[16:17]
.LBB34_127:                             ;   in Loop: Header=BB34_59 Depth=1
	s_or_b64 exec, exec, s[8:9]
	v_mul_f32_e32 v6, v36, v9
	v_mul_f32_e32 v5, v5, v6
	v_div_scale_f32 v6, s[8:9], v17, v17, v5
	v_rcp_f32_e32 v7, v6
	v_div_scale_f32 v8, vcc, v5, v17, v5
	v_fma_f32 v9, -v6, v7, 1.0
	v_fmac_f32_e32 v7, v9, v7
	v_mul_f32_e32 v9, v8, v7
	v_fma_f32 v18, -v6, v9, v8
	v_fmac_f32_e32 v9, v18, v7
	v_fma_f32 v6, -v6, v9, v8
	v_div_fmas_f32 v6, v6, v7, v9
	v_div_fixup_f32 v5, v6, v17, v5
	v_min_f32_e32 v5, 0x43600000, v5
	v_max_f32_e32 v5, 0xc3600000, v5
	v_and_b32_e32 v6, 0x7fffffff, v5
	v_cmp_gt_u32_e32 vcc, s23, v6
	s_and_saveexec_b64 s[8:9], vcc
	s_cbranch_execz .LBB34_133
; %bb.128:                              ;   in Loop: Header=BB34_59 Depth=1
	v_cmp_lt_u32_e32 vcc, s24, v6
	s_mov_b64 s[10:11], 0
                                        ; implicit-def: $vgpr6
	s_and_saveexec_b64 s[16:17], vcc
	s_xor_b64 s[16:17], exec, s[16:17]
	s_cbranch_execnz .LBB34_178
; %bb.129:                              ;   in Loop: Header=BB34_59 Depth=1
	s_or_saveexec_b64 s[16:17], s[16:17]
                                        ; implicit-def: $sgpr18
	s_xor_b64 exec, exec, s[16:17]
	s_cbranch_execnz .LBB34_179
.LBB34_130:                             ;   in Loop: Header=BB34_59 Depth=1
	s_or_b64 exec, exec, s[16:17]
	v_mov_b32_e32 v3, s18
	s_and_saveexec_b64 s[16:17], s[10:11]
.LBB34_131:                             ;   in Loop: Header=BB34_59 Depth=1
	v_lshrrev_b32_e32 v3, 24, v5
	v_and_or_b32 v3, v3, s27, v6
.LBB34_132:                             ;   in Loop: Header=BB34_59 Depth=1
	s_or_b64 exec, exec, s[16:17]
.LBB34_133:                             ;   in Loop: Header=BB34_59 Depth=1
	s_or_b64 exec, exec, s[8:9]
	v_lshlrev_b64 v[6:7], 2, v[12:13]
	v_lshlrev_b32_e32 v4, 16, v4
	v_mov_b32_e32 v5, s20
	v_add_co_u32_e32 v6, vcc, s13, v6
	v_perm_b32 v3, v3, v4, s28
	v_lshlrev_b32_e32 v4, 8, v11
	v_addc_co_u32_e32 v7, vcc, v5, v7, vcc
	v_and_b32_e32 v4, 0xff00, v4
	v_and_b32_e32 v2, 0xff, v2
	v_add_u32_e32 v0, s21, v0
	v_or3_b32 v2, v3, v4, v2
	v_cmp_gt_u32_e32 vcc, s12, v0
	s_mov_b64 s[10:11], -1
	global_store_dword v[6:7], v2, off
	s_and_saveexec_b64 s[8:9], vcc
	s_cbranch_execz .LBB34_56
; %bb.134:                              ;   in Loop: Header=BB34_59 Depth=1
	v_lshlrev_b64 v[2:3], 4, v[0:1]
	v_mov_b32_e32 v5, s44
	v_add_co_u32_e32 v4, vcc, s33, v2
	v_addc_co_u32_e32 v5, vcc, v5, v3, vcc
	v_mov_b32_e32 v6, s46
	v_add_co_u32_e32 v22, vcc, s45, v2
	v_addc_co_u32_e32 v23, vcc, v6, v3, vcc
	v_mov_b32_e32 v11, s15
	global_load_dwordx4 v[6:9], v[4:5], off
	global_load_dwordx4 v[18:21], v[22:23], off
	v_add_co_u32_e32 v2, vcc, s14, v2
	v_addc_co_u32_e32 v3, vcc, v11, v3, vcc
	v_lshrrev_b32_e32 v11, 2, v0
	global_load_dwordx4 v[2:5], v[2:3], off
	v_and_b32_e32 v11, 0xffffffc, v11
	global_load_dword v12, v11, s[0:1]
	v_mov_b32_e32 v11, 0x80
	s_waitcnt vmcnt(2)
	v_pk_add_f32 v[6:7], v[6:7], v[18:19]
	v_mul_f32_e32 v13, v36, v6
	v_pk_add_f32 v[8:9], v[8:9], v[20:21]
	global_store_dwordx4 v[22:23], v[6:9], off
	s_waitcnt vmcnt(2)
	v_mul_f32_e32 v2, v2, v13
	s_waitcnt vmcnt(1)
	v_div_scale_f32 v13, s[10:11], v12, v12, v2
	v_rcp_f32_e32 v17, v13
	v_div_scale_f32 v6, vcc, v2, v12, v2
	v_fma_f32 v18, -v13, v17, 1.0
	v_fmac_f32_e32 v17, v18, v17
	v_mul_f32_e32 v18, v6, v17
	v_fma_f32 v19, -v13, v18, v6
	v_fmac_f32_e32 v18, v19, v17
	v_fma_f32 v6, -v13, v18, v6
	v_div_fmas_f32 v6, v6, v17, v18
	v_div_fixup_f32 v2, v6, v12, v2
	v_min_f32_e32 v2, 0x43600000, v2
	v_max_f32_e32 v6, 0xc3600000, v2
	v_and_b32_e32 v13, 0x7fffffff, v6
	v_cmp_gt_u32_e32 vcc, s23, v13
	v_mov_b32_e32 v2, 0x80
	s_and_saveexec_b64 s[10:11], vcc
	s_cbranch_execz .LBB34_140
; %bb.135:                              ;   in Loop: Header=BB34_59 Depth=1
	v_cmp_lt_u32_e32 vcc, s24, v13
	s_mov_b64 s[16:17], 0
                                        ; implicit-def: $vgpr13
	s_and_saveexec_b64 s[18:19], vcc
	s_xor_b64 s[18:19], exec, s[18:19]
	s_cbranch_execnz .LBB34_180
; %bb.136:                              ;   in Loop: Header=BB34_59 Depth=1
	s_or_saveexec_b64 s[18:19], s[18:19]
                                        ; implicit-def: $sgpr29
	s_xor_b64 exec, exec, s[18:19]
	s_cbranch_execnz .LBB34_181
.LBB34_137:                             ;   in Loop: Header=BB34_59 Depth=1
	s_or_b64 exec, exec, s[18:19]
	v_mov_b32_e32 v2, s29
	s_and_saveexec_b64 s[18:19], s[16:17]
.LBB34_138:                             ;   in Loop: Header=BB34_59 Depth=1
	v_lshrrev_b32_e32 v2, 24, v6
	v_and_or_b32 v2, v2, s27, v13
.LBB34_139:                             ;   in Loop: Header=BB34_59 Depth=1
	s_or_b64 exec, exec, s[18:19]
.LBB34_140:                             ;   in Loop: Header=BB34_59 Depth=1
	s_or_b64 exec, exec, s[10:11]
	v_mul_f32_e32 v6, v36, v7
	v_mul_f32_e32 v3, v3, v6
	v_div_scale_f32 v6, s[10:11], v12, v12, v3
	v_rcp_f32_e32 v7, v6
	v_div_scale_f32 v13, vcc, v3, v12, v3
	v_fma_f32 v17, -v6, v7, 1.0
	v_fmac_f32_e32 v7, v17, v7
	v_mul_f32_e32 v17, v13, v7
	v_fma_f32 v18, -v6, v17, v13
	v_fmac_f32_e32 v17, v18, v7
	v_fma_f32 v6, -v6, v17, v13
	v_div_fmas_f32 v6, v6, v7, v17
	v_div_fixup_f32 v3, v6, v12, v3
	v_min_f32_e32 v3, 0x43600000, v3
	v_max_f32_e32 v3, 0xc3600000, v3
	v_and_b32_e32 v6, 0x7fffffff, v3
	v_cmp_gt_u32_e32 vcc, s23, v6
	s_and_saveexec_b64 s[10:11], vcc
	s_cbranch_execz .LBB34_146
; %bb.141:                              ;   in Loop: Header=BB34_59 Depth=1
	v_cmp_lt_u32_e32 vcc, s24, v6
	s_mov_b64 s[16:17], 0
                                        ; implicit-def: $vgpr6
	s_and_saveexec_b64 s[18:19], vcc
	s_xor_b64 s[18:19], exec, s[18:19]
	s_cbranch_execnz .LBB34_182
; %bb.142:                              ;   in Loop: Header=BB34_59 Depth=1
	s_or_saveexec_b64 s[18:19], s[18:19]
                                        ; implicit-def: $sgpr29
	s_xor_b64 exec, exec, s[18:19]
	s_cbranch_execnz .LBB34_183
.LBB34_143:                             ;   in Loop: Header=BB34_59 Depth=1
	s_or_b64 exec, exec, s[18:19]
	v_mov_b32_e32 v11, s29
	s_and_saveexec_b64 s[18:19], s[16:17]
.LBB34_144:                             ;   in Loop: Header=BB34_59 Depth=1
	v_lshrrev_b32_e32 v3, 24, v3
	v_and_or_b32 v11, v3, s27, v6
.LBB34_145:                             ;   in Loop: Header=BB34_59 Depth=1
	s_or_b64 exec, exec, s[18:19]
.LBB34_146:                             ;   in Loop: Header=BB34_59 Depth=1
	s_or_b64 exec, exec, s[10:11]
	v_mul_f32_e32 v3, v36, v8
	v_mul_f32_e32 v3, v4, v3
	v_div_scale_f32 v4, s[10:11], v12, v12, v3
	v_rcp_f32_e32 v6, v4
	v_div_scale_f32 v7, vcc, v3, v12, v3
	v_fma_f32 v8, -v4, v6, 1.0
	v_fmac_f32_e32 v6, v8, v6
	v_mul_f32_e32 v8, v7, v6
	v_fma_f32 v13, -v4, v8, v7
	v_fmac_f32_e32 v8, v13, v6
	v_fma_f32 v4, -v4, v8, v7
	v_div_fmas_f32 v4, v4, v6, v8
	v_div_fixup_f32 v3, v4, v12, v3
	v_min_f32_e32 v3, 0x43600000, v3
	v_max_f32_e32 v6, 0xc3600000, v3
	v_and_b32_e32 v7, 0x7fffffff, v6
	v_cmp_gt_u32_e32 vcc, s23, v7
	v_mov_b32_e32 v3, 0x80
	v_mov_b32_e32 v4, 0x80
	s_and_saveexec_b64 s[10:11], vcc
	s_cbranch_execz .LBB34_152
; %bb.147:                              ;   in Loop: Header=BB34_59 Depth=1
	v_cmp_lt_u32_e32 vcc, s24, v7
	s_mov_b64 s[16:17], 0
                                        ; implicit-def: $vgpr7
	s_and_saveexec_b64 s[18:19], vcc
	s_xor_b64 s[18:19], exec, s[18:19]
	s_cbranch_execnz .LBB34_184
; %bb.148:                              ;   in Loop: Header=BB34_59 Depth=1
	s_or_saveexec_b64 s[18:19], s[18:19]
                                        ; implicit-def: $sgpr29
	s_xor_b64 exec, exec, s[18:19]
	s_cbranch_execnz .LBB34_185
.LBB34_149:                             ;   in Loop: Header=BB34_59 Depth=1
	s_or_b64 exec, exec, s[18:19]
	v_mov_b32_e32 v4, s29
	s_and_saveexec_b64 s[18:19], s[16:17]
.LBB34_150:                             ;   in Loop: Header=BB34_59 Depth=1
	v_lshrrev_b32_e32 v4, 24, v6
	v_and_or_b32 v4, v4, s27, v7
.LBB34_151:                             ;   in Loop: Header=BB34_59 Depth=1
	s_or_b64 exec, exec, s[18:19]
.LBB34_152:                             ;   in Loop: Header=BB34_59 Depth=1
	s_or_b64 exec, exec, s[10:11]
	v_mul_f32_e32 v6, v36, v9
	v_mul_f32_e32 v5, v5, v6
	v_div_scale_f32 v6, s[10:11], v12, v12, v5
	v_rcp_f32_e32 v7, v6
	v_div_scale_f32 v8, vcc, v5, v12, v5
	v_fma_f32 v9, -v6, v7, 1.0
	v_fmac_f32_e32 v7, v9, v7
	v_mul_f32_e32 v9, v8, v7
	v_fma_f32 v13, -v6, v9, v8
	v_fmac_f32_e32 v9, v13, v7
	v_fma_f32 v6, -v6, v9, v8
	v_div_fmas_f32 v6, v6, v7, v9
	v_div_fixup_f32 v5, v6, v12, v5
	v_min_f32_e32 v5, 0x43600000, v5
	v_max_f32_e32 v5, 0xc3600000, v5
	v_and_b32_e32 v6, 0x7fffffff, v5
	v_cmp_gt_u32_e32 vcc, s23, v6
	s_and_saveexec_b64 s[10:11], vcc
	s_cbranch_execz .LBB34_55
; %bb.153:                              ;   in Loop: Header=BB34_59 Depth=1
	v_cmp_lt_u32_e32 vcc, s24, v6
	s_mov_b64 s[16:17], 0
                                        ; implicit-def: $vgpr6
	s_and_saveexec_b64 s[18:19], vcc
	s_xor_b64 s[18:19], exec, s[18:19]
	s_cbranch_execnz .LBB34_186
; %bb.154:                              ;   in Loop: Header=BB34_59 Depth=1
	s_or_saveexec_b64 s[18:19], s[18:19]
                                        ; implicit-def: $sgpr29
	s_xor_b64 exec, exec, s[18:19]
	s_cbranch_execnz .LBB34_187
.LBB34_155:                             ;   in Loop: Header=BB34_59 Depth=1
	s_or_b64 exec, exec, s[18:19]
	v_mov_b32_e32 v3, s29
	s_and_saveexec_b64 s[18:19], s[16:17]
	s_cbranch_execz .LBB34_54
	s_branch .LBB34_188
.LBB34_156:                             ;   in Loop: Header=BB34_59 Depth=1
	v_bfe_u32 v2, v6, 20, 1
	v_add3_u32 v2, v6, v2, s25
	s_mov_b64 s[6:7], exec
	v_lshrrev_b32_e32 v12, 20, v2
	s_or_saveexec_b64 s[8:9], s[8:9]
                                        ; implicit-def: $sgpr10
	s_xor_b64 exec, exec, s[8:9]
	s_cbranch_execz .LBB34_62
.LBB34_157:                             ;   in Loop: Header=BB34_59 Depth=1
	v_add_f32_e64 v2, |v6|, s26
	v_and_b32_e32 v12, 0xff, v2
	v_cmp_ne_u32_e32 vcc, 0, v12
	s_andn2_b64 s[6:7], s[6:7], exec
	s_and_b64 s[16:17], vcc, exec
	s_mov_b32 s10, 0
	s_or_b64 s[6:7], s[6:7], s[16:17]
	s_or_b64 exec, exec, s[8:9]
	v_mov_b32_e32 v2, s10
	s_and_saveexec_b64 s[8:9], s[6:7]
	s_cbranch_execnz .LBB34_63
	s_branch .LBB34_64
.LBB34_158:                             ;   in Loop: Header=BB34_59 Depth=1
	v_bfe_u32 v6, v3, 20, 1
	v_add3_u32 v6, v3, v6, s25
	s_mov_b64 s[6:7], exec
	v_lshrrev_b32_e32 v6, 20, v6
	s_or_saveexec_b64 s[8:9], s[8:9]
                                        ; implicit-def: $sgpr10
	s_xor_b64 exec, exec, s[8:9]
	s_cbranch_execz .LBB34_68
.LBB34_159:                             ;   in Loop: Header=BB34_59 Depth=1
	v_add_f32_e64 v6, |v3|, s26
	v_and_b32_e32 v6, 0xff, v6
	v_cmp_ne_u32_e32 vcc, 0, v6
	s_andn2_b64 s[6:7], s[6:7], exec
	s_and_b64 s[16:17], vcc, exec
	s_mov_b32 s10, 0
	s_or_b64 s[6:7], s[6:7], s[16:17]
	s_or_b64 exec, exec, s[8:9]
	v_mov_b32_e32 v10, s10
	s_and_saveexec_b64 s[8:9], s[6:7]
	s_cbranch_execnz .LBB34_69
	s_branch .LBB34_70
.LBB34_160:                             ;   in Loop: Header=BB34_59 Depth=1
	v_bfe_u32 v4, v6, 20, 1
	v_add3_u32 v4, v6, v4, s25
	s_mov_b64 s[6:7], exec
	v_lshrrev_b32_e32 v7, 20, v4
	s_or_saveexec_b64 s[8:9], s[8:9]
                                        ; implicit-def: $sgpr10
	s_xor_b64 exec, exec, s[8:9]
	s_cbranch_execz .LBB34_74
.LBB34_161:                             ;   in Loop: Header=BB34_59 Depth=1
	v_add_f32_e64 v4, |v6|, s26
	v_and_b32_e32 v7, 0xff, v4
	v_cmp_ne_u32_e32 vcc, 0, v7
	s_andn2_b64 s[6:7], s[6:7], exec
	s_and_b64 s[16:17], vcc, exec
	s_mov_b32 s10, 0
	s_or_b64 s[6:7], s[6:7], s[16:17]
	s_or_b64 exec, exec, s[8:9]
	v_mov_b32_e32 v4, s10
	s_and_saveexec_b64 s[8:9], s[6:7]
	s_cbranch_execnz .LBB34_75
	s_branch .LBB34_76
.LBB34_162:                             ;   in Loop: Header=BB34_59 Depth=1
	v_bfe_u32 v3, v5, 20, 1
	v_add3_u32 v3, v5, v3, s25
	s_mov_b64 s[6:7], exec
	v_lshrrev_b32_e32 v6, 20, v3
	s_or_saveexec_b64 s[8:9], s[8:9]
                                        ; implicit-def: $sgpr10
	s_xor_b64 exec, exec, s[8:9]
	s_cbranch_execz .LBB34_80
.LBB34_163:                             ;   in Loop: Header=BB34_59 Depth=1
	v_add_f32_e64 v3, |v5|, s26
	v_and_b32_e32 v6, 0xff, v3
	v_cmp_ne_u32_e32 vcc, 0, v6
	s_andn2_b64 s[6:7], s[6:7], exec
	s_and_b64 s[16:17], vcc, exec
	s_mov_b32 s10, 0
	s_or_b64 s[6:7], s[6:7], s[16:17]
	s_or_b64 exec, exec, s[8:9]
	v_mov_b32_e32 v3, s10
	s_and_saveexec_b64 s[8:9], s[6:7]
	s_cbranch_execnz .LBB34_81
	s_branch .LBB34_82
.LBB34_164:                             ;   in Loop: Header=BB34_59 Depth=1
	v_bfe_u32 v2, v6, 20, 1
	v_add3_u32 v2, v6, v2, s25
	s_mov_b64 s[8:9], exec
	v_lshrrev_b32_e32 v17, 20, v2
	s_or_saveexec_b64 s[10:11], s[10:11]
                                        ; implicit-def: $sgpr16
	s_xor_b64 exec, exec, s[10:11]
	s_cbranch_execz .LBB34_87
.LBB34_165:                             ;   in Loop: Header=BB34_59 Depth=1
	v_add_f32_e64 v2, |v6|, s26
	v_and_b32_e32 v17, 0xff, v2
	v_cmp_ne_u32_e32 vcc, 0, v17
	s_andn2_b64 s[8:9], s[8:9], exec
	s_and_b64 s[18:19], vcc, exec
	s_mov_b32 s16, 0
	s_or_b64 s[8:9], s[8:9], s[18:19]
	s_or_b64 exec, exec, s[10:11]
	v_mov_b32_e32 v2, s16
	s_and_saveexec_b64 s[10:11], s[8:9]
	s_cbranch_execnz .LBB34_88
	s_branch .LBB34_89
.LBB34_166:                             ;   in Loop: Header=BB34_59 Depth=1
	v_bfe_u32 v6, v3, 20, 1
	v_add3_u32 v6, v3, v6, s25
	s_mov_b64 s[8:9], exec
	v_lshrrev_b32_e32 v6, 20, v6
	s_or_saveexec_b64 s[10:11], s[10:11]
                                        ; implicit-def: $sgpr16
	s_xor_b64 exec, exec, s[10:11]
	s_cbranch_execz .LBB34_93
.LBB34_167:                             ;   in Loop: Header=BB34_59 Depth=1
	v_add_f32_e64 v6, |v3|, s26
	v_and_b32_e32 v6, 0xff, v6
	v_cmp_ne_u32_e32 vcc, 0, v6
	s_andn2_b64 s[8:9], s[8:9], exec
	s_and_b64 s[18:19], vcc, exec
	s_mov_b32 s16, 0
	s_or_b64 s[8:9], s[8:9], s[18:19]
	s_or_b64 exec, exec, s[10:11]
	v_mov_b32_e32 v12, s16
	s_and_saveexec_b64 s[10:11], s[8:9]
	s_cbranch_execnz .LBB34_94
	s_branch .LBB34_95
.LBB34_168:                             ;   in Loop: Header=BB34_59 Depth=1
	v_bfe_u32 v4, v6, 20, 1
	v_add3_u32 v4, v6, v4, s25
	s_mov_b64 s[8:9], exec
	v_lshrrev_b32_e32 v7, 20, v4
	s_or_saveexec_b64 s[10:11], s[10:11]
                                        ; implicit-def: $sgpr16
	s_xor_b64 exec, exec, s[10:11]
	s_cbranch_execz .LBB34_99
.LBB34_169:                             ;   in Loop: Header=BB34_59 Depth=1
	v_add_f32_e64 v4, |v6|, s26
	v_and_b32_e32 v7, 0xff, v4
	v_cmp_ne_u32_e32 vcc, 0, v7
	s_andn2_b64 s[8:9], s[8:9], exec
	s_and_b64 s[18:19], vcc, exec
	s_mov_b32 s16, 0
	s_or_b64 s[8:9], s[8:9], s[18:19]
	s_or_b64 exec, exec, s[10:11]
	v_mov_b32_e32 v4, s16
	s_and_saveexec_b64 s[10:11], s[8:9]
	s_cbranch_execnz .LBB34_100
	s_branch .LBB34_101
.LBB34_170:                             ;   in Loop: Header=BB34_59 Depth=1
	v_bfe_u32 v3, v5, 20, 1
	v_add3_u32 v3, v5, v3, s25
	s_mov_b64 s[8:9], exec
	v_lshrrev_b32_e32 v6, 20, v3
	s_or_saveexec_b64 s[10:11], s[10:11]
                                        ; implicit-def: $sgpr16
	s_xor_b64 exec, exec, s[10:11]
	s_cbranch_execz .LBB34_105
.LBB34_171:                             ;   in Loop: Header=BB34_59 Depth=1
	v_add_f32_e64 v3, |v5|, s26
	v_and_b32_e32 v6, 0xff, v3
	v_cmp_ne_u32_e32 vcc, 0, v6
	s_andn2_b64 s[8:9], s[8:9], exec
	s_and_b64 s[18:19], vcc, exec
	s_mov_b32 s16, 0
	s_or_b64 s[8:9], s[8:9], s[18:19]
	s_or_b64 exec, exec, s[10:11]
	v_mov_b32_e32 v3, s16
	s_and_saveexec_b64 s[10:11], s[8:9]
	s_cbranch_execnz .LBB34_106
	s_branch .LBB34_107
.LBB34_172:                             ;   in Loop: Header=BB34_59 Depth=1
	v_bfe_u32 v2, v6, 20, 1
	v_add3_u32 v2, v6, v2, s25
	s_mov_b64 s[10:11], exec
	v_lshrrev_b32_e32 v18, 20, v2
	s_or_saveexec_b64 s[16:17], s[16:17]
                                        ; implicit-def: $sgpr18
	s_xor_b64 exec, exec, s[16:17]
	s_cbranch_execz .LBB34_112
.LBB34_173:                             ;   in Loop: Header=BB34_59 Depth=1
	v_add_f32_e64 v2, |v6|, s26
	v_and_b32_e32 v18, 0xff, v2
	v_cmp_ne_u32_e32 vcc, 0, v18
	s_andn2_b64 s[10:11], s[10:11], exec
	s_and_b64 s[30:31], vcc, exec
	s_mov_b32 s18, 0
	s_or_b64 s[10:11], s[10:11], s[30:31]
	s_or_b64 exec, exec, s[16:17]
	v_mov_b32_e32 v2, s18
	s_and_saveexec_b64 s[16:17], s[10:11]
	s_cbranch_execnz .LBB34_113
	s_branch .LBB34_114
.LBB34_174:                             ;   in Loop: Header=BB34_59 Depth=1
	v_bfe_u32 v6, v3, 20, 1
	v_add3_u32 v6, v3, v6, s25
	s_mov_b64 s[10:11], exec
	v_lshrrev_b32_e32 v6, 20, v6
	s_or_saveexec_b64 s[16:17], s[16:17]
                                        ; implicit-def: $sgpr18
	s_xor_b64 exec, exec, s[16:17]
	s_cbranch_execz .LBB34_118
.LBB34_175:                             ;   in Loop: Header=BB34_59 Depth=1
	v_add_f32_e64 v6, |v3|, s26
	v_and_b32_e32 v6, 0xff, v6
	v_cmp_ne_u32_e32 vcc, 0, v6
	s_andn2_b64 s[10:11], s[10:11], exec
	s_and_b64 s[30:31], vcc, exec
	s_mov_b32 s18, 0
	s_or_b64 s[10:11], s[10:11], s[30:31]
	s_or_b64 exec, exec, s[16:17]
	v_mov_b32_e32 v11, s18
	s_and_saveexec_b64 s[16:17], s[10:11]
	s_cbranch_execnz .LBB34_119
	s_branch .LBB34_120
.LBB34_176:                             ;   in Loop: Header=BB34_59 Depth=1
	v_bfe_u32 v4, v6, 20, 1
	v_add3_u32 v4, v6, v4, s25
	s_mov_b64 s[10:11], exec
	v_lshrrev_b32_e32 v7, 20, v4
	s_or_saveexec_b64 s[16:17], s[16:17]
                                        ; implicit-def: $sgpr18
	s_xor_b64 exec, exec, s[16:17]
	s_cbranch_execz .LBB34_124
.LBB34_177:                             ;   in Loop: Header=BB34_59 Depth=1
	v_add_f32_e64 v4, |v6|, s26
	v_and_b32_e32 v7, 0xff, v4
	v_cmp_ne_u32_e32 vcc, 0, v7
	s_andn2_b64 s[10:11], s[10:11], exec
	s_and_b64 s[30:31], vcc, exec
	s_mov_b32 s18, 0
	s_or_b64 s[10:11], s[10:11], s[30:31]
	s_or_b64 exec, exec, s[16:17]
	v_mov_b32_e32 v4, s18
	s_and_saveexec_b64 s[16:17], s[10:11]
	s_cbranch_execnz .LBB34_125
	s_branch .LBB34_126
.LBB34_178:                             ;   in Loop: Header=BB34_59 Depth=1
	v_bfe_u32 v3, v5, 20, 1
	v_add3_u32 v3, v5, v3, s25
	s_mov_b64 s[10:11], exec
	v_lshrrev_b32_e32 v6, 20, v3
	s_or_saveexec_b64 s[16:17], s[16:17]
                                        ; implicit-def: $sgpr18
	s_xor_b64 exec, exec, s[16:17]
	s_cbranch_execz .LBB34_130
.LBB34_179:                             ;   in Loop: Header=BB34_59 Depth=1
	v_add_f32_e64 v3, |v5|, s26
	v_and_b32_e32 v6, 0xff, v3
	v_cmp_ne_u32_e32 vcc, 0, v6
	s_andn2_b64 s[10:11], s[10:11], exec
	s_and_b64 s[30:31], vcc, exec
	s_mov_b32 s18, 0
	s_or_b64 s[10:11], s[10:11], s[30:31]
	s_or_b64 exec, exec, s[16:17]
	v_mov_b32_e32 v3, s18
	s_and_saveexec_b64 s[16:17], s[10:11]
	s_cbranch_execnz .LBB34_131
	s_branch .LBB34_132
.LBB34_180:                             ;   in Loop: Header=BB34_59 Depth=1
	v_bfe_u32 v2, v6, 20, 1
	v_add3_u32 v2, v6, v2, s25
	s_mov_b64 s[16:17], exec
	v_lshrrev_b32_e32 v13, 20, v2
	s_or_saveexec_b64 s[18:19], s[18:19]
                                        ; implicit-def: $sgpr29
	s_xor_b64 exec, exec, s[18:19]
	s_cbranch_execz .LBB34_137
.LBB34_181:                             ;   in Loop: Header=BB34_59 Depth=1
	v_add_f32_e64 v2, |v6|, s26
	v_and_b32_e32 v13, 0xff, v2
	v_cmp_ne_u32_e32 vcc, 0, v13
	s_andn2_b64 s[16:17], s[16:17], exec
	s_and_b64 s[30:31], vcc, exec
	s_mov_b32 s29, 0
	s_or_b64 s[16:17], s[16:17], s[30:31]
	s_or_b64 exec, exec, s[18:19]
	v_mov_b32_e32 v2, s29
	s_and_saveexec_b64 s[18:19], s[16:17]
	s_cbranch_execnz .LBB34_138
	s_branch .LBB34_139
.LBB34_182:                             ;   in Loop: Header=BB34_59 Depth=1
	v_bfe_u32 v6, v3, 20, 1
	v_add3_u32 v6, v3, v6, s25
	s_mov_b64 s[16:17], exec
	v_lshrrev_b32_e32 v6, 20, v6
	s_or_saveexec_b64 s[18:19], s[18:19]
                                        ; implicit-def: $sgpr29
	s_xor_b64 exec, exec, s[18:19]
	s_cbranch_execz .LBB34_143
.LBB34_183:                             ;   in Loop: Header=BB34_59 Depth=1
	v_add_f32_e64 v6, |v3|, s26
	v_and_b32_e32 v6, 0xff, v6
	v_cmp_ne_u32_e32 vcc, 0, v6
	s_andn2_b64 s[16:17], s[16:17], exec
	s_and_b64 s[30:31], vcc, exec
	s_mov_b32 s29, 0
	s_or_b64 s[16:17], s[16:17], s[30:31]
	s_or_b64 exec, exec, s[18:19]
	v_mov_b32_e32 v11, s29
	s_and_saveexec_b64 s[18:19], s[16:17]
	s_cbranch_execnz .LBB34_144
	s_branch .LBB34_145
.LBB34_184:                             ;   in Loop: Header=BB34_59 Depth=1
	v_bfe_u32 v4, v6, 20, 1
	v_add3_u32 v4, v6, v4, s25
	s_mov_b64 s[16:17], exec
	v_lshrrev_b32_e32 v7, 20, v4
	s_or_saveexec_b64 s[18:19], s[18:19]
                                        ; implicit-def: $sgpr29
	s_xor_b64 exec, exec, s[18:19]
	s_cbranch_execz .LBB34_149
.LBB34_185:                             ;   in Loop: Header=BB34_59 Depth=1
	v_add_f32_e64 v4, |v6|, s26
	v_and_b32_e32 v7, 0xff, v4
	v_cmp_ne_u32_e32 vcc, 0, v7
	s_andn2_b64 s[16:17], s[16:17], exec
	s_and_b64 s[30:31], vcc, exec
	s_mov_b32 s29, 0
	s_or_b64 s[16:17], s[16:17], s[30:31]
	s_or_b64 exec, exec, s[18:19]
	v_mov_b32_e32 v4, s29
	s_and_saveexec_b64 s[18:19], s[16:17]
	s_cbranch_execnz .LBB34_150
	s_branch .LBB34_151
.LBB34_186:                             ;   in Loop: Header=BB34_59 Depth=1
	v_bfe_u32 v3, v5, 20, 1
	v_add3_u32 v3, v5, v3, s25
	s_mov_b64 s[16:17], exec
	v_lshrrev_b32_e32 v6, 20, v3
	s_or_saveexec_b64 s[18:19], s[18:19]
                                        ; implicit-def: $sgpr29
	s_xor_b64 exec, exec, s[18:19]
	s_cbranch_execz .LBB34_155
.LBB34_187:                             ;   in Loop: Header=BB34_59 Depth=1
	v_add_f32_e64 v3, |v5|, s26
	v_and_b32_e32 v6, 0xff, v3
	v_cmp_ne_u32_e32 vcc, 0, v6
	s_andn2_b64 s[16:17], s[16:17], exec
	s_and_b64 s[30:31], vcc, exec
	s_mov_b32 s29, 0
	s_or_b64 s[16:17], s[16:17], s[30:31]
	s_or_b64 exec, exec, s[18:19]
	v_mov_b32_e32 v3, s29
	s_and_saveexec_b64 s[18:19], s[16:17]
	s_cbranch_execz .LBB34_54
.LBB34_188:                             ;   in Loop: Header=BB34_59 Depth=1
	v_lshrrev_b32_e32 v3, 24, v5
	v_and_or_b32 v3, v3, s27, v6
	s_branch .LBB34_54
.LBB34_189:
	s_endpgm
	.section	.rodata,"a",@progbits
	.p2align	6, 0x0
	.amdhsa_kernel _ZN4vllm31rms_norm_per_block_quant_kernelIfN3c1015Float8_e4m3fnuzELb1ELb0ELi64EEEvPT0_PfPKT_S8_PKffiiPS6_l
		.amdhsa_group_segment_fixed_size 4164
		.amdhsa_private_segment_fixed_size 0
		.amdhsa_kernarg_size 328
		.amdhsa_user_sgpr_count 6
		.amdhsa_user_sgpr_private_segment_buffer 1
		.amdhsa_user_sgpr_dispatch_ptr 0
		.amdhsa_user_sgpr_queue_ptr 0
		.amdhsa_user_sgpr_kernarg_segment_ptr 1
		.amdhsa_user_sgpr_dispatch_id 0
		.amdhsa_user_sgpr_flat_scratch_init 0
		.amdhsa_user_sgpr_kernarg_preload_length 0
		.amdhsa_user_sgpr_kernarg_preload_offset 0
		.amdhsa_user_sgpr_private_segment_size 0
		.amdhsa_uses_dynamic_stack 0
		.amdhsa_system_sgpr_private_segment_wavefront_offset 0
		.amdhsa_system_sgpr_workgroup_id_x 1
		.amdhsa_system_sgpr_workgroup_id_y 0
		.amdhsa_system_sgpr_workgroup_id_z 0
		.amdhsa_system_sgpr_workgroup_info 0
		.amdhsa_system_vgpr_workitem_id 0
		.amdhsa_next_free_vgpr 44
		.amdhsa_next_free_sgpr 48
		.amdhsa_accum_offset 44
		.amdhsa_reserve_vcc 1
		.amdhsa_reserve_flat_scratch 0
		.amdhsa_float_round_mode_32 0
		.amdhsa_float_round_mode_16_64 0
		.amdhsa_float_denorm_mode_32 3
		.amdhsa_float_denorm_mode_16_64 3
		.amdhsa_dx10_clamp 1
		.amdhsa_ieee_mode 1
		.amdhsa_fp16_overflow 0
		.amdhsa_tg_split 0
		.amdhsa_exception_fp_ieee_invalid_op 0
		.amdhsa_exception_fp_denorm_src 0
		.amdhsa_exception_fp_ieee_div_zero 0
		.amdhsa_exception_fp_ieee_overflow 0
		.amdhsa_exception_fp_ieee_underflow 0
		.amdhsa_exception_fp_ieee_inexact 0
		.amdhsa_exception_int_div_zero 0
	.end_amdhsa_kernel
	.section	.text._ZN4vllm31rms_norm_per_block_quant_kernelIfN3c1015Float8_e4m3fnuzELb1ELb0ELi64EEEvPT0_PfPKT_S8_PKffiiPS6_l,"axG",@progbits,_ZN4vllm31rms_norm_per_block_quant_kernelIfN3c1015Float8_e4m3fnuzELb1ELb0ELi64EEEvPT0_PfPKT_S8_PKffiiPS6_l,comdat
.Lfunc_end34:
	.size	_ZN4vllm31rms_norm_per_block_quant_kernelIfN3c1015Float8_e4m3fnuzELb1ELb0ELi64EEEvPT0_PfPKT_S8_PKffiiPS6_l, .Lfunc_end34-_ZN4vllm31rms_norm_per_block_quant_kernelIfN3c1015Float8_e4m3fnuzELb1ELb0ELi64EEEvPT0_PfPKT_S8_PKffiiPS6_l
                                        ; -- End function
	.section	.AMDGPU.csdata,"",@progbits
; Kernel info:
; codeLenInByte = 9476
; NumSgprs: 52
; NumVgprs: 44
; NumAgprs: 0
; TotalNumVgprs: 44
; ScratchSize: 0
; MemoryBound: 0
; FloatMode: 240
; IeeeMode: 1
; LDSByteSize: 4164 bytes/workgroup (compile time only)
; SGPRBlocks: 6
; VGPRBlocks: 5
; NumSGPRsForWavesPerEU: 52
; NumVGPRsForWavesPerEU: 44
; AccumOffset: 44
; Occupancy: 8
; WaveLimiterHint : 0
; COMPUTE_PGM_RSRC2:SCRATCH_EN: 0
; COMPUTE_PGM_RSRC2:USER_SGPR: 6
; COMPUTE_PGM_RSRC2:TRAP_HANDLER: 0
; COMPUTE_PGM_RSRC2:TGID_X_EN: 1
; COMPUTE_PGM_RSRC2:TGID_Y_EN: 0
; COMPUTE_PGM_RSRC2:TGID_Z_EN: 0
; COMPUTE_PGM_RSRC2:TIDIG_COMP_CNT: 0
; COMPUTE_PGM_RSRC3_GFX90A:ACCUM_OFFSET: 10
; COMPUTE_PGM_RSRC3_GFX90A:TG_SPLIT: 0
	.section	.text._ZN4vllm31rms_norm_per_block_quant_kernelIfaLb1ELb0ELi64EEEvPT0_PfPKT_S6_PKffiiPS4_l,"axG",@progbits,_ZN4vllm31rms_norm_per_block_quant_kernelIfaLb1ELb0ELi64EEEvPT0_PfPKT_S6_PKffiiPS4_l,comdat
	.protected	_ZN4vllm31rms_norm_per_block_quant_kernelIfaLb1ELb0ELi64EEEvPT0_PfPKT_S6_PKffiiPS4_l ; -- Begin function _ZN4vllm31rms_norm_per_block_quant_kernelIfaLb1ELb0ELi64EEEvPT0_PfPKT_S6_PKffiiPS4_l
	.globl	_ZN4vllm31rms_norm_per_block_quant_kernelIfaLb1ELb0ELi64EEEvPT0_PfPKT_S6_PKffiiPS4_l
	.p2align	8
	.type	_ZN4vllm31rms_norm_per_block_quant_kernelIfaLb1ELb0ELi64EEEvPT0_PfPKT_S6_PKffiiPS4_l,@function
_ZN4vllm31rms_norm_per_block_quant_kernelIfaLb1ELb0ELi64EEEvPT0_PfPKT_S6_PKffiiPS4_l: ; @_ZN4vllm31rms_norm_per_block_quant_kernelIfaLb1ELb0ELi64EEEvPT0_PfPKT_S6_PKffiiPS4_l
; %bb.0:
	s_load_dwordx4 s[16:19], s[4:5], 0x28
	s_load_dwordx8 s[8:15], s[4:5], 0x0
	s_load_dwordx2 s[0:1], s[4:5], 0x38
	v_mov_b32_e32 v1, 0
	s_waitcnt lgkmcnt(0)
	s_ashr_i32 s2, s18, 31
	s_mul_hi_u32 s3, s18, s6
	s_mul_i32 s2, s2, s6
	s_ashr_i32 s21, s17, 31
	s_add_i32 s3, s3, s2
	s_mul_i32 s2, s18, s6
	s_mul_hi_u32 s7, s17, s6
	s_mul_i32 s18, s21, s6
	s_add_i32 s19, s7, s18
	s_lshl_b64 s[2:3], s[2:3], 2
	s_mul_i32 s18, s17, s6
	s_add_u32 s33, s12, s2
	s_addc_u32 s44, s13, s3
	s_lshl_b64 s[2:3], s[18:19], 2
	s_add_u32 s45, s0, s2
	s_addc_u32 s46, s1, s3
	s_ashr_i32 s12, s17, 2
	s_add_u32 s2, s4, 0x48
	s_mov_b32 s20, s17
	v_cmp_gt_u32_e64 s[0:1], s12, v0
	s_addc_u32 s3, s5, 0
	s_and_saveexec_b64 s[22:23], s[0:1]
	s_cbranch_execz .LBB35_10
; %bb.1:
	s_load_dword s7, s[2:3], 0x0
	v_mov_b32_e32 v3, 0
	v_mov_b32_e32 v9, s44
	;; [unrolled: 1-line block ×4, first 2 shown]
	s_waitcnt lgkmcnt(0)
	s_cmp_lt_u32 s6, s7
	s_cselect_b32 s7, 12, 18
	s_add_u32 s24, s2, s7
	s_addc_u32 s25, s3, 0
	global_load_ushort v8, v3, s[24:25]
	s_mov_b64 s[24:25], 0
	v_mov_b32_e32 v1, v3
                                        ; implicit-def: $sgpr26_sgpr27
	s_waitcnt vmcnt(0)
	v_mul_lo_u32 v11, v8, 3
	v_lshlrev_b32_e32 v12, 1, v8
	s_branch .LBB35_5
.LBB35_2:                               ;   in Loop: Header=BB35_5 Depth=1
	s_or_b64 exec, exec, s[34:35]
	s_orn2_b64 s[34:35], s[36:37], exec
.LBB35_3:                               ;   in Loop: Header=BB35_5 Depth=1
	s_or_b64 exec, exec, s[30:31]
	s_andn2_b64 s[26:27], s[26:27], exec
	s_and_b64 s[30:31], s[34:35], exec
	s_or_b64 s[26:27], s[26:27], s[30:31]
.LBB35_4:                               ;   in Loop: Header=BB35_5 Depth=1
	s_or_b64 exec, exec, s[28:29]
	s_and_b64 s[28:29], exec, s[26:27]
	s_or_b64 s[24:25], s[28:29], s[24:25]
	s_andn2_b64 exec, exec, s[24:25]
	s_cbranch_execz .LBB35_9
.LBB35_5:                               ; =>This Inner Loop Header: Depth=1
	v_lshlrev_b64 v[4:5], 4, v[2:3]
	v_add_co_u32_e32 v6, vcc, s33, v4
	v_addc_co_u32_e32 v7, vcc, v9, v5, vcc
	v_add_co_u32_e32 v4, vcc, s45, v4
	v_addc_co_u32_e32 v5, vcc, v10, v5, vcc
	global_load_dwordx4 v[14:17], v[6:7], off
	global_load_dwordx4 v[18:21], v[4:5], off
	v_add_u32_e32 v4, v2, v8
	v_cmp_gt_u32_e32 vcc, s12, v4
	s_or_b64 s[26:27], s[26:27], exec
	s_waitcnt vmcnt(0)
	v_pk_add_f32 v[6:7], v[14:15], v[18:19]
	v_pk_mul_f32 v[6:7], v[6:7], v[6:7]
	v_pk_add_f32 v[14:15], v[16:17], v[20:21]
	v_add_f32_e32 v1, v1, v6
	v_pk_mul_f32 v[14:15], v[14:15], v[14:15]
	v_add_f32_e32 v1, v1, v7
	v_add_f32_e32 v1, v1, v14
	;; [unrolled: 1-line block ×3, first 2 shown]
	s_and_saveexec_b64 s[28:29], vcc
	s_cbranch_execz .LBB35_4
; %bb.6:                                ;   in Loop: Header=BB35_5 Depth=1
	v_mov_b32_e32 v5, v3
	v_lshlrev_b64 v[6:7], 4, v[4:5]
	v_add_co_u32_e32 v22, vcc, s33, v6
	v_addc_co_u32_e32 v23, vcc, v9, v7, vcc
	v_add_co_u32_e32 v6, vcc, s45, v6
	v_addc_co_u32_e32 v7, vcc, v10, v7, vcc
	global_load_dwordx4 v[14:17], v[22:23], off
	global_load_dwordx4 v[18:21], v[6:7], off
	v_add_u32_e32 v6, v12, v2
	v_cmp_gt_u32_e32 vcc, s12, v6
	s_mov_b64 s[34:35], -1
	s_waitcnt vmcnt(0)
	v_pk_add_f32 v[14:15], v[14:15], v[18:19]
	v_pk_mul_f32 v[14:15], v[14:15], v[14:15]
	v_pk_add_f32 v[16:17], v[16:17], v[20:21]
	v_add_f32_e32 v1, v1, v14
	v_pk_mul_f32 v[16:17], v[16:17], v[16:17]
	v_add_f32_e32 v1, v1, v15
	v_add_f32_e32 v1, v1, v16
	;; [unrolled: 1-line block ×3, first 2 shown]
	s_and_saveexec_b64 s[30:31], vcc
	s_cbranch_execz .LBB35_3
; %bb.7:                                ;   in Loop: Header=BB35_5 Depth=1
	v_mov_b32_e32 v7, v3
	v_lshlrev_b64 v[6:7], 4, v[6:7]
	v_add_co_u32_e32 v22, vcc, s33, v6
	v_addc_co_u32_e32 v23, vcc, v9, v7, vcc
	v_add_co_u32_e32 v6, vcc, s45, v6
	v_addc_co_u32_e32 v7, vcc, v10, v7, vcc
	global_load_dwordx4 v[14:17], v[22:23], off
	global_load_dwordx4 v[18:21], v[6:7], off
	v_add_u32_e32 v2, v11, v2
	v_cmp_gt_u32_e32 vcc, s12, v2
	s_mov_b64 s[36:37], -1
	s_waitcnt vmcnt(0)
	v_pk_add_f32 v[6:7], v[14:15], v[18:19]
	v_pk_mul_f32 v[6:7], v[6:7], v[6:7]
	v_pk_add_f32 v[14:15], v[16:17], v[20:21]
	v_add_f32_e32 v1, v1, v6
	v_pk_mul_f32 v[14:15], v[14:15], v[14:15]
	v_add_f32_e32 v1, v1, v7
	v_add_f32_e32 v1, v1, v14
	;; [unrolled: 1-line block ×3, first 2 shown]
	s_and_saveexec_b64 s[34:35], vcc
	s_xor_b64 s[34:35], exec, s[34:35]
	s_cbranch_execz .LBB35_2
; %bb.8:                                ;   in Loop: Header=BB35_5 Depth=1
	v_lshlrev_b64 v[6:7], 4, v[2:3]
	v_mov_b32_e32 v2, s44
	v_add_co_u32_e32 v22, vcc, s33, v6
	v_addc_co_u32_e32 v23, vcc, v2, v7, vcc
	v_mov_b32_e32 v2, s46
	v_add_co_u32_e32 v6, vcc, s45, v6
	v_addc_co_u32_e32 v7, vcc, v2, v7, vcc
	global_load_dwordx4 v[14:17], v[22:23], off
	global_load_dwordx4 v[18:21], v[6:7], off
	v_add_u32_e32 v2, v8, v8
	v_add_u32_e32 v2, v2, v8
	;; [unrolled: 1-line block ×3, first 2 shown]
	v_cmp_le_u32_e32 vcc, s12, v2
	s_orn2_b64 s[36:37], vcc, exec
	s_waitcnt vmcnt(0)
	v_pk_add_f32 v[4:5], v[14:15], v[18:19]
	v_pk_mul_f32 v[4:5], v[4:5], v[4:5]
	v_pk_add_f32 v[6:7], v[16:17], v[20:21]
	v_add_f32_e32 v1, v1, v4
	v_pk_mul_f32 v[6:7], v[6:7], v[6:7]
	v_add_f32_e32 v1, v1, v5
	v_add_f32_e32 v1, v1, v6
	;; [unrolled: 1-line block ×3, first 2 shown]
	s_branch .LBB35_2
.LBB35_9:
	s_or_b64 exec, exec, s[24:25]
.LBB35_10:
	s_or_b64 exec, exec, s[22:23]
	v_mbcnt_lo_u32_b32 v2, -1, 0
	v_mbcnt_hi_u32_b32 v2, -1, v2
	v_and_b32_e32 v3, 63, v2
	v_cmp_ne_u32_e32 vcc, 63, v3
	s_load_dword s2, s[2:3], 0xc
	v_addc_co_u32_e32 v4, vcc, 0, v2, vcc
	v_lshlrev_b32_e32 v4, 2, v4
	ds_bpermute_b32 v4, v4, v1
	s_waitcnt lgkmcnt(0)
	s_and_b32 s47, s2, 0xffff
	v_and_b32_e32 v5, 0x3c0, v0
	v_sub_u32_e64 v5, s47, v5 clamp
	v_add_u32_e32 v6, 1, v2
	v_add_f32_e32 v4, v1, v4
	v_cmp_lt_u32_e32 vcc, v6, v5
	v_cndmask_b32_e32 v1, v1, v4, vcc
	v_cmp_gt_u32_e32 vcc, 62, v3
	v_cndmask_b32_e64 v4, 0, 1, vcc
	v_lshlrev_b32_e32 v4, 1, v4
	v_add_lshl_u32 v4, v4, v2, 2
	ds_bpermute_b32 v4, v4, v1
	v_add_u32_e32 v6, 2, v2
	v_cmp_lt_u32_e32 vcc, v6, v5
	v_add_u32_e32 v6, 4, v2
	s_waitcnt lgkmcnt(0)
	v_add_f32_e32 v4, v1, v4
	v_cndmask_b32_e32 v1, v1, v4, vcc
	v_cmp_gt_u32_e32 vcc, 60, v3
	v_cndmask_b32_e64 v4, 0, 1, vcc
	v_lshlrev_b32_e32 v4, 2, v4
	v_add_lshl_u32 v4, v4, v2, 2
	ds_bpermute_b32 v4, v4, v1
	v_cmp_lt_u32_e32 vcc, v6, v5
	v_add_u32_e32 v6, 8, v2
	s_waitcnt lgkmcnt(0)
	v_add_f32_e32 v4, v1, v4
	v_cndmask_b32_e32 v1, v1, v4, vcc
	v_cmp_gt_u32_e32 vcc, 56, v3
	v_cndmask_b32_e64 v4, 0, 1, vcc
	v_lshlrev_b32_e32 v4, 3, v4
	v_add_lshl_u32 v4, v4, v2, 2
	ds_bpermute_b32 v4, v4, v1
	;; [unrolled: 10-line block ×3, first 2 shown]
	v_cmp_lt_u32_e32 vcc, v6, v5
	s_waitcnt lgkmcnt(0)
	v_add_f32_e32 v4, v1, v4
	v_cndmask_b32_e32 v1, v1, v4, vcc
	v_cmp_gt_u32_e32 vcc, 32, v3
	v_cndmask_b32_e64 v3, 0, 1, vcc
	v_lshlrev_b32_e32 v3, 5, v3
	v_add_lshl_u32 v3, v3, v2, 2
	ds_bpermute_b32 v3, v3, v1
	v_add_u32_e32 v4, 32, v2
	v_cmp_lt_u32_e32 vcc, v4, v5
	s_waitcnt lgkmcnt(0)
	v_add_f32_e32 v3, v1, v3
	v_cndmask_b32_e32 v1, v1, v3, vcc
	v_cmp_eq_u32_e32 vcc, 0, v2
	s_and_saveexec_b64 s[2:3], vcc
	s_cbranch_execz .LBB35_12
; %bb.11:
	v_lshrrev_b32_e32 v3, 4, v0
	v_and_b32_e32 v3, 60, v3
	ds_write_b32 v3, v1 offset:4096
.LBB35_12:
	s_or_b64 exec, exec, s[2:3]
	v_cmp_gt_u32_e32 vcc, 16, v0
	s_waitcnt lgkmcnt(0)
	s_barrier
	s_and_saveexec_b64 s[22:23], vcc
	s_cbranch_execz .LBB35_14
; %bb.13:
	v_lshlrev_b32_e32 v1, 2, v2
	ds_read_b32 v1, v1 offset:4096
	v_and_b32_e32 v3, 15, v2
	v_cmp_ne_u32_e32 vcc, 15, v3
	v_addc_co_u32_e32 v4, vcc, 0, v2, vcc
	v_lshlrev_b32_e32 v4, 2, v4
	s_waitcnt lgkmcnt(0)
	ds_bpermute_b32 v4, v4, v1
	s_add_i32 s2, s47, 63
	s_lshr_b32 s7, s2, 6
	v_add_u32_e32 v5, 1, v3
	v_cmp_gt_u32_e64 s[2:3], 14, v3
	v_cmp_gt_u32_e32 vcc, s7, v5
	v_cndmask_b32_e64 v5, 0, 1, s[2:3]
	s_waitcnt lgkmcnt(0)
	v_add_f32_e32 v4, v1, v4
	v_lshlrev_b32_e32 v5, 1, v5
	v_cndmask_b32_e32 v4, v1, v4, vcc
	v_add_lshl_u32 v5, v5, v2, 2
	ds_bpermute_b32 v5, v5, v4
	v_add_u32_e32 v6, 2, v3
	v_cmp_gt_u32_e64 s[2:3], s7, v6
	v_add_u32_e32 v6, 4, v3
	s_waitcnt lgkmcnt(0)
	v_add_f32_e32 v5, v4, v5
	v_cndmask_b32_e64 v4, v4, v5, s[2:3]
	v_cmp_gt_u32_e64 s[2:3], 12, v3
	v_cndmask_b32_e64 v5, 0, 1, s[2:3]
	v_lshlrev_b32_e32 v5, 2, v5
	v_add_lshl_u32 v5, v5, v2, 2
	ds_bpermute_b32 v5, v5, v4
	v_cmp_gt_u32_e64 s[2:3], s7, v6
	s_waitcnt lgkmcnt(0)
	v_add_f32_e32 v5, v4, v5
	v_cndmask_b32_e64 v4, v4, v5, s[2:3]
	v_cmp_gt_u32_e64 s[2:3], 8, v3
	v_cndmask_b32_e64 v5, 0, 1, s[2:3]
	v_lshlrev_b32_e32 v5, 3, v5
	v_add_lshl_u32 v2, v5, v2, 2
	ds_bpermute_b32 v2, v2, v4
	v_add_u32_e32 v3, 8, v3
	v_cmp_gt_u32_e64 s[2:3], s7, v3
	s_waitcnt lgkmcnt(0)
	v_add_f32_e32 v2, v4, v2
	v_cndmask_b32_e64 v2, v4, v2, s[2:3]
	v_cndmask_b32_e32 v1, v1, v2, vcc
.LBB35_14:
	s_or_b64 exec, exec, s[22:23]
	v_cmp_eq_u32_e32 vcc, 0, v0
	s_and_saveexec_b64 s[2:3], vcc
	s_cbranch_execz .LBB35_16
; %bb.15:
	v_cvt_f32_i32_e32 v2, s20
	s_mov_b32 s7, 0x800000
	v_div_scale_f32 v3, s[22:23], v2, v2, v1
	v_rcp_f32_e32 v4, v3
	v_div_scale_f32 v5, vcc, v1, v2, v1
	v_fma_f32 v6, -v3, v4, 1.0
	v_fmac_f32_e32 v4, v6, v4
	v_mul_f32_e32 v6, v5, v4
	v_fma_f32 v7, -v3, v6, v5
	v_fmac_f32_e32 v6, v7, v4
	v_fma_f32 v3, -v3, v6, v5
	v_div_fmas_f32 v3, v3, v4, v6
	v_div_fixup_f32 v1, v3, v2, v1
	v_add_f32_e32 v1, s16, v1
	v_mul_f32_e32 v2, 0x4b800000, v1
	v_cmp_gt_f32_e32 vcc, s7, v1
	v_cndmask_b32_e32 v1, v1, v2, vcc
	v_rsq_f32_e32 v1, v1
	v_mul_f32_e32 v2, 0x45800000, v1
	v_cndmask_b32_e32 v1, v1, v2, vcc
	v_mov_b32_e32 v2, 0
	ds_write_b32 v2, v1 offset:4160
.LBB35_16:
	s_or_b64 exec, exec, s[2:3]
	s_ashr_i32 s2, s20, 31
	s_lshr_b32 s2, s2, 26
	s_add_i32 s2, s20, s2
	s_ashr_i32 s16, s2, 6
	s_abs_i32 s3, s16
	v_cvt_f32_u32_e32 v1, s3
	s_sub_i32 s7, 0, s3
	s_ashr_i32 s2, s2, 31
	v_mov_b32_e32 v5, 0
	v_rcp_iflag_f32_e32 v1, v1
	s_waitcnt lgkmcnt(0)
	s_barrier
	v_mul_f32_e32 v1, 0x4f7ffffe, v1
	v_cvt_u32_f32_e32 v1, v1
	ds_read_b32 v36, v5 offset:4160
	v_readfirstlane_b32 s13, v1
	s_mul_i32 s7, s7, s13
	s_mul_hi_u32 s7, s13, s7
	s_add_i32 s13, s13, s7
	s_mul_hi_u32 s7, s47, s13
	s_mul_i32 s13, s7, s3
	s_sub_i32 s13, s47, s13
	s_add_i32 s17, s7, 1
	s_sub_i32 s22, s13, s3
	s_cmp_ge_u32 s13, s3
	s_cselect_b32 s7, s17, s7
	s_cselect_b32 s13, s22, s13
	s_add_i32 s17, s7, 1
	s_cmp_ge_u32 s13, s3
	s_cselect_b32 s3, s17, s7
	s_xor_b32 s3, s3, s2
	s_sub_i32 s2, s3, s2
	s_abs_i32 s7, s2
	v_cvt_f32_u32_e32 v1, s7
	s_sub_i32 s13, 0, s7
	s_ashr_i32 s3, s2, 31
	v_rcp_iflag_f32_e32 v1, v1
	v_mul_f32_e32 v1, 0x4f7ffffe, v1
	v_cvt_u32_f32_e32 v1, v1
	v_mul_lo_u32 v2, s13, v1
	v_mul_hi_u32 v2, v1, v2
	v_add_u32_e32 v1, v1, v2
	v_mul_hi_u32 v1, v0, v1
	v_mul_lo_u32 v2, v1, s7
	v_sub_u32_e32 v2, v0, v2
	v_add_u32_e32 v3, 1, v1
	v_cmp_le_u32_e32 vcc, s7, v2
	v_cndmask_b32_e32 v1, v1, v3, vcc
	v_subrev_u32_e32 v3, s7, v2
	v_cndmask_b32_e32 v2, v2, v3, vcc
	v_add_u32_e32 v3, 1, v1
	v_cmp_le_u32_e32 vcc, s7, v2
	v_cndmask_b32_e32 v1, v1, v3, vcc
	v_xor_b32_e32 v1, s3, v1
	v_subrev_u32_e32 v2, s3, v1
	v_mul_lo_u32 v1, v2, s2
	v_ashrrev_i32_e32 v3, 31, v2
	v_sub_u32_e32 v4, v0, v1
	v_lshlrev_b64 v[8:9], 4, v[2:3]
	v_add_co_u32_e32 v6, vcc, v8, v4
	v_addc_co_u32_e32 v7, vcc, 0, v9, vcc
	v_add_co_u32_e32 v8, vcc, 16, v8
	v_addc_co_u32_e32 v9, vcc, 0, v9, vcc
	s_ashr_i32 s13, s12, 31
	v_mov_b32_e32 v1, s13
	v_cmp_gt_i64_e32 vcc, s[12:13], v[8:9]
	v_cndmask_b32_e32 v9, v1, v9, vcc
	v_mov_b32_e32 v1, s12
	v_cndmask_b32_e32 v8, v1, v8, vcc
	v_ashrrev_i32_e32 v11, 31, v8
	v_mov_b32_e32 v10, v8
	v_cmp_lt_i64_e32 vcc, v[6:7], v[10:11]
	s_and_saveexec_b64 s[22:23], vcc
	s_cbranch_execz .LBB35_26
; %bb.17:
	v_lshlrev_b64 v[12:13], 8, v[2:3]
	v_lshlrev_b64 v[14:15], 4, v[4:5]
	v_add_co_u32_e32 v12, vcc, v12, v14
	v_addc_co_u32_e32 v1, vcc, v13, v15, vcc
	s_lshl_b64 s[24:25], s[2:3], 6
	s_mul_hi_i32 s7, s2, 3
	s_mul_i32 s13, s2, 3
	s_lshl_b64 s[26:27], s[2:3], 1
	s_lshl_b64 s[30:31], s[2:3], 4
	s_mov_b64 s[28:29], 0
	v_mov_b32_e32 v5, 0
	v_mov_b32_e32 v13, s44
	;; [unrolled: 1-line block ×5, first 2 shown]
	v_pk_mov_b32 v[14:15], v[6:7], v[6:7] op_sel:[0,1]
                                        ; implicit-def: $sgpr34_sgpr35
	s_branch .LBB35_21
.LBB35_18:                              ;   in Loop: Header=BB35_21 Depth=1
	s_or_b64 exec, exec, s[40:41]
	s_orn2_b64 s[40:41], s[42:43], exec
.LBB35_19:                              ;   in Loop: Header=BB35_21 Depth=1
	s_or_b64 exec, exec, s[38:39]
	s_andn2_b64 s[34:35], s[34:35], exec
	s_and_b64 s[38:39], s[40:41], exec
	s_or_b64 s[34:35], s[34:35], s[38:39]
.LBB35_20:                              ;   in Loop: Header=BB35_21 Depth=1
	s_or_b64 exec, exec, s[36:37]
	s_and_b64 s[36:37], exec, s[34:35]
	s_or_b64 s[28:29], s[36:37], s[28:29]
	s_andn2_b64 exec, exec, s[28:29]
	s_cbranch_execz .LBB35_25
.LBB35_21:                              ; =>This Inner Loop Header: Depth=1
	v_add_co_u32_e32 v18, vcc, s33, v12
	v_addc_co_u32_e32 v19, vcc, v13, v1, vcc
	v_add_co_u32_e32 v22, vcc, s45, v12
	v_addc_co_u32_e32 v23, vcc, v25, v1, vcc
	global_load_dwordx4 v[28:31], v[18:19], off
	global_load_dwordx4 v[32:35], v[22:23], off
	v_add_co_u32_e32 v20, vcc, s14, v12
	v_addc_co_u32_e32 v21, vcc, v24, v1, vcc
	global_load_dwordx4 v[38:41], v[20:21], off
	v_add_co_u32_e32 v16, vcc, s2, v14
	v_addc_co_u32_e32 v17, vcc, v15, v26, vcc
	v_cmp_lt_i64_e32 vcc, v[16:17], v[10:11]
	s_or_b64 s[34:35], s[34:35], exec
	s_waitcnt vmcnt(1)
	v_add_f32_e32 v27, v28, v32
	v_add_f32_e32 v28, v29, v33
	;; [unrolled: 1-line block ×4, first 2 shown]
	s_waitcnt lgkmcnt(0)
	v_mul_f32_e32 v27, v36, v27
	v_mul_f32_e32 v28, v36, v28
	;; [unrolled: 1-line block ×4, first 2 shown]
	s_waitcnt vmcnt(0)
	v_mul_f32_e32 v27, v38, v27
	v_mul_f32_e32 v28, v39, v28
	;; [unrolled: 1-line block ×4, first 2 shown]
	v_max3_f32 v5, v5, |v27|, |v28|
	v_max3_f32 v5, v5, |v29|, |v30|
	s_and_saveexec_b64 s[36:37], vcc
	s_cbranch_execz .LBB35_20
; %bb.22:                               ;   in Loop: Header=BB35_21 Depth=1
	v_mov_b32_e32 v27, s31
	v_add_co_u32_e32 v18, vcc, s30, v18
	v_addc_co_u32_e32 v19, vcc, v19, v27, vcc
	v_add_co_u32_e32 v22, vcc, s30, v22
	v_addc_co_u32_e32 v23, vcc, v23, v27, vcc
	global_load_dwordx4 v[28:31], v[18:19], off
	global_load_dwordx4 v[32:35], v[22:23], off
	v_add_co_u32_e32 v20, vcc, s30, v20
	v_addc_co_u32_e32 v21, vcc, v21, v27, vcc
	global_load_dwordx4 v[38:41], v[20:21], off
	v_mov_b32_e32 v27, s27
	v_add_co_u32_e32 v42, vcc, s26, v14
	v_addc_co_u32_e32 v43, vcc, v27, v15, vcc
	v_cmp_lt_i64_e32 vcc, v[42:43], v[10:11]
	s_mov_b64 s[40:41], -1
	s_waitcnt vmcnt(1)
	v_add_f32_e32 v27, v28, v32
	v_add_f32_e32 v28, v29, v33
	;; [unrolled: 1-line block ×4, first 2 shown]
	v_mul_f32_e32 v27, v36, v27
	v_mul_f32_e32 v28, v36, v28
	;; [unrolled: 1-line block ×4, first 2 shown]
	s_waitcnt vmcnt(0)
	v_mul_f32_e32 v27, v38, v27
	v_mul_f32_e32 v28, v39, v28
	;; [unrolled: 1-line block ×4, first 2 shown]
	v_max3_f32 v5, v5, |v27|, |v28|
	v_max3_f32 v5, v5, |v29|, |v30|
	s_and_saveexec_b64 s[38:39], vcc
	s_cbranch_execz .LBB35_19
; %bb.23:                               ;   in Loop: Header=BB35_21 Depth=1
	v_mov_b32_e32 v27, s31
	v_add_co_u32_e32 v18, vcc, s30, v18
	v_addc_co_u32_e32 v19, vcc, v19, v27, vcc
	v_add_co_u32_e32 v22, vcc, s30, v22
	v_addc_co_u32_e32 v23, vcc, v23, v27, vcc
	global_load_dwordx4 v[28:31], v[18:19], off
	global_load_dwordx4 v[32:35], v[22:23], off
	v_add_co_u32_e32 v20, vcc, s30, v20
	v_addc_co_u32_e32 v21, vcc, v21, v27, vcc
	global_load_dwordx4 v[38:41], v[20:21], off
	v_mov_b32_e32 v27, s7
	v_add_co_u32_e32 v14, vcc, s13, v14
	v_addc_co_u32_e32 v15, vcc, v27, v15, vcc
	v_cmp_lt_i64_e32 vcc, v[14:15], v[10:11]
	s_mov_b64 s[42:43], -1
	s_waitcnt vmcnt(1)
	v_add_f32_e32 v14, v28, v32
	v_add_f32_e32 v15, v29, v33
	v_add_f32_e32 v27, v30, v34
	v_add_f32_e32 v28, v31, v35
	v_mul_f32_e32 v14, v36, v14
	v_mul_f32_e32 v15, v36, v15
	;; [unrolled: 1-line block ×4, first 2 shown]
	s_waitcnt vmcnt(0)
	v_mul_f32_e32 v14, v38, v14
	v_mul_f32_e32 v15, v39, v15
	;; [unrolled: 1-line block ×4, first 2 shown]
	v_max3_f32 v5, v5, |v14|, |v15|
	v_max3_f32 v5, v5, |v27|, |v28|
                                        ; implicit-def: $vgpr14_vgpr15
	s_and_saveexec_b64 s[40:41], vcc
	s_xor_b64 s[40:41], exec, s[40:41]
	s_cbranch_execz .LBB35_18
; %bb.24:                               ;   in Loop: Header=BB35_21 Depth=1
	v_mov_b32_e32 v27, s31
	v_add_co_u32_e32 v14, vcc, s30, v18
	v_addc_co_u32_e32 v15, vcc, v19, v27, vcc
	global_load_dwordx4 v[28:31], v[14:15], off
	v_add_co_u32_e32 v14, vcc, s30, v22
	v_addc_co_u32_e32 v15, vcc, v23, v27, vcc
	global_load_dwordx4 v[32:35], v[14:15], off
	v_add_co_u32_e32 v14, vcc, s30, v20
	v_addc_co_u32_e32 v15, vcc, v21, v27, vcc
	global_load_dwordx4 v[18:21], v[14:15], off
	s_add_u32 s17, s2, s2
	s_addc_u32 s42, s3, s3
	v_mov_b32_e32 v14, s25
	v_add_co_u32_e32 v12, vcc, s24, v12
	s_add_u32 s17, s17, s2
	v_addc_co_u32_e32 v1, vcc, v1, v14, vcc
	s_addc_u32 s42, s42, s3
	v_mov_b32_e32 v15, s42
	v_add_co_u32_e32 v14, vcc, s17, v16
	v_addc_co_u32_e32 v15, vcc, v15, v17, vcc
	v_cmp_ge_i64_e32 vcc, v[14:15], v[10:11]
	s_orn2_b64 s[42:43], vcc, exec
	s_waitcnt vmcnt(1)
	v_add_f32_e32 v16, v28, v32
	v_add_f32_e32 v17, v29, v33
	;; [unrolled: 1-line block ×4, first 2 shown]
	v_mul_f32_e32 v16, v36, v16
	v_mul_f32_e32 v17, v36, v17
	;; [unrolled: 1-line block ×4, first 2 shown]
	s_waitcnt vmcnt(0)
	v_mul_f32_e32 v16, v18, v16
	v_mul_f32_e32 v17, v19, v17
	v_mul_f32_e32 v18, v20, v22
	v_mul_f32_e32 v19, v21, v23
	v_max3_f32 v5, v5, |v16|, |v17|
	v_max3_f32 v5, v5, |v18|, |v19|
	s_branch .LBB35_18
.LBB35_25:
	s_or_b64 exec, exec, s[28:29]
.LBB35_26:
	s_or_b64 exec, exec, s[22:23]
	s_lshr_b32 s7, s47, 6
	v_cvt_f32_u32_e32 v10, s7
	v_lshlrev_b32_e32 v1, 2, v0
	ds_write_b32 v1, v5
	s_sub_i32 s23, 0, s7
	v_rcp_iflag_f32_e32 v5, v10
	s_add_i32 s13, s16, s7
	s_add_i32 s13, s13, -1
	s_ashr_i32 s22, s13, 31
	v_mul_f32_e32 v5, 0x4f7ffffe, v5
	v_cvt_u32_f32_e32 v5, v5
	s_abs_i32 s13, s13
	s_ashr_i32 s17, s16, 31
	s_waitcnt lgkmcnt(0)
	v_readfirstlane_b32 s24, v5
	s_mul_i32 s23, s23, s24
	s_mul_hi_u32 s23, s24, s23
	s_add_i32 s24, s24, s23
	s_mul_hi_u32 s23, s13, s24
	s_mul_i32 s24, s23, s7
	s_sub_i32 s13, s13, s24
	s_add_i32 s24, s23, 1
	s_sub_i32 s25, s13, s7
	s_cmp_ge_u32 s13, s7
	s_cselect_b32 s23, s24, s23
	s_cselect_b32 s13, s25, s13
	s_add_i32 s24, s23, 1
	s_cmp_ge_u32 s13, s7
	s_cselect_b32 s13, s24, s23
	s_xor_b32 s13, s13, s22
	s_sub_i32 s22, s13, s22
	s_ashr_i32 s23, s22, 31
	v_cmp_lt_i64_e64 s[24:25], s[22:23], 1
	s_and_b64 vcc, exec, s[24:25]
	s_barrier
	s_cbranch_vccnz .LBB35_48
; %bb.27:
	v_and_b32_e32 v12, 63, v0
	v_add_co_u32_e32 v14, vcc, 32, v12
	v_addc_co_u32_e64 v15, s[24:25], 0, 0, vcc
	v_add_co_u32_e32 v16, vcc, 16, v12
	v_addc_co_u32_e64 v17, s[24:25], 0, 0, vcc
	v_add_co_u32_e32 v18, vcc, 8, v12
	v_lshrrev_b32_e32 v10, 6, v0
	v_addc_co_u32_e64 v19, s[24:25], 0, 0, vcc
	v_add_co_u32_e32 v20, vcc, 4, v12
	v_addc_co_u32_e64 v21, s[24:25], 0, 0, vcc
	v_add_co_u32_e32 v22, vcc, 2, v12
	v_mul_lo_u32 v5, s2, v10
	v_addc_co_u32_e64 v23, s[24:25], 0, 0, vcc
	v_add_co_u32_e32 v24, vcc, 1, v12
	v_lshlrev_b32_e32 v5, 2, v5
	v_lshlrev_b32_e32 v26, 2, v12
	s_movk_i32 s13, 0x100
	v_mov_b32_e32 v11, 0
	v_addc_co_u32_e64 v25, s[24:25], 0, 0, vcc
	v_add3_u32 v5, v5, v26, s13
	s_mul_i32 s13, s2, s7
	v_mov_b32_e32 v13, v11
	s_lshl_b32 s13, s13, 2
	s_mov_b64 s[24:25], 0
	v_mov_b32_e32 v37, s7
	s_mov_b64 s[26:27], src_shared_base
	s_branch .LBB35_30
.LBB35_28:                              ;   in Loop: Header=BB35_30 Depth=1
	s_or_b64 exec, exec, s[30:31]
	v_mov_b32_e32 v27, s27
	flat_load_dword v26, v[26:27] glc
	s_waitcnt vmcnt(0)
.LBB35_29:                              ;   in Loop: Header=BB35_30 Depth=1
	s_or_b64 exec, exec, s[28:29]
	s_add_u32 s24, s24, 1
	s_addc_u32 s25, s25, 0
	s_cmp_eq_u64 s[24:25], s[22:23]
	v_add_u32_e32 v5, s13, v5
	s_cbranch_scc1 .LBB35_48
.LBB35_30:                              ; =>This Loop Header: Depth=1
                                        ;     Child Loop BB35_33 Depth 2
	v_mad_u64_u32 v[30:31], s[28:29], s24, v37, v[10:11]
	s_mul_i32 s26, s25, s7
	v_add_u32_e32 v31, s26, v31
	v_cmp_gt_i64_e32 vcc, s[16:17], v[30:31]
	s_and_saveexec_b64 s[28:29], vcc
	s_cbranch_execz .LBB35_29
; %bb.31:                               ;   in Loop: Header=BB35_30 Depth=1
	v_pk_mov_b32 v[32:33], s[2:3], s[2:3] op_sel:[0,1]
	v_mul_lo_u32 v29, v31, s2
	v_mul_lo_u32 v38, v30, s3
	v_mad_u64_u32 v[32:33], s[30:31], v30, s2, v[32:33]
	v_add3_u32 v33, v29, v33, v38
	v_mov_b32_e32 v28, s21
	v_cmp_gt_i64_e32 vcc, s[20:21], v[32:33]
	s_waitcnt lgkmcnt(0)
	v_mad_u64_u32 v[26:27], s[30:31], v30, s2, v[12:13]
	v_cndmask_b32_e32 v33, v28, v33, vcc
	v_mov_b32_e32 v28, s20
	v_add3_u32 v27, v29, v27, v38
	v_cndmask_b32_e32 v32, v28, v32, vcc
	v_add_co_u32_e32 v34, vcc, 64, v26
	v_addc_co_u32_e32 v35, vcc, 0, v27, vcc
	v_cmp_lt_i64_e32 vcc, v[34:35], v[32:33]
	v_lshlrev_b32_e32 v28, 2, v26
	s_and_saveexec_b64 s[30:31], vcc
	s_cbranch_execz .LBB35_34
; %bb.32:                               ;   in Loop: Header=BB35_30 Depth=1
	ds_read_b32 v31, v28
	s_mov_b64 s[34:35], 0
	v_mov_b32_e32 v27, v5
.LBB35_33:                              ;   Parent Loop BB35_30 Depth=1
                                        ; =>  This Inner Loop Header: Depth=2
	ds_read_b32 v39, v27
	v_add_co_u32_e32 v34, vcc, 64, v34
	v_addc_co_u32_e32 v35, vcc, 0, v35, vcc
	s_waitcnt lgkmcnt(1)
	v_max_f32_e32 v31, v31, v31
	v_cmp_ge_i64_e32 vcc, v[34:35], v[32:33]
	s_waitcnt lgkmcnt(0)
	v_max_f32_e32 v39, v39, v39
	v_add_u32_e32 v27, 0x100, v27
	s_or_b64 s[34:35], vcc, s[34:35]
	v_max_f32_e32 v31, v31, v39
	ds_write_b32 v28, v31
	s_andn2_b64 exec, exec, s[34:35]
	s_cbranch_execnz .LBB35_33
.LBB35_34:                              ;   in Loop: Header=BB35_30 Depth=1
	s_or_b64 exec, exec, s[30:31]
	v_mad_u64_u32 v[30:31], s[30:31], v30, s2, 0
	v_add3_u32 v27, v31, v38, v29
	v_sub_co_u32_e32 v30, vcc, v32, v30
	v_subb_co_u32_e32 v31, vcc, v33, v27, vcc
	v_cmp_gt_i64_e32 vcc, 64, v[30:31]
	v_cndmask_b32_e32 v31, 0, v31, vcc
	v_cndmask_b32_e32 v30, 64, v30, vcc
	v_cmp_lt_i64_e32 vcc, v[14:15], v[30:31]
	s_and_saveexec_b64 s[30:31], vcc
	s_cbranch_execnz .LBB35_46
; %bb.35:                               ;   in Loop: Header=BB35_30 Depth=1
	s_or_b64 exec, exec, s[30:31]
	v_cmp_lt_i64_e32 vcc, v[16:17], v[30:31]
	s_and_saveexec_b64 s[30:31], vcc
	s_cbranch_execnz .LBB35_47
.LBB35_36:                              ;   in Loop: Header=BB35_30 Depth=1
	s_or_b64 exec, exec, s[30:31]
	v_cmp_lt_i64_e32 vcc, v[18:19], v[30:31]
	s_and_saveexec_b64 s[30:31], vcc
	s_cbranch_execz .LBB35_38
.LBB35_37:                              ;   in Loop: Header=BB35_30 Depth=1
	v_mov_b32_e32 v29, s27
	v_add_u32_e32 v32, 32, v28
	v_mov_b32_e32 v33, s27
	flat_load_dword v27, v[28:29] glc
	s_waitcnt vmcnt(0)
	flat_load_dword v34, v[32:33] glc
	s_waitcnt vmcnt(0) lgkmcnt(0)
	v_max_f32_e32 v27, v27, v27
	v_max_f32_e32 v32, v34, v34
	;; [unrolled: 1-line block ×3, first 2 shown]
	flat_store_dword v[28:29], v27
	s_waitcnt vmcnt(0)
.LBB35_38:                              ;   in Loop: Header=BB35_30 Depth=1
	s_or_b64 exec, exec, s[30:31]
	v_cmp_ge_i64_e32 vcc, v[20:21], v[30:31]
	s_and_saveexec_b64 s[30:31], vcc
	s_xor_b64 s[30:31], exec, s[30:31]
; %bb.39:                               ;   in Loop: Header=BB35_30 Depth=1
                                        ; implicit-def: $vgpr28
; %bb.40:                               ;   in Loop: Header=BB35_30 Depth=1
	s_andn2_saveexec_b64 s[30:31], s[30:31]
	s_cbranch_execz .LBB35_42
; %bb.41:                               ;   in Loop: Header=BB35_30 Depth=1
	v_mov_b32_e32 v29, s27
	v_add_u32_e32 v32, 16, v28
	v_mov_b32_e32 v33, s27
	flat_load_dword v27, v[28:29] glc
	s_waitcnt vmcnt(0)
	flat_load_dword v34, v[32:33] glc
	s_waitcnt vmcnt(0) lgkmcnt(0)
	v_max_f32_e32 v27, v27, v27
	v_max_f32_e32 v32, v34, v34
	;; [unrolled: 1-line block ×3, first 2 shown]
	flat_store_dword v[28:29], v27
	s_waitcnt vmcnt(0)
.LBB35_42:                              ;   in Loop: Header=BB35_30 Depth=1
	s_or_b64 exec, exec, s[30:31]
	v_cmp_lt_i64_e32 vcc, v[22:23], v[30:31]
	v_lshlrev_b32_e32 v26, 2, v26
	s_and_saveexec_b64 s[30:31], vcc
	s_cbranch_execz .LBB35_44
; %bb.43:                               ;   in Loop: Header=BB35_30 Depth=1
	v_mov_b32_e32 v27, s27
	v_add_u32_e32 v28, 8, v26
	v_mov_b32_e32 v29, s27
	flat_load_dword v32, v[26:27] glc
	s_waitcnt vmcnt(0)
	flat_load_dword v33, v[28:29] glc
	s_waitcnt vmcnt(0) lgkmcnt(0)
	v_max_f32_e32 v28, v32, v32
	v_max_f32_e32 v29, v33, v33
	;; [unrolled: 1-line block ×3, first 2 shown]
	flat_store_dword v[26:27], v28
	s_waitcnt vmcnt(0)
.LBB35_44:                              ;   in Loop: Header=BB35_30 Depth=1
	s_or_b64 exec, exec, s[30:31]
	v_cmp_lt_i64_e32 vcc, v[24:25], v[30:31]
	s_and_saveexec_b64 s[30:31], vcc
	s_cbranch_execz .LBB35_28
; %bb.45:                               ;   in Loop: Header=BB35_30 Depth=1
	v_mov_b32_e32 v27, s27
	v_add_u32_e32 v28, 4, v26
	v_mov_b32_e32 v29, s27
	flat_load_dword v30, v[26:27] glc
	s_waitcnt vmcnt(0)
	flat_load_dword v31, v[28:29] glc
	s_waitcnt vmcnt(0) lgkmcnt(0)
	v_max_f32_e32 v28, v30, v30
	v_max_f32_e32 v29, v31, v31
	;; [unrolled: 1-line block ×3, first 2 shown]
	flat_store_dword v[26:27], v28
	s_waitcnt vmcnt(0)
	s_branch .LBB35_28
.LBB35_46:                              ;   in Loop: Header=BB35_30 Depth=1
	v_mov_b32_e32 v29, s27
	v_add_u32_e32 v32, 0x80, v28
	v_mov_b32_e32 v33, s27
	flat_load_dword v27, v[28:29] glc
	s_waitcnt vmcnt(0)
	flat_load_dword v34, v[32:33] glc
	s_waitcnt vmcnt(0) lgkmcnt(0)
	v_max_f32_e32 v27, v27, v27
	v_max_f32_e32 v32, v34, v34
	;; [unrolled: 1-line block ×3, first 2 shown]
	flat_store_dword v[28:29], v27
	s_waitcnt vmcnt(0)
	s_or_b64 exec, exec, s[30:31]
	v_cmp_lt_i64_e32 vcc, v[16:17], v[30:31]
	s_and_saveexec_b64 s[30:31], vcc
	s_cbranch_execz .LBB35_36
.LBB35_47:                              ;   in Loop: Header=BB35_30 Depth=1
	v_mov_b32_e32 v29, s27
	v_add_u32_e32 v32, 64, v28
	v_mov_b32_e32 v33, s27
	flat_load_dword v27, v[28:29] glc
	s_waitcnt vmcnt(0)
	flat_load_dword v34, v[32:33] glc
	s_waitcnt vmcnt(0) lgkmcnt(0)
	v_max_f32_e32 v27, v27, v27
	v_max_f32_e32 v32, v34, v34
	;; [unrolled: 1-line block ×3, first 2 shown]
	flat_store_dword v[28:29], v27
	s_waitcnt vmcnt(0)
	s_or_b64 exec, exec, s[30:31]
	v_cmp_lt_i64_e32 vcc, v[18:19], v[30:31]
	s_and_saveexec_b64 s[30:31], vcc
	s_cbranch_execnz .LBB35_37
	s_branch .LBB35_38
.LBB35_48:
	v_cmp_eq_u32_e32 vcc, 0, v4
	v_cmp_lt_i64_e64 s[2:3], v[6:7], v[8:9]
	s_and_b64 s[22:23], vcc, s[2:3]
	s_mul_i32 s17, s17, s6
	s_mul_hi_u32 s21, s16, s6
	s_mul_i32 s2, s16, s6
	s_waitcnt lgkmcnt(0)
	s_barrier
	s_and_saveexec_b64 s[6:7], s[22:23]
	s_cbranch_execz .LBB35_52
; %bb.49:
	s_load_dwordx2 s[4:5], s[4:5], 0x20
	ds_read_b32 v1, v1
	s_waitcnt lgkmcnt(0)
	s_cmp_eq_u64 s[4:5], 0
	s_cbranch_scc1 .LBB35_51
; %bb.50:
	s_load_dword s3, s[4:5], 0x0
	v_max_f32_e32 v1, v1, v1
	s_waitcnt lgkmcnt(0)
	v_max_f32_e64 v4, s3, s3
	v_min_f32_e32 v1, v1, v4
.LBB35_51:
	s_mov_b32 s3, 0x42fe0000
	v_div_scale_f32 v4, s[4:5], s3, s3, v1
	v_rcp_f32_e32 v5, v4
	v_div_scale_f32 v6, vcc, v1, s3, v1
	v_lshlrev_b64 v[2:3], 2, v[2:3]
	v_fma_f32 v7, -v4, v5, 1.0
	v_fmac_f32_e32 v5, v7, v5
	v_mul_f32_e32 v7, v6, v5
	v_fma_f32 v8, -v4, v7, v6
	v_fmac_f32_e32 v7, v8, v5
	v_fma_f32 v4, -v4, v7, v6
	v_div_fmas_f32 v4, v4, v5, v7
	v_div_fixup_f32 v1, v4, s3, v1
	s_add_i32 s3, s21, s17
	s_lshl_b64 s[4:5], s[2:3], 2
	s_add_u32 s3, s10, s4
	s_addc_u32 s4, s11, s5
	v_mov_b32_e32 v4, s4
	v_add_co_u32_e32 v2, vcc, s3, v2
	v_max_f32_e32 v1, 0x34000000, v1
	v_addc_co_u32_e32 v3, vcc, v4, v3, vcc
	global_store_dword v[2:3], v1, off
.LBB35_52:
	s_or_b64 exec, exec, s[6:7]
	s_barrier
	s_and_saveexec_b64 s[4:5], s[0:1]
	s_cbranch_execz .LBB35_61
; %bb.53:
	s_add_u32 s13, s8, s18
	s_addc_u32 s20, s9, s19
	s_add_i32 s3, s21, s17
	s_lshl_b64 s[0:1], s[2:3], 2
	s_add_u32 s2, s10, s0
	s_addc_u32 s3, s11, s1
	s_add_i32 s25, s47, s47
	s_mul_i32 s21, s47, 3
	s_lshl_b32 s22, s47, 1
	s_mov_b64 s[4:5], 0
	v_mov_b32_e32 v1, 0
	v_mov_b32_e32 v6, s44
	;; [unrolled: 1-line block ×4, first 2 shown]
	s_mov_b32 s23, 0x42fe0000
	v_mov_b32_e32 v9, 0x42fe0000
	s_mov_b32 s24, 0xc3000000
	v_mov_b32_e32 v10, 0xc3000000
	v_mov_b32_e32 v11, s20
	s_add_i32 s25, s25, s47
	v_mov_b32_e32 v12, 8
                                        ; implicit-def: $sgpr6_sgpr7
	s_branch .LBB35_57
.LBB35_54:                              ;   in Loop: Header=BB35_57 Depth=1
	s_or_b64 exec, exec, s[16:17]
	s_orn2_b64 s[16:17], s[18:19], exec
.LBB35_55:                              ;   in Loop: Header=BB35_57 Depth=1
	s_or_b64 exec, exec, s[10:11]
	s_andn2_b64 s[0:1], s[6:7], exec
	s_and_b64 s[6:7], s[16:17], exec
	s_or_b64 s[6:7], s[0:1], s[6:7]
.LBB35_56:                              ;   in Loop: Header=BB35_57 Depth=1
	s_or_b64 exec, exec, s[8:9]
	s_and_b64 s[0:1], exec, s[6:7]
	s_or_b64 s[4:5], s[0:1], s[4:5]
	s_andn2_b64 exec, exec, s[4:5]
	s_cbranch_execz .LBB35_61
.LBB35_57:                              ; =>This Inner Loop Header: Depth=1
	v_lshlrev_b64 v[2:3], 4, v[0:1]
	v_add_co_u32_e32 v4, vcc, s33, v2
	v_addc_co_u32_e32 v5, vcc, v6, v3, vcc
	v_add_co_u32_e32 v26, vcc, s45, v2
	v_addc_co_u32_e32 v27, vcc, v8, v3, vcc
	global_load_dwordx4 v[14:17], v[4:5], off
	global_load_dwordx4 v[18:21], v[26:27], off
	v_lshrrev_b32_e32 v4, 2, v0
	v_and_b32_e32 v4, 0xffffffc, v4
	global_load_dword v13, v4, s[2:3]
	v_add_co_u32_e32 v2, vcc, s14, v2
	v_addc_co_u32_e32 v3, vcc, v7, v3, vcc
	global_load_dwordx4 v[22:25], v[2:3], off
	v_lshlrev_b64 v[4:5], 2, v[0:1]
	v_add_co_u32_e32 v4, vcc, s13, v4
	v_addc_co_u32_e32 v5, vcc, v11, v5, vcc
	v_add_u32_e32 v2, s47, v0
	v_cmp_gt_u32_e64 s[0:1], s12, v2
	s_or_b64 s[6:7], s[6:7], exec
	s_waitcnt vmcnt(2)
	v_pk_add_f32 v[14:15], v[14:15], v[18:19]
	v_pk_add_f32 v[16:17], v[16:17], v[20:21]
	global_store_dwordx4 v[26:27], v[14:17], off
	s_waitcnt vmcnt(2)
	v_div_scale_f32 v3, s[8:9], v13, v13, 1.0
	v_rcp_f32_e32 v19, v3
	v_div_scale_f32 v18, vcc, 1.0, v13, 1.0
	v_mul_f32_e32 v14, v36, v14
	v_fma_f32 v20, -v3, v19, 1.0
	v_fmac_f32_e32 v19, v20, v19
	v_mul_f32_e32 v20, v18, v19
	v_fma_f32 v21, -v3, v20, v18
	v_fmac_f32_e32 v20, v21, v19
	v_fma_f32 v3, -v3, v20, v18
	v_div_fmas_f32 v3, v3, v19, v20
	v_mul_f32_e32 v15, v36, v15
	s_waitcnt vmcnt(1)
	v_mul_f32_e32 v14, v22, v14
	v_div_fixup_f32 v3, v3, v13, 1.0
	v_mul_f32_e32 v16, v36, v16
	v_mul_f32_e32 v15, v23, v15
	;; [unrolled: 1-line block ×6, first 2 shown]
	v_rndne_f32_e32 v13, v13
	v_mul_f32_e32 v17, v25, v17
	v_mul_f32_e32 v15, v16, v3
	v_rndne_f32_e32 v14, v14
	v_cmp_nlt_f32_e32 vcc, s23, v13
	v_mul_f32_e32 v3, v17, v3
	v_rndne_f32_e32 v15, v15
	v_cndmask_b32_e32 v16, v9, v13, vcc
	v_cmp_nlt_f32_e32 vcc, s23, v14
	v_rndne_f32_e32 v3, v3
	v_cndmask_b32_e32 v17, v9, v14, vcc
	v_cmp_nlt_f32_e32 vcc, s23, v15
	v_cndmask_b32_e32 v18, v9, v15, vcc
	v_cmp_nlt_f32_e32 vcc, s23, v3
	v_cndmask_b32_e32 v19, v9, v3, vcc
	v_cmp_ngt_f32_e32 vcc, s24, v13
	v_cndmask_b32_e32 v13, v10, v16, vcc
	v_cmp_ngt_f32_e32 vcc, s24, v14
	;; [unrolled: 2-line block ×4, first 2 shown]
	v_cvt_i32_f32_e32 v15, v15
	v_cndmask_b32_e32 v3, v10, v19, vcc
	v_cvt_i32_f32_e32 v14, v14
	v_cvt_i32_f32_e32 v13, v13
	;; [unrolled: 1-line block ×3, first 2 shown]
	v_and_b32_e32 v15, 0xff, v15
	v_lshlrev_b32_e32 v15, 16, v15
	v_lshlrev_b32_sdwa v14, v12, v14 dst_sel:DWORD dst_unused:UNUSED_PAD src0_sel:DWORD src1_sel:BYTE_0
	v_and_b32_e32 v13, 0xff, v13
	v_lshl_or_b32 v3, v3, 24, v15
	v_or3_b32 v3, v3, v14, v13
	global_store_dword v[4:5], v3, off
	s_and_saveexec_b64 s[8:9], s[0:1]
	s_cbranch_execz .LBB35_56
; %bb.58:                               ;   in Loop: Header=BB35_57 Depth=1
	v_mov_b32_e32 v3, v1
	v_lshlrev_b64 v[4:5], 4, v[2:3]
	v_add_co_u32_e32 v22, vcc, s33, v4
	v_lshrrev_b32_e32 v13, 2, v2
	v_addc_co_u32_e32 v23, vcc, v6, v5, vcc
	v_and_b32_e32 v13, 0xffffffc, v13
	global_load_dword v13, v13, s[2:3]
	v_add_co_u32_e32 v26, vcc, s45, v4
	v_addc_co_u32_e32 v27, vcc, v8, v5, vcc
	global_load_dwordx4 v[14:17], v[22:23], off
	global_load_dwordx4 v[18:21], v[26:27], off
	v_add_co_u32_e32 v4, vcc, s14, v4
	v_addc_co_u32_e32 v5, vcc, v7, v5, vcc
	global_load_dwordx4 v[22:25], v[4:5], off
	v_lshlrev_b64 v[28:29], 2, v[2:3]
	v_add_co_u32_e32 v28, vcc, s13, v28
	v_addc_co_u32_e32 v29, vcc, v11, v29, vcc
	v_add_u32_e32 v4, s22, v0
	v_cmp_gt_u32_e64 s[0:1], s12, v4
	s_mov_b64 s[16:17], -1
	s_waitcnt vmcnt(3)
	v_div_scale_f32 v3, s[10:11], v13, v13, 1.0
	v_div_scale_f32 v5, vcc, 1.0, v13, 1.0
	s_waitcnt vmcnt(1)
	v_pk_add_f32 v[14:15], v[14:15], v[18:19]
	v_rcp_f32_e32 v18, v3
	v_pk_add_f32 v[16:17], v[16:17], v[20:21]
	global_store_dwordx4 v[26:27], v[14:17], off
	v_fma_f32 v19, -v3, v18, 1.0
	v_fmac_f32_e32 v18, v19, v18
	v_mul_f32_e32 v19, v5, v18
	v_fma_f32 v20, -v3, v19, v5
	v_fmac_f32_e32 v19, v20, v18
	v_fma_f32 v3, -v3, v19, v5
	v_mul_f32_e32 v14, v36, v14
	v_div_fmas_f32 v3, v3, v18, v19
	v_mul_f32_e32 v15, v36, v15
	s_waitcnt vmcnt(1)
	v_mul_f32_e32 v14, v22, v14
	v_div_fixup_f32 v3, v3, v13, 1.0
	v_mul_f32_e32 v16, v36, v16
	v_mul_f32_e32 v15, v23, v15
	;; [unrolled: 1-line block ×6, first 2 shown]
	v_rndne_f32_e32 v5, v5
	v_mul_f32_e32 v17, v25, v17
	v_mul_f32_e32 v14, v16, v3
	v_rndne_f32_e32 v13, v13
	v_cmp_nlt_f32_e32 vcc, s23, v5
	v_mul_f32_e32 v3, v17, v3
	v_rndne_f32_e32 v14, v14
	v_cndmask_b32_e32 v15, v9, v5, vcc
	v_cmp_nlt_f32_e32 vcc, s23, v13
	v_rndne_f32_e32 v3, v3
	v_cndmask_b32_e32 v16, v9, v13, vcc
	v_cmp_nlt_f32_e32 vcc, s23, v14
	v_cndmask_b32_e32 v17, v9, v14, vcc
	v_cmp_nlt_f32_e32 vcc, s23, v3
	v_cndmask_b32_e32 v18, v9, v3, vcc
	v_cmp_ngt_f32_e32 vcc, s24, v5
	v_cndmask_b32_e32 v5, v10, v15, vcc
	v_cmp_ngt_f32_e32 vcc, s24, v13
	;; [unrolled: 2-line block ×4, first 2 shown]
	v_cvt_i32_f32_e32 v14, v14
	v_cndmask_b32_e32 v3, v10, v18, vcc
	v_cvt_i32_f32_e32 v13, v13
	v_cvt_i32_f32_e32 v5, v5
	;; [unrolled: 1-line block ×3, first 2 shown]
	v_and_b32_e32 v14, 0xff, v14
	v_lshlrev_b32_e32 v14, 16, v14
	v_lshlrev_b32_sdwa v13, v12, v13 dst_sel:DWORD dst_unused:UNUSED_PAD src0_sel:DWORD src1_sel:BYTE_0
	v_and_b32_e32 v5, 0xff, v5
	v_lshl_or_b32 v3, v3, 24, v14
	v_or3_b32 v3, v3, v13, v5
	global_store_dword v[28:29], v3, off
	s_and_saveexec_b64 s[10:11], s[0:1]
	s_cbranch_execz .LBB35_55
; %bb.59:                               ;   in Loop: Header=BB35_57 Depth=1
	v_mov_b32_e32 v5, v1
	v_lshlrev_b64 v[22:23], 4, v[4:5]
	v_mov_b32_e32 v3, s44
	v_add_co_u32_e32 v24, vcc, s33, v22
	v_lshrrev_b32_e32 v13, 2, v4
	v_addc_co_u32_e32 v25, vcc, v3, v23, vcc
	v_and_b32_e32 v13, 0xffffffc, v13
	v_mov_b32_e32 v3, s46
	global_load_dword v13, v13, s[2:3]
	v_add_co_u32_e32 v26, vcc, s45, v22
	v_addc_co_u32_e32 v27, vcc, v3, v23, vcc
	global_load_dwordx4 v[14:17], v[24:25], off
	global_load_dwordx4 v[18:21], v[26:27], off
	v_mov_b32_e32 v3, s15
	v_add_co_u32_e32 v22, vcc, s14, v22
	v_addc_co_u32_e32 v23, vcc, v3, v23, vcc
	global_load_dwordx4 v[22:25], v[22:23], off
	v_lshlrev_b64 v[4:5], 2, v[4:5]
	v_mov_b32_e32 v3, s20
	v_add_co_u32_e32 v4, vcc, s13, v4
	v_addc_co_u32_e32 v5, vcc, v3, v5, vcc
	v_add_u32_e32 v0, s21, v0
	v_cmp_gt_u32_e64 s[0:1], s12, v0
	s_mov_b64 s[18:19], -1
	s_waitcnt vmcnt(3)
	v_div_scale_f32 v3, s[16:17], v13, v13, 1.0
	v_div_scale_f32 v28, vcc, 1.0, v13, 1.0
	s_waitcnt vmcnt(1)
	v_pk_add_f32 v[14:15], v[14:15], v[18:19]
	v_rcp_f32_e32 v18, v3
	v_pk_add_f32 v[16:17], v[16:17], v[20:21]
	global_store_dwordx4 v[26:27], v[14:17], off
	v_fma_f32 v19, -v3, v18, 1.0
	v_fmac_f32_e32 v18, v19, v18
	v_mul_f32_e32 v19, v28, v18
	v_fma_f32 v20, -v3, v19, v28
	v_fmac_f32_e32 v19, v20, v18
	v_fma_f32 v3, -v3, v19, v28
	v_mul_f32_e32 v14, v36, v14
	v_div_fmas_f32 v3, v3, v18, v19
	v_mul_f32_e32 v15, v36, v15
	s_waitcnt vmcnt(1)
	v_mul_f32_e32 v14, v22, v14
	v_div_fixup_f32 v3, v3, v13, 1.0
	v_mul_f32_e32 v16, v36, v16
	v_mul_f32_e32 v15, v23, v15
	;; [unrolled: 1-line block ×6, first 2 shown]
	v_rndne_f32_e32 v13, v13
	v_mul_f32_e32 v17, v25, v17
	v_mul_f32_e32 v15, v16, v3
	v_rndne_f32_e32 v14, v14
	v_cmp_nlt_f32_e32 vcc, s23, v13
	v_mul_f32_e32 v3, v17, v3
	v_rndne_f32_e32 v15, v15
	v_cndmask_b32_e32 v16, v9, v13, vcc
	v_cmp_nlt_f32_e32 vcc, s23, v14
	v_rndne_f32_e32 v3, v3
	v_cndmask_b32_e32 v17, v9, v14, vcc
	v_cmp_nlt_f32_e32 vcc, s23, v15
	v_cndmask_b32_e32 v18, v9, v15, vcc
	v_cmp_nlt_f32_e32 vcc, s23, v3
	v_cndmask_b32_e32 v19, v9, v3, vcc
	v_cmp_ngt_f32_e32 vcc, s24, v13
	v_cndmask_b32_e32 v13, v10, v16, vcc
	v_cmp_ngt_f32_e32 vcc, s24, v14
	v_cndmask_b32_e32 v14, v10, v17, vcc
	v_cmp_ngt_f32_e32 vcc, s24, v15
	v_cndmask_b32_e32 v15, v10, v18, vcc
	v_cmp_ngt_f32_e32 vcc, s24, v3
	v_cvt_i32_f32_e32 v15, v15
	v_cndmask_b32_e32 v3, v10, v19, vcc
	v_cvt_i32_f32_e32 v14, v14
	v_cvt_i32_f32_e32 v13, v13
	;; [unrolled: 1-line block ×3, first 2 shown]
	v_and_b32_e32 v15, 0xff, v15
	v_lshlrev_b32_e32 v15, 16, v15
	v_lshlrev_b32_sdwa v14, v12, v14 dst_sel:DWORD dst_unused:UNUSED_PAD src0_sel:DWORD src1_sel:BYTE_0
	v_and_b32_e32 v13, 0xff, v13
	v_lshl_or_b32 v3, v3, 24, v15
	v_or3_b32 v3, v3, v14, v13
	global_store_dword v[4:5], v3, off
	s_and_saveexec_b64 s[16:17], s[0:1]
	s_cbranch_execz .LBB35_54
; %bb.60:                               ;   in Loop: Header=BB35_57 Depth=1
	v_lshlrev_b64 v[4:5], 4, v[0:1]
	v_mov_b32_e32 v3, s44
	v_add_co_u32_e32 v22, vcc, s33, v4
	v_addc_co_u32_e32 v23, vcc, v3, v5, vcc
	v_mov_b32_e32 v3, s46
	v_add_co_u32_e32 v26, vcc, s45, v4
	v_addc_co_u32_e32 v27, vcc, v3, v5, vcc
	v_lshrrev_b32_e32 v3, 2, v0
	v_and_b32_e32 v3, 0xffffffc, v3
	global_load_dwordx4 v[14:17], v[22:23], off
	global_load_dwordx4 v[18:21], v[26:27], off
	global_load_dword v13, v3, s[2:3]
	v_mov_b32_e32 v3, s15
	v_add_co_u32_e32 v4, vcc, s14, v4
	v_addc_co_u32_e32 v5, vcc, v3, v5, vcc
	global_load_dwordx4 v[22:25], v[4:5], off
	v_lshlrev_b64 v[4:5], 2, v[0:1]
	v_mov_b32_e32 v3, s20
	v_add_co_u32_e32 v28, vcc, s13, v4
	v_add_u32_e32 v0, s25, v2
	v_addc_co_u32_e32 v29, vcc, v3, v5, vcc
	v_cmp_le_u32_e64 s[0:1], s12, v0
	s_waitcnt vmcnt(2)
	v_pk_add_f32 v[2:3], v[14:15], v[18:19]
	s_waitcnt vmcnt(1)
	v_div_scale_f32 v14, s[18:19], v13, v13, 1.0
	v_pk_add_f32 v[4:5], v[16:17], v[20:21]
	v_rcp_f32_e32 v16, v14
	v_div_scale_f32 v15, vcc, 1.0, v13, 1.0
	global_store_dwordx4 v[26:27], v[2:5], off
	v_fma_f32 v17, -v14, v16, 1.0
	v_fmac_f32_e32 v16, v17, v16
	v_mul_f32_e32 v17, v15, v16
	v_fma_f32 v18, -v14, v17, v15
	v_fmac_f32_e32 v17, v18, v16
	v_fma_f32 v14, -v14, v17, v15
	v_mul_f32_e32 v2, v36, v2
	v_div_fmas_f32 v14, v14, v16, v17
	v_mul_f32_e32 v3, v36, v3
	s_waitcnt vmcnt(1)
	v_mul_f32_e32 v2, v22, v2
	v_div_fixup_f32 v13, v14, v13, 1.0
	v_mul_f32_e32 v4, v36, v4
	v_mul_f32_e32 v3, v23, v3
	v_mul_f32_e32 v2, v2, v13
	v_mul_f32_e32 v5, v36, v5
	v_mul_f32_e32 v4, v24, v4
	v_mul_f32_e32 v3, v3, v13
	v_rndne_f32_e32 v2, v2
	v_mul_f32_e32 v5, v25, v5
	v_mul_f32_e32 v4, v4, v13
	v_rndne_f32_e32 v3, v3
	v_cmp_nlt_f32_e32 vcc, s23, v2
	v_mul_f32_e32 v5, v5, v13
	v_rndne_f32_e32 v4, v4
	v_cndmask_b32_e32 v13, v9, v2, vcc
	v_cmp_nlt_f32_e32 vcc, s23, v3
	v_rndne_f32_e32 v5, v5
	v_cndmask_b32_e32 v14, v9, v3, vcc
	v_cmp_nlt_f32_e32 vcc, s23, v4
	v_cndmask_b32_e32 v15, v9, v4, vcc
	v_cmp_nlt_f32_e32 vcc, s23, v5
	v_cndmask_b32_e32 v16, v9, v5, vcc
	v_cmp_ngt_f32_e32 vcc, s24, v2
	v_cndmask_b32_e32 v2, v10, v13, vcc
	v_cmp_ngt_f32_e32 vcc, s24, v3
	;; [unrolled: 2-line block ×4, first 2 shown]
	v_cvt_i32_f32_e32 v4, v4
	v_cndmask_b32_e32 v5, v10, v16, vcc
	v_cvt_i32_f32_e32 v3, v3
	v_cvt_i32_f32_e32 v2, v2
	;; [unrolled: 1-line block ×3, first 2 shown]
	v_and_b32_e32 v4, 0xff, v4
	v_lshlrev_b32_e32 v4, 16, v4
	v_lshlrev_b32_sdwa v3, v12, v3 dst_sel:DWORD dst_unused:UNUSED_PAD src0_sel:DWORD src1_sel:BYTE_0
	v_and_b32_e32 v2, 0xff, v2
	v_lshl_or_b32 v4, v5, 24, v4
	v_or3_b32 v2, v4, v3, v2
	s_orn2_b64 s[18:19], s[0:1], exec
	global_store_dword v[28:29], v2, off
	s_branch .LBB35_54
.LBB35_61:
	s_endpgm
	.section	.rodata,"a",@progbits
	.p2align	6, 0x0
	.amdhsa_kernel _ZN4vllm31rms_norm_per_block_quant_kernelIfaLb1ELb0ELi64EEEvPT0_PfPKT_S6_PKffiiPS4_l
		.amdhsa_group_segment_fixed_size 4164
		.amdhsa_private_segment_fixed_size 0
		.amdhsa_kernarg_size 328
		.amdhsa_user_sgpr_count 6
		.amdhsa_user_sgpr_private_segment_buffer 1
		.amdhsa_user_sgpr_dispatch_ptr 0
		.amdhsa_user_sgpr_queue_ptr 0
		.amdhsa_user_sgpr_kernarg_segment_ptr 1
		.amdhsa_user_sgpr_dispatch_id 0
		.amdhsa_user_sgpr_flat_scratch_init 0
		.amdhsa_user_sgpr_kernarg_preload_length 0
		.amdhsa_user_sgpr_kernarg_preload_offset 0
		.amdhsa_user_sgpr_private_segment_size 0
		.amdhsa_uses_dynamic_stack 0
		.amdhsa_system_sgpr_private_segment_wavefront_offset 0
		.amdhsa_system_sgpr_workgroup_id_x 1
		.amdhsa_system_sgpr_workgroup_id_y 0
		.amdhsa_system_sgpr_workgroup_id_z 0
		.amdhsa_system_sgpr_workgroup_info 0
		.amdhsa_system_vgpr_workitem_id 0
		.amdhsa_next_free_vgpr 44
		.amdhsa_next_free_sgpr 48
		.amdhsa_accum_offset 44
		.amdhsa_reserve_vcc 1
		.amdhsa_reserve_flat_scratch 0
		.amdhsa_float_round_mode_32 0
		.amdhsa_float_round_mode_16_64 0
		.amdhsa_float_denorm_mode_32 3
		.amdhsa_float_denorm_mode_16_64 3
		.amdhsa_dx10_clamp 1
		.amdhsa_ieee_mode 1
		.amdhsa_fp16_overflow 0
		.amdhsa_tg_split 0
		.amdhsa_exception_fp_ieee_invalid_op 0
		.amdhsa_exception_fp_denorm_src 0
		.amdhsa_exception_fp_ieee_div_zero 0
		.amdhsa_exception_fp_ieee_overflow 0
		.amdhsa_exception_fp_ieee_underflow 0
		.amdhsa_exception_fp_ieee_inexact 0
		.amdhsa_exception_int_div_zero 0
	.end_amdhsa_kernel
	.section	.text._ZN4vllm31rms_norm_per_block_quant_kernelIfaLb1ELb0ELi64EEEvPT0_PfPKT_S6_PKffiiPS4_l,"axG",@progbits,_ZN4vllm31rms_norm_per_block_quant_kernelIfaLb1ELb0ELi64EEEvPT0_PfPKT_S6_PKffiiPS4_l,comdat
.Lfunc_end35:
	.size	_ZN4vllm31rms_norm_per_block_quant_kernelIfaLb1ELb0ELi64EEEvPT0_PfPKT_S6_PKffiiPS4_l, .Lfunc_end35-_ZN4vllm31rms_norm_per_block_quant_kernelIfaLb1ELb0ELi64EEEvPT0_PfPKT_S6_PKffiiPS4_l
                                        ; -- End function
	.section	.AMDGPU.csdata,"",@progbits
; Kernel info:
; codeLenInByte = 5872
; NumSgprs: 52
; NumVgprs: 44
; NumAgprs: 0
; TotalNumVgprs: 44
; ScratchSize: 0
; MemoryBound: 0
; FloatMode: 240
; IeeeMode: 1
; LDSByteSize: 4164 bytes/workgroup (compile time only)
; SGPRBlocks: 6
; VGPRBlocks: 5
; NumSGPRsForWavesPerEU: 52
; NumVGPRsForWavesPerEU: 44
; AccumOffset: 44
; Occupancy: 8
; WaveLimiterHint : 0
; COMPUTE_PGM_RSRC2:SCRATCH_EN: 0
; COMPUTE_PGM_RSRC2:USER_SGPR: 6
; COMPUTE_PGM_RSRC2:TRAP_HANDLER: 0
; COMPUTE_PGM_RSRC2:TGID_X_EN: 1
; COMPUTE_PGM_RSRC2:TGID_Y_EN: 0
; COMPUTE_PGM_RSRC2:TGID_Z_EN: 0
; COMPUTE_PGM_RSRC2:TIDIG_COMP_CNT: 0
; COMPUTE_PGM_RSRC3_GFX90A:ACCUM_OFFSET: 10
; COMPUTE_PGM_RSRC3_GFX90A:TG_SPLIT: 0
	.section	.text._ZN4vllm31rms_norm_per_block_quant_kernelIfN3c1013Float8_e4m3fnELb0ELb1ELi64EEEvPT0_PfPKT_S8_PKffiiPS6_l,"axG",@progbits,_ZN4vllm31rms_norm_per_block_quant_kernelIfN3c1013Float8_e4m3fnELb0ELb1ELi64EEEvPT0_PfPKT_S8_PKffiiPS6_l,comdat
	.protected	_ZN4vllm31rms_norm_per_block_quant_kernelIfN3c1013Float8_e4m3fnELb0ELb1ELi64EEEvPT0_PfPKT_S8_PKffiiPS6_l ; -- Begin function _ZN4vllm31rms_norm_per_block_quant_kernelIfN3c1013Float8_e4m3fnELb0ELb1ELi64EEEvPT0_PfPKT_S8_PKffiiPS6_l
	.globl	_ZN4vllm31rms_norm_per_block_quant_kernelIfN3c1013Float8_e4m3fnELb0ELb1ELi64EEEvPT0_PfPKT_S8_PKffiiPS6_l
	.p2align	8
	.type	_ZN4vllm31rms_norm_per_block_quant_kernelIfN3c1013Float8_e4m3fnELb0ELb1ELi64EEEvPT0_PfPKT_S8_PKffiiPS6_l,@function
_ZN4vllm31rms_norm_per_block_quant_kernelIfN3c1013Float8_e4m3fnELb0ELb1ELi64EEEvPT0_PfPKT_S8_PKffiiPS6_l: ; @_ZN4vllm31rms_norm_per_block_quant_kernelIfN3c1013Float8_e4m3fnELb0ELb1ELi64EEEvPT0_PfPKT_S8_PKffiiPS6_l
; %bb.0:
	s_load_dwordx4 s[16:19], s[4:5], 0x28
	s_load_dwordx8 s[8:15], s[4:5], 0x0
	s_load_dword s45, s[4:5], 0x48
	s_mov_b32 s7, 0
	v_mov_b32_e32 v1, 0
	s_waitcnt lgkmcnt(0)
	s_ashr_i32 s0, s18, 31
	s_mul_hi_u32 s1, s18, s6
	s_mul_i32 s0, s0, s6
	s_add_i32 s1, s1, s0
	s_mul_i32 s0, s18, s6
	s_lshl_b64 s[0:1], s[0:1], 2
	s_add_u32 s33, s12, s0
	s_addc_u32 s44, s13, s1
	s_ashr_i32 s12, s17, 2
	s_add_u32 s18, s4, 0x48
	s_mov_b32 s20, s17
	v_cmp_gt_u32_e64 s[0:1], s12, v0
	s_addc_u32 s19, s5, 0
	s_and_saveexec_b64 s[2:3], s[0:1]
	s_cbranch_execz .LBB36_10
; %bb.1:
	s_cmp_lt_u32 s6, s45
	s_cselect_b32 s13, 12, 18
	s_add_u32 s22, s18, s13
	s_addc_u32 s23, s19, 0
	v_mov_b32_e32 v3, 0
	global_load_ushort v8, v3, s[22:23]
	s_mov_b64 s[22:23], 0
	v_mov_b32_e32 v9, s44
	v_mov_b32_e32 v2, v0
                                        ; implicit-def: $sgpr24_sgpr25
	s_waitcnt vmcnt(0)
	v_add_u32_e32 v1, v8, v8
	v_mul_lo_u32 v10, v8, 3
	v_lshlrev_b32_e32 v11, 1, v8
	v_add_u32_e32 v12, v1, v8
	v_mov_b32_e32 v1, v3
	s_branch .LBB36_5
.LBB36_2:                               ;   in Loop: Header=BB36_5 Depth=1
	s_or_b64 exec, exec, s[30:31]
	s_orn2_b64 s[30:31], s[34:35], exec
.LBB36_3:                               ;   in Loop: Header=BB36_5 Depth=1
	s_or_b64 exec, exec, s[28:29]
	s_andn2_b64 s[24:25], s[24:25], exec
	s_and_b64 s[28:29], s[30:31], exec
	s_or_b64 s[24:25], s[24:25], s[28:29]
.LBB36_4:                               ;   in Loop: Header=BB36_5 Depth=1
	s_or_b64 exec, exec, s[26:27]
	s_and_b64 s[26:27], exec, s[24:25]
	s_or_b64 s[22:23], s[26:27], s[22:23]
	s_andn2_b64 exec, exec, s[22:23]
	s_cbranch_execz .LBB36_9
.LBB36_5:                               ; =>This Inner Loop Header: Depth=1
	v_lshlrev_b64 v[4:5], 4, v[2:3]
	v_add_co_u32_e32 v4, vcc, s33, v4
	v_addc_co_u32_e32 v5, vcc, v9, v5, vcc
	global_load_dwordx4 v[14:17], v[4:5], off
	v_add_u32_e32 v4, v2, v8
	v_cmp_gt_u32_e32 vcc, s12, v4
	s_or_b64 s[24:25], s[24:25], exec
	s_waitcnt vmcnt(0)
	v_fmac_f32_e32 v1, v14, v14
	v_fmac_f32_e32 v1, v15, v15
	;; [unrolled: 1-line block ×4, first 2 shown]
	s_and_saveexec_b64 s[26:27], vcc
	s_cbranch_execz .LBB36_4
; %bb.6:                                ;   in Loop: Header=BB36_5 Depth=1
	v_mov_b32_e32 v5, v3
	v_lshlrev_b64 v[6:7], 4, v[4:5]
	v_add_co_u32_e32 v6, vcc, s33, v6
	v_addc_co_u32_e32 v7, vcc, v9, v7, vcc
	global_load_dwordx4 v[14:17], v[6:7], off
	v_add_u32_e32 v6, v11, v2
	v_cmp_gt_u32_e32 vcc, s12, v6
	s_mov_b64 s[30:31], -1
	s_waitcnt vmcnt(0)
	v_fmac_f32_e32 v1, v14, v14
	v_fmac_f32_e32 v1, v15, v15
	;; [unrolled: 1-line block ×4, first 2 shown]
	s_and_saveexec_b64 s[28:29], vcc
	s_cbranch_execz .LBB36_3
; %bb.7:                                ;   in Loop: Header=BB36_5 Depth=1
	v_mov_b32_e32 v7, v3
	v_lshlrev_b64 v[6:7], 4, v[6:7]
	v_add_co_u32_e32 v6, vcc, s33, v6
	v_addc_co_u32_e32 v7, vcc, v9, v7, vcc
	global_load_dwordx4 v[14:17], v[6:7], off
	v_add_u32_e32 v2, v10, v2
	v_cmp_gt_u32_e32 vcc, s12, v2
	s_mov_b64 s[34:35], -1
	s_waitcnt vmcnt(0)
	v_fmac_f32_e32 v1, v14, v14
	v_fmac_f32_e32 v1, v15, v15
	v_fmac_f32_e32 v1, v16, v16
	v_fmac_f32_e32 v1, v17, v17
	s_and_saveexec_b64 s[30:31], vcc
	s_xor_b64 s[30:31], exec, s[30:31]
	s_cbranch_execz .LBB36_2
; %bb.8:                                ;   in Loop: Header=BB36_5 Depth=1
	v_lshlrev_b64 v[6:7], 4, v[2:3]
	v_add_co_u32_e32 v6, vcc, s33, v6
	v_addc_co_u32_e32 v7, vcc, v9, v7, vcc
	global_load_dwordx4 v[14:17], v[6:7], off
	v_add_u32_e32 v2, v12, v4
	v_cmp_le_u32_e32 vcc, s12, v2
	s_orn2_b64 s[34:35], vcc, exec
	s_waitcnt vmcnt(0)
	v_fmac_f32_e32 v1, v14, v14
	v_fmac_f32_e32 v1, v15, v15
	;; [unrolled: 1-line block ×4, first 2 shown]
	s_branch .LBB36_2
.LBB36_9:
	s_or_b64 exec, exec, s[22:23]
.LBB36_10:
	s_or_b64 exec, exec, s[2:3]
	v_mbcnt_lo_u32_b32 v2, -1, 0
	v_mbcnt_hi_u32_b32 v2, -1, v2
	v_and_b32_e32 v3, 63, v2
	v_cmp_ne_u32_e32 vcc, 63, v3
	s_load_dword s2, s[18:19], 0xc
	v_addc_co_u32_e32 v4, vcc, 0, v2, vcc
	v_lshlrev_b32_e32 v4, 2, v4
	ds_bpermute_b32 v4, v4, v1
	s_waitcnt lgkmcnt(0)
	s_and_b32 s13, s2, 0xffff
	v_and_b32_e32 v5, 0x3c0, v0
	v_sub_u32_e64 v5, s13, v5 clamp
	v_add_u32_e32 v6, 1, v2
	v_add_f32_e32 v4, v1, v4
	v_cmp_lt_u32_e32 vcc, v6, v5
	v_cndmask_b32_e32 v1, v1, v4, vcc
	v_cmp_gt_u32_e32 vcc, 62, v3
	v_cndmask_b32_e64 v4, 0, 1, vcc
	v_lshlrev_b32_e32 v4, 1, v4
	v_add_lshl_u32 v4, v4, v2, 2
	ds_bpermute_b32 v4, v4, v1
	v_add_u32_e32 v6, 2, v2
	v_cmp_lt_u32_e32 vcc, v6, v5
	v_add_u32_e32 v6, 4, v2
	s_waitcnt lgkmcnt(0)
	v_add_f32_e32 v4, v1, v4
	v_cndmask_b32_e32 v1, v1, v4, vcc
	v_cmp_gt_u32_e32 vcc, 60, v3
	v_cndmask_b32_e64 v4, 0, 1, vcc
	v_lshlrev_b32_e32 v4, 2, v4
	v_add_lshl_u32 v4, v4, v2, 2
	ds_bpermute_b32 v4, v4, v1
	v_cmp_lt_u32_e32 vcc, v6, v5
	v_add_u32_e32 v6, 8, v2
	s_waitcnt lgkmcnt(0)
	v_add_f32_e32 v4, v1, v4
	v_cndmask_b32_e32 v1, v1, v4, vcc
	v_cmp_gt_u32_e32 vcc, 56, v3
	v_cndmask_b32_e64 v4, 0, 1, vcc
	v_lshlrev_b32_e32 v4, 3, v4
	v_add_lshl_u32 v4, v4, v2, 2
	ds_bpermute_b32 v4, v4, v1
	;; [unrolled: 10-line block ×3, first 2 shown]
	v_cmp_lt_u32_e32 vcc, v6, v5
	s_waitcnt lgkmcnt(0)
	v_add_f32_e32 v4, v1, v4
	v_cndmask_b32_e32 v1, v1, v4, vcc
	v_cmp_gt_u32_e32 vcc, 32, v3
	v_cndmask_b32_e64 v3, 0, 1, vcc
	v_lshlrev_b32_e32 v3, 5, v3
	v_add_lshl_u32 v3, v3, v2, 2
	ds_bpermute_b32 v3, v3, v1
	v_add_u32_e32 v4, 32, v2
	v_cmp_lt_u32_e32 vcc, v4, v5
	s_waitcnt lgkmcnt(0)
	v_add_f32_e32 v3, v1, v3
	v_cndmask_b32_e32 v1, v1, v3, vcc
	v_cmp_eq_u32_e32 vcc, 0, v2
	s_and_saveexec_b64 s[2:3], vcc
	s_cbranch_execz .LBB36_12
; %bb.11:
	v_lshrrev_b32_e32 v3, 4, v0
	v_and_b32_e32 v3, 60, v3
	ds_write_b32 v3, v1 offset:4096
.LBB36_12:
	s_or_b64 exec, exec, s[2:3]
	v_cmp_gt_u32_e32 vcc, 16, v0
	s_waitcnt lgkmcnt(0)
	s_barrier
	s_and_saveexec_b64 s[22:23], vcc
	s_cbranch_execz .LBB36_14
; %bb.13:
	v_lshlrev_b32_e32 v1, 2, v2
	ds_read_b32 v1, v1 offset:4096
	v_and_b32_e32 v3, 15, v2
	v_cmp_ne_u32_e32 vcc, 15, v3
	v_addc_co_u32_e32 v4, vcc, 0, v2, vcc
	v_lshlrev_b32_e32 v4, 2, v4
	s_waitcnt lgkmcnt(0)
	ds_bpermute_b32 v4, v4, v1
	s_add_i32 s13, s13, 63
	s_lshr_b32 s13, s13, 6
	v_add_u32_e32 v5, 1, v3
	v_cmp_gt_u32_e64 s[2:3], 14, v3
	v_cmp_gt_u32_e32 vcc, s13, v5
	v_cndmask_b32_e64 v5, 0, 1, s[2:3]
	s_waitcnt lgkmcnt(0)
	v_add_f32_e32 v4, v1, v4
	v_lshlrev_b32_e32 v5, 1, v5
	v_cndmask_b32_e32 v4, v1, v4, vcc
	v_add_lshl_u32 v5, v5, v2, 2
	ds_bpermute_b32 v5, v5, v4
	v_add_u32_e32 v6, 2, v3
	v_cmp_gt_u32_e64 s[2:3], s13, v6
	v_add_u32_e32 v6, 4, v3
	s_waitcnt lgkmcnt(0)
	v_add_f32_e32 v5, v4, v5
	v_cndmask_b32_e64 v4, v4, v5, s[2:3]
	v_cmp_gt_u32_e64 s[2:3], 12, v3
	v_cndmask_b32_e64 v5, 0, 1, s[2:3]
	v_lshlrev_b32_e32 v5, 2, v5
	v_add_lshl_u32 v5, v5, v2, 2
	ds_bpermute_b32 v5, v5, v4
	v_cmp_gt_u32_e64 s[2:3], s13, v6
	s_waitcnt lgkmcnt(0)
	v_add_f32_e32 v5, v4, v5
	v_cndmask_b32_e64 v4, v4, v5, s[2:3]
	v_cmp_gt_u32_e64 s[2:3], 8, v3
	v_cndmask_b32_e64 v5, 0, 1, s[2:3]
	v_lshlrev_b32_e32 v5, 3, v5
	v_add_lshl_u32 v2, v5, v2, 2
	ds_bpermute_b32 v2, v2, v4
	v_add_u32_e32 v3, 8, v3
	v_cmp_gt_u32_e64 s[2:3], s13, v3
	s_waitcnt lgkmcnt(0)
	v_add_f32_e32 v2, v4, v2
	v_cndmask_b32_e64 v2, v4, v2, s[2:3]
	v_cndmask_b32_e32 v1, v1, v2, vcc
.LBB36_14:
	s_or_b64 exec, exec, s[22:23]
	v_cmp_eq_u32_e32 vcc, 0, v0
	s_and_saveexec_b64 s[2:3], vcc
	s_cbranch_execz .LBB36_16
; %bb.15:
	v_cvt_f32_i32_e32 v2, s17
	s_mov_b32 s13, 0x800000
	v_div_scale_f32 v3, s[22:23], v2, v2, v1
	v_rcp_f32_e32 v4, v3
	v_div_scale_f32 v5, vcc, v1, v2, v1
	v_fma_f32 v6, -v3, v4, 1.0
	v_fmac_f32_e32 v4, v6, v4
	v_mul_f32_e32 v6, v5, v4
	v_fma_f32 v7, -v3, v6, v5
	v_fmac_f32_e32 v6, v7, v4
	v_fma_f32 v3, -v3, v6, v5
	v_div_fmas_f32 v3, v3, v4, v6
	v_div_fixup_f32 v1, v3, v2, v1
	v_add_f32_e32 v1, s16, v1
	v_mul_f32_e32 v2, 0x4b800000, v1
	v_cmp_gt_f32_e32 vcc, s13, v1
	v_cndmask_b32_e32 v1, v1, v2, vcc
	v_rsq_f32_e32 v1, v1
	v_mul_f32_e32 v2, 0x45800000, v1
	v_cndmask_b32_e32 v1, v1, v2, vcc
	v_mov_b32_e32 v2, 0
	ds_write_b32 v2, v1 offset:4160
.LBB36_16:
	s_or_b64 exec, exec, s[2:3]
	s_ashr_i32 s21, s17, 31
	s_lshr_b32 s2, s21, 26
	s_add_i32 s3, s17, s2
	s_ashr_i32 s2, s3, 6
	s_cmp_lt_u32 s6, s45
	s_cselect_b32 s13, 12, 18
	s_add_u32 s18, s18, s13
	v_mov_b32_e32 v5, 0
	s_addc_u32 s19, s19, 0
	s_waitcnt lgkmcnt(0)
	s_barrier
	global_load_ushort v1, v5, s[18:19]
	ds_read_b32 v36, v5 offset:4160
	s_abs_i32 s13, s2
	v_cvt_f32_u32_e32 v2, s13
	s_sub_i32 s16, 0, s13
	s_ashr_i32 s3, s3, 31
	v_mov_b32_e32 v10, s12
	v_rcp_iflag_f32_e32 v2, v2
	v_mul_f32_e32 v2, 0x4f7ffffe, v2
	v_cvt_u32_f32_e32 v2, v2
	v_readfirstlane_b32 s18, v2
	s_mul_i32 s16, s16, s18
	s_mul_hi_u32 s16, s18, s16
	s_add_i32 s18, s18, s16
	s_waitcnt vmcnt(0)
	v_readfirstlane_b32 s16, v1
	s_mul_hi_u32 s18, s16, s18
	s_mul_i32 s19, s18, s13
	s_sub_i32 s19, s16, s19
	s_add_i32 s22, s18, 1
	s_sub_i32 s23, s19, s13
	s_cmp_ge_u32 s19, s13
	s_cselect_b32 s18, s22, s18
	s_cselect_b32 s19, s23, s19
	s_add_i32 s22, s18, 1
	s_cmp_ge_u32 s19, s13
	s_cselect_b32 s13, s22, s18
	s_xor_b32 s13, s13, s3
	s_sub_i32 s18, s13, s3
	s_abs_i32 s3, s18
	v_cvt_f32_u32_e32 v1, s3
	s_sub_i32 s22, 0, s3
	s_ashr_i32 s19, s18, 31
	s_ashr_i32 s13, s12, 31
	v_rcp_iflag_f32_e32 v1, v1
	v_mov_b32_e32 v11, s13
	v_mul_f32_e32 v1, 0x4f7ffffe, v1
	v_cvt_u32_f32_e32 v1, v1
	v_mul_lo_u32 v2, s22, v1
	v_mul_hi_u32 v2, v1, v2
	v_add_u32_e32 v1, v1, v2
	v_mul_hi_u32 v1, v0, v1
	v_mul_lo_u32 v2, v1, s3
	v_sub_u32_e32 v2, v0, v2
	v_add_u32_e32 v3, 1, v1
	v_cmp_le_u32_e32 vcc, s3, v2
	v_cndmask_b32_e32 v1, v1, v3, vcc
	v_subrev_u32_e32 v3, s3, v2
	v_cndmask_b32_e32 v2, v2, v3, vcc
	v_add_u32_e32 v3, 1, v1
	v_cmp_le_u32_e32 vcc, s3, v2
	v_cndmask_b32_e32 v1, v1, v3, vcc
	v_xor_b32_e32 v1, s19, v1
	v_subrev_u32_e32 v2, s19, v1
	v_mul_lo_u32 v1, v2, s18
	v_ashrrev_i32_e32 v3, 31, v2
	v_sub_u32_e32 v4, v0, v1
	v_lshlrev_b64 v[8:9], 4, v[2:3]
	v_add_co_u32_e32 v6, vcc, v8, v4
	v_addc_co_u32_e32 v7, vcc, 0, v9, vcc
	v_add_co_u32_e32 v8, vcc, 16, v8
	v_addc_co_u32_e32 v9, vcc, 0, v9, vcc
	v_cmp_gt_i64_e32 vcc, s[12:13], v[8:9]
	v_cndmask_b32_e32 v8, v10, v8, vcc
	v_cndmask_b32_e32 v9, v11, v9, vcc
	v_ashrrev_i32_e32 v11, 31, v8
	v_mov_b32_e32 v10, v8
	v_cmp_lt_i64_e32 vcc, v[6:7], v[10:11]
	s_and_saveexec_b64 s[22:23], vcc
	s_cbranch_execz .LBB36_26
; %bb.17:
	v_lshlrev_b64 v[12:13], 8, v[2:3]
	v_lshlrev_b64 v[14:15], 4, v[4:5]
	v_add_co_u32_e32 v12, vcc, v12, v14
	v_addc_co_u32_e32 v1, vcc, v13, v15, vcc
	s_lshl_b64 s[24:25], s[18:19], 6
	s_mul_hi_i32 s3, s18, 3
	s_mul_i32 s13, s18, 3
	s_lshl_b64 s[26:27], s[18:19], 1
	s_lshl_b64 s[30:31], s[18:19], 4
	s_mov_b64 s[28:29], 0
	v_mov_b32_e32 v5, 0
	v_mov_b32_e32 v13, s44
	;; [unrolled: 1-line block ×4, first 2 shown]
	v_pk_mov_b32 v[14:15], v[6:7], v[6:7] op_sel:[0,1]
                                        ; implicit-def: $sgpr34_sgpr35
	s_branch .LBB36_21
.LBB36_18:                              ;   in Loop: Header=BB36_21 Depth=1
	s_or_b64 exec, exec, s[40:41]
	s_orn2_b64 s[40:41], s[42:43], exec
.LBB36_19:                              ;   in Loop: Header=BB36_21 Depth=1
	s_or_b64 exec, exec, s[38:39]
	s_andn2_b64 s[34:35], s[34:35], exec
	s_and_b64 s[38:39], s[40:41], exec
	s_or_b64 s[34:35], s[34:35], s[38:39]
.LBB36_20:                              ;   in Loop: Header=BB36_21 Depth=1
	s_or_b64 exec, exec, s[36:37]
	s_and_b64 s[36:37], exec, s[34:35]
	s_or_b64 s[28:29], s[36:37], s[28:29]
	s_andn2_b64 exec, exec, s[28:29]
	s_cbranch_execz .LBB36_25
.LBB36_21:                              ; =>This Inner Loop Header: Depth=1
	v_add_co_u32_e32 v18, vcc, s33, v12
	v_addc_co_u32_e32 v19, vcc, v13, v1, vcc
	v_add_co_u32_e32 v20, vcc, s14, v12
	global_load_dwordx4 v[24:27], v[18:19], off
	v_addc_co_u32_e32 v21, vcc, v22, v1, vcc
	global_load_dwordx4 v[28:31], v[20:21], off
	v_add_co_u32_e32 v16, vcc, s18, v14
	v_addc_co_u32_e32 v17, vcc, v15, v23, vcc
	v_cmp_lt_i64_e32 vcc, v[16:17], v[10:11]
	s_or_b64 s[34:35], s[34:35], exec
	s_waitcnt vmcnt(1) lgkmcnt(0)
	v_mul_f32_e32 v24, v36, v24
	v_mul_f32_e32 v25, v36, v25
	;; [unrolled: 1-line block ×4, first 2 shown]
	s_waitcnt vmcnt(0)
	v_mul_f32_e32 v24, v24, v28
	v_mul_f32_e32 v25, v25, v29
	;; [unrolled: 1-line block ×4, first 2 shown]
	v_max3_f32 v5, v5, |v24|, |v25|
	v_max3_f32 v5, v5, |v26|, |v27|
	s_and_saveexec_b64 s[36:37], vcc
	s_cbranch_execz .LBB36_20
; %bb.22:                               ;   in Loop: Header=BB36_21 Depth=1
	v_mov_b32_e32 v28, s31
	v_add_co_u32_e32 v18, vcc, s30, v18
	v_addc_co_u32_e32 v19, vcc, v19, v28, vcc
	v_add_co_u32_e32 v20, vcc, s30, v20
	global_load_dwordx4 v[24:27], v[18:19], off
	v_addc_co_u32_e32 v21, vcc, v21, v28, vcc
	global_load_dwordx4 v[28:31], v[20:21], off
	v_mov_b32_e32 v33, s27
	v_add_co_u32_e32 v32, vcc, s26, v14
	v_addc_co_u32_e32 v33, vcc, v33, v15, vcc
	v_cmp_lt_i64_e32 vcc, v[32:33], v[10:11]
	s_mov_b64 s[40:41], -1
	s_waitcnt vmcnt(1)
	v_mul_f32_e32 v24, v36, v24
	v_mul_f32_e32 v25, v36, v25
	;; [unrolled: 1-line block ×4, first 2 shown]
	s_waitcnt vmcnt(0)
	v_mul_f32_e32 v24, v24, v28
	v_mul_f32_e32 v25, v25, v29
	;; [unrolled: 1-line block ×4, first 2 shown]
	v_max3_f32 v5, v5, |v24|, |v25|
	v_max3_f32 v5, v5, |v26|, |v27|
	s_and_saveexec_b64 s[38:39], vcc
	s_cbranch_execz .LBB36_19
; %bb.23:                               ;   in Loop: Header=BB36_21 Depth=1
	v_mov_b32_e32 v28, s31
	v_add_co_u32_e32 v18, vcc, s30, v18
	v_addc_co_u32_e32 v19, vcc, v19, v28, vcc
	v_add_co_u32_e32 v20, vcc, s30, v20
	global_load_dwordx4 v[24:27], v[18:19], off
	v_addc_co_u32_e32 v21, vcc, v21, v28, vcc
	global_load_dwordx4 v[28:31], v[20:21], off
	v_mov_b32_e32 v32, s3
	v_add_co_u32_e32 v14, vcc, s13, v14
	v_addc_co_u32_e32 v15, vcc, v32, v15, vcc
	v_cmp_lt_i64_e32 vcc, v[14:15], v[10:11]
	s_mov_b64 s[42:43], -1
	s_waitcnt vmcnt(1)
	v_mul_f32_e32 v14, v36, v24
	v_mul_f32_e32 v15, v36, v25
	;; [unrolled: 1-line block ×4, first 2 shown]
	s_waitcnt vmcnt(0)
	v_mul_f32_e32 v14, v14, v28
	v_mul_f32_e32 v15, v15, v29
	;; [unrolled: 1-line block ×4, first 2 shown]
	v_max3_f32 v5, v5, |v14|, |v15|
	v_max3_f32 v5, v5, |v24|, |v25|
                                        ; implicit-def: $vgpr14_vgpr15
	s_and_saveexec_b64 s[40:41], vcc
	s_xor_b64 s[40:41], exec, s[40:41]
	s_cbranch_execz .LBB36_18
; %bb.24:                               ;   in Loop: Header=BB36_21 Depth=1
	v_mov_b32_e32 v28, s31
	v_add_co_u32_e32 v14, vcc, s30, v18
	v_addc_co_u32_e32 v15, vcc, v19, v28, vcc
	global_load_dwordx4 v[24:27], v[14:15], off
	v_add_co_u32_e32 v14, vcc, s30, v20
	v_addc_co_u32_e32 v15, vcc, v21, v28, vcc
	global_load_dwordx4 v[18:21], v[14:15], off
	s_add_u32 s42, s18, s18
	s_addc_u32 s43, s19, s19
	v_mov_b32_e32 v14, s25
	v_add_co_u32_e32 v12, vcc, s24, v12
	s_add_u32 s42, s42, s18
	v_addc_co_u32_e32 v1, vcc, v1, v14, vcc
	s_addc_u32 s43, s43, s19
	v_mov_b32_e32 v15, s43
	v_add_co_u32_e32 v14, vcc, s42, v16
	v_addc_co_u32_e32 v15, vcc, v15, v17, vcc
	v_cmp_ge_i64_e32 vcc, v[14:15], v[10:11]
	s_orn2_b64 s[42:43], vcc, exec
	s_waitcnt vmcnt(1)
	v_mul_f32_e32 v16, v36, v24
	v_mul_f32_e32 v17, v36, v25
	;; [unrolled: 1-line block ×4, first 2 shown]
	s_waitcnt vmcnt(0)
	v_mul_f32_e32 v16, v16, v18
	v_mul_f32_e32 v17, v17, v19
	;; [unrolled: 1-line block ×4, first 2 shown]
	v_max3_f32 v5, v5, |v16|, |v17|
	v_max3_f32 v5, v5, |v18|, |v19|
	s_branch .LBB36_18
.LBB36_25:
	s_or_b64 exec, exec, s[28:29]
.LBB36_26:
	s_or_b64 exec, exec, s[22:23]
	s_lshr_b32 s13, s16, 6
	v_cvt_f32_u32_e32 v10, s13
	v_lshlrev_b32_e32 v1, 2, v0
	ds_write_b32 v1, v5
	s_sub_i32 s23, 0, s13
	v_rcp_iflag_f32_e32 v5, v10
	s_add_i32 s3, s2, s13
	s_add_i32 s3, s3, -1
	s_ashr_i32 s22, s3, 31
	v_mul_f32_e32 v5, 0x4f7ffffe, v5
	v_cvt_u32_f32_e32 v5, v5
	s_abs_i32 s3, s3
	s_waitcnt lgkmcnt(0)
	s_barrier
	v_readfirstlane_b32 s24, v5
	s_mul_i32 s23, s23, s24
	s_mul_hi_u32 s23, s24, s23
	s_add_i32 s24, s24, s23
	s_mul_hi_u32 s23, s3, s24
	s_mul_i32 s24, s23, s13
	s_sub_i32 s3, s3, s24
	s_add_i32 s24, s23, 1
	s_sub_i32 s25, s3, s13
	s_cmp_ge_u32 s3, s13
	s_cselect_b32 s23, s24, s23
	s_cselect_b32 s3, s25, s3
	s_add_i32 s24, s23, 1
	s_cmp_ge_u32 s3, s13
	s_cselect_b32 s3, s24, s23
	s_xor_b32 s3, s3, s22
	s_sub_i32 s22, s3, s22
	s_ashr_i32 s23, s22, 31
	v_cmp_lt_i64_e64 s[24:25], s[22:23], 1
	s_and_b64 vcc, exec, s[24:25]
	s_cbranch_vccnz .LBB36_48
; %bb.27:
	v_and_b32_e32 v12, 63, v0
	v_add_co_u32_e32 v14, vcc, 32, v12
	v_addc_co_u32_e64 v15, s[24:25], 0, 0, vcc
	v_add_co_u32_e32 v16, vcc, 16, v12
	v_addc_co_u32_e64 v17, s[24:25], 0, 0, vcc
	;; [unrolled: 2-line block ×4, first 2 shown]
	v_add_co_u32_e32 v22, vcc, 2, v12
	v_lshrrev_b32_e32 v10, 6, v0
	v_addc_co_u32_e64 v23, s[24:25], 0, 0, vcc
	v_add_co_u32_e32 v24, vcc, 1, v12
	v_addc_co_u32_e64 v25, s[24:25], 0, 0, vcc
	v_mul_lo_u32 v5, s18, v10
	v_lshlrev_b32_e32 v5, 2, v5
	v_lshlrev_b32_e32 v26, 2, v12
	s_movk_i32 s24, 0x100
	v_mov_b32_e32 v11, 0
	v_add3_u32 v5, v5, v26, s24
	s_mul_i32 s24, s18, s13
	s_ashr_i32 s3, s2, 31
	v_mov_b32_e32 v13, v11
	s_lshl_b32 s36, s24, 2
	s_mov_b64 s[24:25], 0
	v_mov_b32_e32 v37, s13
	s_mov_b64 s[26:27], src_shared_base
	s_branch .LBB36_30
.LBB36_28:                              ;   in Loop: Header=BB36_30 Depth=1
	s_or_b64 exec, exec, s[30:31]
	v_mov_b32_e32 v27, s27
	flat_load_dword v26, v[26:27] glc
	s_waitcnt vmcnt(0)
.LBB36_29:                              ;   in Loop: Header=BB36_30 Depth=1
	s_or_b64 exec, exec, s[28:29]
	s_add_u32 s24, s24, 1
	s_addc_u32 s25, s25, 0
	s_cmp_eq_u64 s[24:25], s[22:23]
	v_add_u32_e32 v5, s36, v5
	s_cbranch_scc1 .LBB36_48
.LBB36_30:                              ; =>This Loop Header: Depth=1
                                        ;     Child Loop BB36_33 Depth 2
	v_mad_u64_u32 v[30:31], s[28:29], s24, v37, v[10:11]
	s_mul_i32 s26, s25, s13
	v_add_u32_e32 v31, s26, v31
	v_cmp_gt_i64_e32 vcc, s[2:3], v[30:31]
	s_and_saveexec_b64 s[28:29], vcc
	s_cbranch_execz .LBB36_29
; %bb.31:                               ;   in Loop: Header=BB36_30 Depth=1
	v_pk_mov_b32 v[32:33], s[18:19], s[18:19] op_sel:[0,1]
	v_mul_lo_u32 v29, v31, s18
	v_mul_lo_u32 v38, v30, s19
	v_mad_u64_u32 v[32:33], s[30:31], v30, s18, v[32:33]
	v_add3_u32 v33, v29, v33, v38
	v_mov_b32_e32 v28, s21
	v_cmp_gt_i64_e32 vcc, s[20:21], v[32:33]
	s_waitcnt lgkmcnt(0)
	v_mad_u64_u32 v[26:27], s[30:31], v30, s18, v[12:13]
	v_cndmask_b32_e32 v33, v28, v33, vcc
	v_mov_b32_e32 v28, s17
	v_add3_u32 v27, v29, v27, v38
	v_cndmask_b32_e32 v32, v28, v32, vcc
	v_add_co_u32_e32 v34, vcc, 64, v26
	v_addc_co_u32_e32 v35, vcc, 0, v27, vcc
	v_cmp_lt_i64_e32 vcc, v[34:35], v[32:33]
	v_lshlrev_b32_e32 v28, 2, v26
	s_and_saveexec_b64 s[30:31], vcc
	s_cbranch_execz .LBB36_34
; %bb.32:                               ;   in Loop: Header=BB36_30 Depth=1
	ds_read_b32 v31, v28
	s_mov_b64 s[34:35], 0
	v_mov_b32_e32 v27, v5
.LBB36_33:                              ;   Parent Loop BB36_30 Depth=1
                                        ; =>  This Inner Loop Header: Depth=2
	ds_read_b32 v39, v27
	v_add_co_u32_e32 v34, vcc, 64, v34
	v_addc_co_u32_e32 v35, vcc, 0, v35, vcc
	s_waitcnt lgkmcnt(1)
	v_max_f32_e32 v31, v31, v31
	v_cmp_ge_i64_e32 vcc, v[34:35], v[32:33]
	s_waitcnt lgkmcnt(0)
	v_max_f32_e32 v39, v39, v39
	v_add_u32_e32 v27, 0x100, v27
	s_or_b64 s[34:35], vcc, s[34:35]
	v_max_f32_e32 v31, v31, v39
	ds_write_b32 v28, v31
	s_andn2_b64 exec, exec, s[34:35]
	s_cbranch_execnz .LBB36_33
.LBB36_34:                              ;   in Loop: Header=BB36_30 Depth=1
	s_or_b64 exec, exec, s[30:31]
	v_mad_u64_u32 v[30:31], s[30:31], v30, s18, 0
	v_add3_u32 v27, v31, v38, v29
	v_sub_co_u32_e32 v30, vcc, v32, v30
	v_subb_co_u32_e32 v31, vcc, v33, v27, vcc
	v_cmp_gt_i64_e32 vcc, 64, v[30:31]
	v_cndmask_b32_e32 v31, 0, v31, vcc
	v_cndmask_b32_e32 v30, 64, v30, vcc
	v_cmp_lt_i64_e32 vcc, v[14:15], v[30:31]
	s_and_saveexec_b64 s[30:31], vcc
	s_cbranch_execnz .LBB36_46
; %bb.35:                               ;   in Loop: Header=BB36_30 Depth=1
	s_or_b64 exec, exec, s[30:31]
	v_cmp_lt_i64_e32 vcc, v[16:17], v[30:31]
	s_and_saveexec_b64 s[30:31], vcc
	s_cbranch_execnz .LBB36_47
.LBB36_36:                              ;   in Loop: Header=BB36_30 Depth=1
	s_or_b64 exec, exec, s[30:31]
	v_cmp_lt_i64_e32 vcc, v[18:19], v[30:31]
	s_and_saveexec_b64 s[30:31], vcc
	s_cbranch_execz .LBB36_38
.LBB36_37:                              ;   in Loop: Header=BB36_30 Depth=1
	v_mov_b32_e32 v29, s27
	v_add_u32_e32 v32, 32, v28
	v_mov_b32_e32 v33, s27
	flat_load_dword v27, v[28:29] glc
	s_waitcnt vmcnt(0)
	flat_load_dword v34, v[32:33] glc
	s_waitcnt vmcnt(0) lgkmcnt(0)
	v_max_f32_e32 v27, v27, v27
	v_max_f32_e32 v32, v34, v34
	;; [unrolled: 1-line block ×3, first 2 shown]
	flat_store_dword v[28:29], v27
	s_waitcnt vmcnt(0)
.LBB36_38:                              ;   in Loop: Header=BB36_30 Depth=1
	s_or_b64 exec, exec, s[30:31]
	v_cmp_ge_i64_e32 vcc, v[20:21], v[30:31]
	s_and_saveexec_b64 s[30:31], vcc
	s_xor_b64 s[30:31], exec, s[30:31]
; %bb.39:                               ;   in Loop: Header=BB36_30 Depth=1
                                        ; implicit-def: $vgpr28
; %bb.40:                               ;   in Loop: Header=BB36_30 Depth=1
	s_andn2_saveexec_b64 s[30:31], s[30:31]
	s_cbranch_execz .LBB36_42
; %bb.41:                               ;   in Loop: Header=BB36_30 Depth=1
	v_mov_b32_e32 v29, s27
	v_add_u32_e32 v32, 16, v28
	v_mov_b32_e32 v33, s27
	flat_load_dword v27, v[28:29] glc
	s_waitcnt vmcnt(0)
	flat_load_dword v34, v[32:33] glc
	s_waitcnt vmcnt(0) lgkmcnt(0)
	v_max_f32_e32 v27, v27, v27
	v_max_f32_e32 v32, v34, v34
	;; [unrolled: 1-line block ×3, first 2 shown]
	flat_store_dword v[28:29], v27
	s_waitcnt vmcnt(0)
.LBB36_42:                              ;   in Loop: Header=BB36_30 Depth=1
	s_or_b64 exec, exec, s[30:31]
	v_cmp_lt_i64_e32 vcc, v[22:23], v[30:31]
	v_lshlrev_b32_e32 v26, 2, v26
	s_and_saveexec_b64 s[30:31], vcc
	s_cbranch_execz .LBB36_44
; %bb.43:                               ;   in Loop: Header=BB36_30 Depth=1
	v_mov_b32_e32 v27, s27
	v_add_u32_e32 v28, 8, v26
	v_mov_b32_e32 v29, s27
	flat_load_dword v32, v[26:27] glc
	s_waitcnt vmcnt(0)
	flat_load_dword v33, v[28:29] glc
	s_waitcnt vmcnt(0) lgkmcnt(0)
	v_max_f32_e32 v28, v32, v32
	v_max_f32_e32 v29, v33, v33
	;; [unrolled: 1-line block ×3, first 2 shown]
	flat_store_dword v[26:27], v28
	s_waitcnt vmcnt(0)
.LBB36_44:                              ;   in Loop: Header=BB36_30 Depth=1
	s_or_b64 exec, exec, s[30:31]
	v_cmp_lt_i64_e32 vcc, v[24:25], v[30:31]
	s_and_saveexec_b64 s[30:31], vcc
	s_cbranch_execz .LBB36_28
; %bb.45:                               ;   in Loop: Header=BB36_30 Depth=1
	v_mov_b32_e32 v27, s27
	v_add_u32_e32 v28, 4, v26
	v_mov_b32_e32 v29, s27
	flat_load_dword v30, v[26:27] glc
	s_waitcnt vmcnt(0)
	flat_load_dword v31, v[28:29] glc
	s_waitcnt vmcnt(0) lgkmcnt(0)
	v_max_f32_e32 v28, v30, v30
	v_max_f32_e32 v29, v31, v31
	;; [unrolled: 1-line block ×3, first 2 shown]
	flat_store_dword v[26:27], v28
	s_waitcnt vmcnt(0)
	s_branch .LBB36_28
.LBB36_46:                              ;   in Loop: Header=BB36_30 Depth=1
	v_mov_b32_e32 v29, s27
	v_add_u32_e32 v32, 0x80, v28
	v_mov_b32_e32 v33, s27
	flat_load_dword v27, v[28:29] glc
	s_waitcnt vmcnt(0)
	flat_load_dword v34, v[32:33] glc
	s_waitcnt vmcnt(0) lgkmcnt(0)
	v_max_f32_e32 v27, v27, v27
	v_max_f32_e32 v32, v34, v34
	;; [unrolled: 1-line block ×3, first 2 shown]
	flat_store_dword v[28:29], v27
	s_waitcnt vmcnt(0)
	s_or_b64 exec, exec, s[30:31]
	v_cmp_lt_i64_e32 vcc, v[16:17], v[30:31]
	s_and_saveexec_b64 s[30:31], vcc
	s_cbranch_execz .LBB36_36
.LBB36_47:                              ;   in Loop: Header=BB36_30 Depth=1
	v_mov_b32_e32 v29, s27
	v_add_u32_e32 v32, 64, v28
	v_mov_b32_e32 v33, s27
	flat_load_dword v27, v[28:29] glc
	s_waitcnt vmcnt(0)
	flat_load_dword v34, v[32:33] glc
	s_waitcnt vmcnt(0) lgkmcnt(0)
	v_max_f32_e32 v27, v27, v27
	v_max_f32_e32 v32, v34, v34
	;; [unrolled: 1-line block ×3, first 2 shown]
	flat_store_dword v[28:29], v27
	s_waitcnt vmcnt(0)
	s_or_b64 exec, exec, s[30:31]
	v_cmp_lt_i64_e32 vcc, v[18:19], v[30:31]
	s_and_saveexec_b64 s[30:31], vcc
	s_cbranch_execnz .LBB36_37
	s_branch .LBB36_38
.LBB36_48:
	s_load_dwordx2 s[18:19], s[4:5], 0x40
	v_cmp_eq_u32_e32 vcc, 0, v4
	v_cmp_lt_i64_e64 s[2:3], v[6:7], v[8:9]
	s_and_b64 s[2:3], vcc, s[2:3]
	s_waitcnt lgkmcnt(0)
	s_barrier
	s_and_saveexec_b64 s[22:23], s[2:3]
	s_cbranch_execz .LBB36_55
; %bb.49:
	s_load_dwordx2 s[2:3], s[4:5], 0x20
	ds_read_b32 v1, v1
	s_waitcnt lgkmcnt(0)
	s_cmp_eq_u64 s[2:3], 0
	s_cbranch_scc1 .LBB36_51
; %bb.50:
	s_load_dword s2, s[2:3], 0x0
	v_max_f32_e32 v1, v1, v1
	s_waitcnt lgkmcnt(0)
	v_max_f32_e64 v4, s2, s2
	v_min_f32_e32 v1, v1, v4
.LBB36_51:
	s_add_u32 s3, s18, s45
	s_addc_u32 s4, s19, 0
	s_add_u32 s24, s3, -1
	s_addc_u32 s25, s4, -1
	s_or_b64 s[4:5], s[24:25], s[18:19]
	s_mov_b32 s2, 0
	s_mov_b32 s3, s5
	s_cmp_lg_u64 s[2:3], 0
	s_mov_b64 s[26:27], -1
	s_cbranch_scc0 .LBB36_164
; %bb.52:
	s_ashr_i32 s2, s19, 31
	s_add_u32 s4, s18, s2
	s_mov_b32 s3, s2
	s_addc_u32 s5, s19, s2
	s_xor_b64 s[28:29], s[4:5], s[2:3]
	v_cvt_f32_u32_e32 v4, s28
	v_cvt_f32_u32_e32 v5, s29
	s_sub_u32 s2, 0, s28
	s_subb_u32 s3, 0, s29
	v_madmk_f32 v4, v5, 0x4f800000, v4
	v_rcp_f32_e32 v4, v4
	v_mul_f32_e32 v4, 0x5f7ffffc, v4
	v_mul_f32_e32 v5, 0x2f800000, v4
	v_trunc_f32_e32 v5, v5
	v_madmk_f32 v4, v5, 0xcf800000, v4
	v_cvt_u32_f32_e32 v5, v5
	v_cvt_u32_f32_e32 v4, v4
	v_readfirstlane_b32 s4, v5
	v_readfirstlane_b32 s5, v4
	s_mul_i32 s13, s2, s4
	s_mul_hi_u32 s30, s2, s5
	s_mul_i32 s20, s3, s5
	s_add_i32 s13, s30, s13
	s_add_i32 s13, s13, s20
	s_mul_i32 s31, s2, s5
	s_mul_hi_u32 s20, s5, s13
	s_mul_i32 s30, s5, s13
	s_mul_hi_u32 s5, s5, s31
	s_add_u32 s5, s5, s30
	s_addc_u32 s20, 0, s20
	s_mul_hi_u32 s34, s4, s31
	s_mul_i32 s31, s4, s31
	s_add_u32 s5, s5, s31
	s_mul_hi_u32 s30, s4, s13
	s_addc_u32 s5, s20, s34
	s_addc_u32 s20, s30, 0
	s_mul_i32 s13, s4, s13
	s_add_u32 s5, s5, s13
	s_addc_u32 s13, 0, s20
	v_add_co_u32_e32 v4, vcc, s5, v4
	s_cmp_lg_u64 vcc, 0
	s_addc_u32 s4, s4, s13
	v_readfirstlane_b32 s13, v4
	s_mul_i32 s5, s2, s4
	s_mul_hi_u32 s20, s2, s13
	s_add_i32 s5, s20, s5
	s_mul_i32 s3, s3, s13
	s_add_i32 s5, s5, s3
	s_mul_i32 s2, s2, s13
	s_mul_hi_u32 s20, s4, s2
	s_mul_i32 s30, s4, s2
	s_mul_i32 s34, s13, s5
	s_mul_hi_u32 s2, s13, s2
	s_mul_hi_u32 s31, s13, s5
	s_add_u32 s2, s2, s34
	s_addc_u32 s13, 0, s31
	s_add_u32 s2, s2, s30
	s_mul_hi_u32 s3, s4, s5
	s_addc_u32 s2, s13, s20
	s_addc_u32 s3, s3, 0
	s_mul_i32 s5, s4, s5
	s_add_u32 s2, s2, s5
	s_addc_u32 s3, 0, s3
	v_add_co_u32_e32 v4, vcc, s2, v4
	s_cmp_lg_u64 vcc, 0
	s_addc_u32 s4, s4, s3
	s_ashr_i32 s30, s25, 31
	s_add_u32 s2, s24, s30
	s_mov_b32 s31, s30
	s_addc_u32 s3, s25, s30
	s_xor_b64 s[34:35], s[2:3], s[30:31]
	v_readfirstlane_b32 s5, v4
	s_mul_i32 s3, s34, s4
	s_mul_hi_u32 s13, s34, s5
	s_mul_hi_u32 s2, s34, s4
	s_add_u32 s3, s13, s3
	s_addc_u32 s2, 0, s2
	s_mul_hi_u32 s20, s35, s5
	s_mul_i32 s5, s35, s5
	s_add_u32 s3, s3, s5
	s_mul_hi_u32 s13, s35, s4
	s_addc_u32 s2, s2, s20
	s_addc_u32 s3, s13, 0
	s_mul_i32 s4, s35, s4
	s_add_u32 s2, s2, s4
	s_addc_u32 s3, 0, s3
	s_mul_i32 s3, s28, s3
	s_mul_hi_u32 s4, s28, s2
	s_add_i32 s3, s4, s3
	s_mul_i32 s4, s29, s2
	s_mul_i32 s2, s28, s2
	s_add_i32 s13, s3, s4
	v_mov_b32_e32 v4, s2
	s_sub_i32 s3, s35, s13
	v_sub_co_u32_e32 v4, vcc, s34, v4
	s_cmp_lg_u64 vcc, 0
	s_subb_u32 s20, s3, s29
	v_subrev_co_u32_e64 v5, s[2:3], s28, v4
	s_cmp_lg_u64 s[2:3], 0
	s_subb_u32 s31, s20, 0
	s_cmp_ge_u32 s31, s29
	s_cselect_b32 s34, -1, 0
	v_cmp_le_u32_e64 s[4:5], s28, v5
	s_cmp_eq_u32 s31, s29
	v_cndmask_b32_e64 v6, 0, -1, s[4:5]
	v_mov_b32_e32 v7, s34
	s_cselect_b64 s[4:5], -1, 0
	s_cmp_lg_u64 s[2:3], 0
	v_cndmask_b32_e64 v6, v7, v6, s[4:5]
	s_subb_u32 s4, s20, s29
	v_subrev_co_u32_e64 v7, s[2:3], s28, v5
	s_cmp_lg_u64 s[2:3], 0
	s_subb_u32 s4, s4, 0
	v_cmp_ne_u32_e64 s[2:3], 0, v6
	v_cndmask_b32_e64 v5, v5, v7, s[2:3]
	v_mov_b32_e32 v6, s31
	v_mov_b32_e32 v7, s4
	s_cmp_lg_u64 vcc, 0
	v_cndmask_b32_e64 v6, v6, v7, s[2:3]
	s_subb_u32 s2, s35, s13
	s_cmp_ge_u32 s2, s29
	s_cselect_b32 s3, -1, 0
	v_cmp_le_u32_e32 vcc, s28, v4
	s_cmp_eq_u32 s2, s29
	v_cndmask_b32_e64 v7, 0, -1, vcc
	v_mov_b32_e32 v8, s3
	s_cselect_b64 vcc, -1, 0
	v_cndmask_b32_e32 v7, v8, v7, vcc
	v_cmp_ne_u32_e32 vcc, 0, v7
	v_mov_b32_e32 v8, s2
	v_cndmask_b32_e32 v4, v4, v5, vcc
	v_cndmask_b32_e32 v6, v8, v6, vcc
	v_xor_b32_e32 v4, s30, v4
	v_xor_b32_e32 v5, s30, v6
	v_mov_b32_e32 v6, s30
	v_subrev_co_u32_e32 v4, vcc, s30, v4
	v_subb_co_u32_e32 v5, vcc, v5, v6, vcc
	s_cbranch_execnz .LBB36_54
.LBB36_53:
	v_cvt_f32_u32_e32 v4, s18
	s_sub_i32 s2, 0, s18
	v_rcp_iflag_f32_e32 v4, v4
	v_mul_f32_e32 v4, 0x4f7ffffe, v4
	v_cvt_u32_f32_e32 v4, v4
	v_mul_lo_u32 v5, s2, v4
	v_mul_hi_u32 v5, v4, v5
	v_add_u32_e32 v4, v4, v5
	v_mul_hi_u32 v4, s24, v4
	v_mul_lo_u32 v4, v4, s18
	v_sub_u32_e32 v4, s24, v4
	v_subrev_u32_e32 v5, s18, v4
	v_cmp_le_u32_e32 vcc, s18, v4
	v_cndmask_b32_e32 v4, v4, v5, vcc
	v_subrev_u32_e32 v5, s18, v4
	v_cmp_le_u32_e32 vcc, s18, v4
	v_cndmask_b32_e32 v4, v4, v5, vcc
	v_mov_b32_e32 v5, 0
.LBB36_54:
	s_mov_b32 s4, 0x43e00000
	v_div_scale_f32 v6, s[2:3], s4, s4, v1
	v_rcp_f32_e32 v7, v6
	v_div_scale_f32 v8, vcc, v1, s4, v1
	v_fma_f32 v9, -v6, v7, 1.0
	v_fmac_f32_e32 v7, v9, v7
	v_mul_f32_e32 v9, v8, v7
	v_fma_f32 v10, -v6, v9, v8
	v_fmac_f32_e32 v9, v10, v7
	v_fma_f32 v6, -v6, v9, v8
	v_div_fmas_f32 v6, v6, v7, v9
	v_div_fixup_f32 v1, v6, s4, v1
	v_mov_b32_e32 v6, s25
	v_sub_co_u32_e32 v4, vcc, s24, v4
	v_subb_co_u32_e32 v5, vcc, v6, v5, vcc
	v_mul_lo_u32 v5, v5, v2
	v_mul_lo_u32 v6, v4, v3
	v_mad_u64_u32 v[2:3], s[2:3], v4, v2, 0
	s_lshl_b64 s[2:3], s[6:7], 2
	v_add3_u32 v3, v3, v6, v5
	s_add_u32 s2, s2, s10
	v_lshlrev_b64 v[2:3], 2, v[2:3]
	s_addc_u32 s3, s3, s11
	v_mov_b32_e32 v4, s3
	v_add_co_u32_e32 v2, vcc, s2, v2
	v_max_f32_e32 v1, 0x36924925, v1
	v_addc_co_u32_e32 v3, vcc, v4, v3, vcc
	global_store_dword v[2:3], v1, off
.LBB36_55:
	s_or_b64 exec, exec, s[22:23]
	s_barrier
	s_and_saveexec_b64 s[2:3], s[0:1]
	s_cbranch_execz .LBB36_163
; %bb.56:
	s_add_u32 s1, s18, s45
	s_addc_u32 s2, s19, 0
	s_add_u32 s4, s1, -1
	s_addc_u32 s5, s2, -1
	s_or_b64 s[2:3], s[4:5], s[18:19]
	s_mov_b32 s0, 0
	s_mov_b32 s1, s3
	s_cmp_lg_u64 s[0:1], 0
	s_mov_b64 s[22:23], -1
	s_cbranch_scc0 .LBB36_165
; %bb.57:
	s_ashr_i32 s0, s19, 31
	s_add_u32 s2, s18, s0
	s_mov_b32 s1, s0
	s_addc_u32 s3, s19, s0
	s_xor_b64 s[24:25], s[2:3], s[0:1]
	v_cvt_f32_u32_e32 v1, s24
	v_cvt_f32_u32_e32 v2, s25
	s_sub_u32 s0, 0, s24
	s_subb_u32 s1, 0, s25
	v_madmk_f32 v1, v2, 0x4f800000, v1
	v_rcp_f32_e32 v1, v1
	v_mul_f32_e32 v1, 0x5f7ffffc, v1
	v_mul_f32_e32 v2, 0x2f800000, v1
	v_trunc_f32_e32 v2, v2
	v_madmk_f32 v1, v2, 0xcf800000, v1
	v_cvt_u32_f32_e32 v2, v2
	v_cvt_u32_f32_e32 v1, v1
	v_readfirstlane_b32 s2, v2
	v_readfirstlane_b32 s3, v1
	s_mul_i32 s13, s0, s2
	s_mul_hi_u32 s20, s0, s3
	s_mul_i32 s19, s1, s3
	s_add_i32 s13, s20, s13
	s_add_i32 s13, s13, s19
	s_mul_i32 s26, s0, s3
	s_mul_hi_u32 s19, s3, s13
	s_mul_i32 s20, s3, s13
	s_mul_hi_u32 s3, s3, s26
	s_add_u32 s3, s3, s20
	s_addc_u32 s19, 0, s19
	s_mul_hi_u32 s27, s2, s26
	s_mul_i32 s26, s2, s26
	s_add_u32 s3, s3, s26
	s_mul_hi_u32 s20, s2, s13
	s_addc_u32 s3, s19, s27
	s_addc_u32 s19, s20, 0
	s_mul_i32 s13, s2, s13
	s_add_u32 s3, s3, s13
	s_addc_u32 s13, 0, s19
	v_add_co_u32_e32 v1, vcc, s3, v1
	s_cmp_lg_u64 vcc, 0
	s_addc_u32 s2, s2, s13
	v_readfirstlane_b32 s13, v1
	s_mul_i32 s3, s0, s2
	s_mul_hi_u32 s19, s0, s13
	s_add_i32 s3, s19, s3
	s_mul_i32 s1, s1, s13
	s_add_i32 s3, s3, s1
	s_mul_i32 s0, s0, s13
	s_mul_hi_u32 s19, s2, s0
	s_mul_i32 s20, s2, s0
	s_mul_i32 s27, s13, s3
	s_mul_hi_u32 s0, s13, s0
	s_mul_hi_u32 s26, s13, s3
	s_add_u32 s0, s0, s27
	s_addc_u32 s13, 0, s26
	s_add_u32 s0, s0, s20
	s_mul_hi_u32 s1, s2, s3
	s_addc_u32 s0, s13, s19
	s_addc_u32 s1, s1, 0
	s_mul_i32 s3, s2, s3
	s_add_u32 s0, s0, s3
	s_addc_u32 s1, 0, s1
	v_add_co_u32_e32 v1, vcc, s0, v1
	s_cmp_lg_u64 vcc, 0
	s_addc_u32 s2, s2, s1
	s_ashr_i32 s26, s5, 31
	s_add_u32 s0, s4, s26
	s_mov_b32 s27, s26
	s_addc_u32 s1, s5, s26
	s_xor_b64 s[28:29], s[0:1], s[26:27]
	v_readfirstlane_b32 s3, v1
	s_mul_i32 s1, s28, s2
	s_mul_hi_u32 s13, s28, s3
	s_mul_hi_u32 s0, s28, s2
	s_add_u32 s1, s13, s1
	s_addc_u32 s0, 0, s0
	s_mul_hi_u32 s19, s29, s3
	s_mul_i32 s3, s29, s3
	s_add_u32 s1, s1, s3
	s_mul_hi_u32 s13, s29, s2
	s_addc_u32 s0, s0, s19
	s_addc_u32 s1, s13, 0
	s_mul_i32 s2, s29, s2
	s_add_u32 s0, s0, s2
	s_addc_u32 s1, 0, s1
	s_mul_i32 s1, s24, s1
	s_mul_hi_u32 s2, s24, s0
	s_add_i32 s1, s2, s1
	s_mul_i32 s2, s25, s0
	s_mul_i32 s0, s24, s0
	s_add_i32 s13, s1, s2
	v_mov_b32_e32 v1, s0
	s_sub_i32 s1, s29, s13
	v_sub_co_u32_e32 v1, vcc, s28, v1
	s_cmp_lg_u64 vcc, 0
	s_subb_u32 s19, s1, s25
	v_subrev_co_u32_e64 v2, s[0:1], s24, v1
	s_cmp_lg_u64 s[0:1], 0
	s_subb_u32 s20, s19, 0
	s_cmp_ge_u32 s20, s25
	s_cselect_b32 s27, -1, 0
	v_cmp_le_u32_e64 s[2:3], s24, v2
	s_cmp_eq_u32 s20, s25
	v_cndmask_b32_e64 v3, 0, -1, s[2:3]
	v_mov_b32_e32 v4, s27
	s_cselect_b64 s[2:3], -1, 0
	s_cmp_lg_u64 s[0:1], 0
	v_cndmask_b32_e64 v3, v4, v3, s[2:3]
	s_subb_u32 s2, s19, s25
	v_subrev_co_u32_e64 v4, s[0:1], s24, v2
	s_cmp_lg_u64 s[0:1], 0
	s_subb_u32 s2, s2, 0
	v_cmp_ne_u32_e64 s[0:1], 0, v3
	v_cndmask_b32_e64 v2, v2, v4, s[0:1]
	v_mov_b32_e32 v3, s20
	v_mov_b32_e32 v4, s2
	s_cmp_lg_u64 vcc, 0
	v_cndmask_b32_e64 v3, v3, v4, s[0:1]
	s_subb_u32 s0, s29, s13
	s_cmp_ge_u32 s0, s25
	s_cselect_b32 s1, -1, 0
	v_cmp_le_u32_e32 vcc, s24, v1
	s_cmp_eq_u32 s0, s25
	v_cndmask_b32_e64 v4, 0, -1, vcc
	v_mov_b32_e32 v5, s1
	s_cselect_b64 vcc, -1, 0
	v_cndmask_b32_e32 v4, v5, v4, vcc
	v_cmp_ne_u32_e32 vcc, 0, v4
	v_mov_b32_e32 v5, s0
	v_cndmask_b32_e32 v1, v1, v2, vcc
	v_cndmask_b32_e32 v3, v5, v3, vcc
	v_xor_b32_e32 v1, s26, v1
	v_xor_b32_e32 v3, s26, v3
	v_mov_b32_e32 v4, s26
	v_subrev_co_u32_e32 v2, vcc, s26, v1
	v_subb_co_u32_e32 v3, vcc, v3, v4, vcc
	s_cbranch_execnz .LBB36_59
.LBB36_58:
	v_cvt_f32_u32_e32 v1, s18
	s_sub_i32 s0, 0, s18
	v_mov_b32_e32 v3, 0
	v_rcp_iflag_f32_e32 v1, v1
	v_mul_f32_e32 v1, 0x4f7ffffe, v1
	v_cvt_u32_f32_e32 v1, v1
	v_mul_lo_u32 v2, s0, v1
	v_mul_hi_u32 v2, v1, v2
	v_add_u32_e32 v1, v1, v2
	v_mul_hi_u32 v1, s4, v1
	v_mul_lo_u32 v1, v1, s18
	v_sub_u32_e32 v1, s4, v1
	v_subrev_u32_e32 v2, s18, v1
	v_cmp_le_u32_e32 vcc, s18, v1
	v_cndmask_b32_e32 v1, v1, v2, vcc
	v_subrev_u32_e32 v2, s18, v1
	v_cmp_le_u32_e32 vcc, s18, v1
	v_cndmask_b32_e32 v2, v1, v2, vcc
.LBB36_59:
	s_mul_i32 s0, s21, s6
	s_mul_hi_u32 s1, s17, s6
	s_add_i32 s1, s1, s0
	s_mul_i32 s0, s17, s6
	s_add_u32 s13, s8, s0
	s_addc_u32 s17, s9, s1
	s_lshl_b64 s[0:1], s[6:7], 2
	s_add_u32 s18, s10, s0
	s_addc_u32 s19, s11, s1
	v_mov_b32_e32 v1, s5
	v_sub_co_u32_e32 v14, vcc, s4, v2
	v_subb_co_u32_e32 v15, vcc, v1, v3, vcc
	s_mul_i32 s20, s16, 3
	s_lshl_b32 s21, s16, 1
	s_mov_b64 s[0:1], 0
	v_mov_b32_e32 v1, 0
	v_mov_b32_e32 v16, s44
	;; [unrolled: 1-line block ×4, first 2 shown]
	s_mov_b32 s22, 0x43f00000
	s_mov_b32 s23, 0x3c7fffff
	;; [unrolled: 1-line block ×4, first 2 shown]
	s_movk_i32 s26, 0x80
	s_movk_i32 s27, 0xff
	s_branch .LBB36_65
.LBB36_60:                              ;   in Loop: Header=BB36_65 Depth=1
	s_or_b64 exec, exec, s[10:11]
.LBB36_61:                              ;   in Loop: Header=BB36_65 Depth=1
	s_or_b64 exec, exec, s[8:9]
	v_and_b32_sdwa v12, v8, s26 dst_sel:DWORD dst_unused:UNUSED_PAD src0_sel:BYTE_3 src1_sel:DWORD
	v_lshlrev_b64 v[8:9], 2, v[0:1]
	v_and_b32_sdwa v3, v3, s26 dst_sel:DWORD dst_unused:UNUSED_PAD src0_sel:BYTE_3 src1_sel:DWORD
	v_mov_b32_e32 v0, s17
	v_add_co_u32_e32 v8, vcc, s13, v8
	v_and_or_b32 v4, v4, s27, v12
	v_lshrrev_b32_e32 v11, 24, v11
	v_addc_co_u32_e32 v9, vcc, v0, v9, vcc
	v_lshlrev_b32_e32 v0, 24, v7
	v_and_b32_e32 v5, 0x80000000, v5
	v_lshlrev_b32_e32 v4, 16, v4
	v_and_or_b32 v2, v2, s27, v3
	v_and_b32_e32 v3, 0xff, v6
	v_or3_b32 v0, v5, v0, v4
	v_lshlrev_b32_e32 v2, 8, v2
	v_and_or_b32 v3, v11, s26, v3
	s_add_i32 s8, s16, s16
	v_or3_b32 v0, v0, v2, v3
	s_add_i32 s8, s8, s16
	global_store_dword v[8:9], v0, off
	v_add_u32_e32 v0, s8, v10
	v_cmp_le_u32_e32 vcc, s12, v0
	s_orn2_b64 s[8:9], vcc, exec
.LBB36_62:                              ;   in Loop: Header=BB36_65 Depth=1
	s_or_b64 exec, exec, s[6:7]
	s_orn2_b64 s[6:7], s[8:9], exec
.LBB36_63:                              ;   in Loop: Header=BB36_65 Depth=1
	s_or_b64 exec, exec, s[4:5]
	s_orn2_b64 s[4:5], s[6:7], exec
.LBB36_64:                              ;   in Loop: Header=BB36_65 Depth=1
	s_or_b64 exec, exec, s[2:3]
	s_and_b64 s[2:3], exec, s[4:5]
	s_or_b64 s[0:1], s[2:3], s[0:1]
	s_andn2_b64 exec, exec, s[0:1]
	s_cbranch_execz .LBB36_163
.LBB36_65:                              ; =>This Inner Loop Header: Depth=1
	v_bfe_u32 v13, v0, 4, 26
	v_lshlrev_b64 v[6:7], 4, v[0:1]
	v_mad_u64_u32 v[10:11], s[2:3], v14, v13, 0
	v_add_co_u32_e32 v2, vcc, s33, v6
	v_mov_b32_e32 v12, v11
	v_addc_co_u32_e32 v3, vcc, v16, v7, vcc
	v_mad_u64_u32 v[12:13], s[2:3], v15, v13, v[12:13]
	v_add_co_u32_e32 v6, vcc, s14, v6
	v_mov_b32_e32 v11, v12
	v_addc_co_u32_e32 v7, vcc, v17, v7, vcc
	v_lshlrev_b64 v[10:11], 2, v[10:11]
	global_load_dwordx4 v[2:5], v[2:3], off
	v_add_co_u32_e32 v10, vcc, s18, v10
	global_load_dwordx4 v[6:9], v[6:7], off
	v_addc_co_u32_e32 v11, vcc, v18, v11, vcc
	global_load_dword v11, v[10:11], off
	s_waitcnt vmcnt(2)
	v_mul_f32_e32 v2, v36, v2
	s_waitcnt vmcnt(1)
	v_mul_f32_e32 v6, v2, v6
	v_mov_b32_e32 v2, 0x7f
	s_waitcnt vmcnt(0)
	v_div_scale_f32 v10, s[2:3], v11, v11, v6
	v_rcp_f32_e32 v12, v10
	v_div_scale_f32 v13, vcc, v6, v11, v6
	v_fma_f32 v19, -v10, v12, 1.0
	v_fmac_f32_e32 v12, v19, v12
	v_mul_f32_e32 v19, v13, v12
	v_fma_f32 v20, -v10, v19, v13
	v_fmac_f32_e32 v19, v20, v12
	v_fma_f32 v10, -v10, v19, v13
	v_div_fmas_f32 v10, v10, v12, v19
	v_div_fixup_f32 v6, v10, v11, v6
	v_min_f32_e32 v6, 0x43e00000, v6
	v_max_f32_e32 v10, 0xc3e00000, v6
	v_and_b32_e32 v12, 0x7fffffff, v10
	v_cmp_gt_u32_e32 vcc, s22, v12
	v_mov_b32_e32 v6, 0x7f
	s_and_saveexec_b64 s[2:3], vcc
	s_cbranch_execz .LBB36_71
; %bb.66:                               ;   in Loop: Header=BB36_65 Depth=1
	v_cmp_lt_u32_e32 vcc, s23, v12
                                        ; implicit-def: $vgpr6
	s_and_saveexec_b64 s[4:5], vcc
	s_xor_b64 s[4:5], exec, s[4:5]
; %bb.67:                               ;   in Loop: Header=BB36_65 Depth=1
	v_bfe_u32 v6, v10, 20, 1
	v_add3_u32 v6, v10, v6, s24
	v_lshrrev_b32_e32 v6, 20, v6
; %bb.68:                               ;   in Loop: Header=BB36_65 Depth=1
	s_andn2_saveexec_b64 s[4:5], s[4:5]
; %bb.69:                               ;   in Loop: Header=BB36_65 Depth=1
	v_add_f32_e64 v6, |v10|, s25
; %bb.70:                               ;   in Loop: Header=BB36_65 Depth=1
	s_or_b64 exec, exec, s[4:5]
.LBB36_71:                              ;   in Loop: Header=BB36_65 Depth=1
	s_or_b64 exec, exec, s[2:3]
	v_mul_f32_e32 v3, v36, v3
	v_mul_f32_e32 v3, v3, v7
	v_div_scale_f32 v7, s[2:3], v11, v11, v3
	v_rcp_f32_e32 v12, v7
	v_div_scale_f32 v13, vcc, v3, v11, v3
	v_fma_f32 v19, -v7, v12, 1.0
	v_fmac_f32_e32 v12, v19, v12
	v_mul_f32_e32 v19, v13, v12
	v_fma_f32 v20, -v7, v19, v13
	v_fmac_f32_e32 v19, v20, v12
	v_fma_f32 v7, -v7, v19, v13
	v_div_fmas_f32 v7, v7, v12, v19
	v_div_fixup_f32 v3, v7, v11, v3
	v_min_f32_e32 v3, 0x43e00000, v3
	v_max_f32_e32 v3, 0xc3e00000, v3
	v_and_b32_e32 v7, 0x7fffffff, v3
	v_cmp_gt_u32_e32 vcc, s22, v7
	s_and_saveexec_b64 s[2:3], vcc
	s_cbranch_execz .LBB36_77
; %bb.72:                               ;   in Loop: Header=BB36_65 Depth=1
	v_cmp_lt_u32_e32 vcc, s23, v7
                                        ; implicit-def: $vgpr2
	s_and_saveexec_b64 s[4:5], vcc
	s_xor_b64 s[4:5], exec, s[4:5]
; %bb.73:                               ;   in Loop: Header=BB36_65 Depth=1
	v_bfe_u32 v2, v3, 20, 1
	v_add3_u32 v2, v3, v2, s24
	v_lshrrev_b32_e32 v2, 20, v2
; %bb.74:                               ;   in Loop: Header=BB36_65 Depth=1
	s_andn2_saveexec_b64 s[4:5], s[4:5]
; %bb.75:                               ;   in Loop: Header=BB36_65 Depth=1
	v_add_f32_e64 v2, |v3|, s25
; %bb.76:                               ;   in Loop: Header=BB36_65 Depth=1
	s_or_b64 exec, exec, s[4:5]
.LBB36_77:                              ;   in Loop: Header=BB36_65 Depth=1
	s_or_b64 exec, exec, s[2:3]
	v_mul_f32_e32 v4, v36, v4
	v_mul_f32_e32 v4, v4, v8
	v_div_scale_f32 v7, s[2:3], v11, v11, v4
	v_rcp_f32_e32 v8, v7
	v_div_scale_f32 v12, vcc, v4, v11, v4
	v_fma_f32 v13, -v7, v8, 1.0
	v_fmac_f32_e32 v8, v13, v8
	v_mul_f32_e32 v13, v12, v8
	v_fma_f32 v19, -v7, v13, v12
	v_fmac_f32_e32 v13, v19, v8
	v_fma_f32 v7, -v7, v13, v12
	v_div_fmas_f32 v7, v7, v8, v13
	v_div_fixup_f32 v4, v7, v11, v4
	v_min_f32_e32 v4, 0x43e00000, v4
	v_max_f32_e32 v8, 0xc3e00000, v4
	v_and_b32_e32 v12, 0x7fffffff, v8
	v_cmp_gt_u32_e32 vcc, s22, v12
	v_mov_b32_e32 v7, 0x7f
	v_mov_b32_e32 v4, 0x7f
	s_and_saveexec_b64 s[2:3], vcc
	s_cbranch_execz .LBB36_83
; %bb.78:                               ;   in Loop: Header=BB36_65 Depth=1
	v_cmp_lt_u32_e32 vcc, s23, v12
                                        ; implicit-def: $vgpr4
	s_and_saveexec_b64 s[4:5], vcc
	s_xor_b64 s[4:5], exec, s[4:5]
; %bb.79:                               ;   in Loop: Header=BB36_65 Depth=1
	v_bfe_u32 v4, v8, 20, 1
	v_add3_u32 v4, v8, v4, s24
	v_lshrrev_b32_e32 v4, 20, v4
; %bb.80:                               ;   in Loop: Header=BB36_65 Depth=1
	s_andn2_saveexec_b64 s[4:5], s[4:5]
; %bb.81:                               ;   in Loop: Header=BB36_65 Depth=1
	v_add_f32_e64 v4, |v8|, s25
; %bb.82:                               ;   in Loop: Header=BB36_65 Depth=1
	s_or_b64 exec, exec, s[4:5]
.LBB36_83:                              ;   in Loop: Header=BB36_65 Depth=1
	s_or_b64 exec, exec, s[2:3]
	v_mul_f32_e32 v5, v36, v5
	v_mul_f32_e32 v5, v5, v9
	v_div_scale_f32 v9, s[2:3], v11, v11, v5
	v_rcp_f32_e32 v12, v9
	v_div_scale_f32 v13, vcc, v5, v11, v5
	v_fma_f32 v19, -v9, v12, 1.0
	v_fmac_f32_e32 v12, v19, v12
	v_mul_f32_e32 v19, v13, v12
	v_fma_f32 v20, -v9, v19, v13
	v_fmac_f32_e32 v19, v20, v12
	v_fma_f32 v9, -v9, v19, v13
	v_div_fmas_f32 v9, v9, v12, v19
	v_div_fixup_f32 v5, v9, v11, v5
	v_min_f32_e32 v5, 0x43e00000, v5
	v_max_f32_e32 v5, 0xc3e00000, v5
	v_and_b32_e32 v9, 0x7fffffff, v5
	v_cmp_gt_u32_e32 vcc, s22, v9
	s_and_saveexec_b64 s[2:3], vcc
	s_cbranch_execz .LBB36_89
; %bb.84:                               ;   in Loop: Header=BB36_65 Depth=1
	v_cmp_lt_u32_e32 vcc, s23, v9
                                        ; implicit-def: $vgpr7
	s_and_saveexec_b64 s[4:5], vcc
	s_xor_b64 s[4:5], exec, s[4:5]
; %bb.85:                               ;   in Loop: Header=BB36_65 Depth=1
	v_bfe_u32 v7, v5, 20, 1
	v_add3_u32 v7, v5, v7, s24
	v_lshrrev_b32_e32 v7, 20, v7
; %bb.86:                               ;   in Loop: Header=BB36_65 Depth=1
	s_andn2_saveexec_b64 s[4:5], s[4:5]
; %bb.87:                               ;   in Loop: Header=BB36_65 Depth=1
	v_add_f32_e64 v7, |v5|, s25
; %bb.88:                               ;   in Loop: Header=BB36_65 Depth=1
	s_or_b64 exec, exec, s[4:5]
.LBB36_89:                              ;   in Loop: Header=BB36_65 Depth=1
	s_or_b64 exec, exec, s[2:3]
	v_and_b32_sdwa v11, v8, s26 dst_sel:DWORD dst_unused:UNUSED_PAD src0_sel:BYTE_3 src1_sel:DWORD
	v_and_b32_sdwa v3, v3, s26 dst_sel:DWORD dst_unused:UNUSED_PAD src0_sel:BYTE_3 src1_sel:DWORD
	v_lshlrev_b64 v[8:9], 2, v[0:1]
	v_and_or_b32 v4, v4, s27, v11
	v_lshrrev_b32_e32 v10, 24, v10
	v_mov_b32_e32 v12, s17
	v_add_co_u32_e32 v8, vcc, s13, v8
	v_lshlrev_b32_e32 v7, 24, v7
	v_and_b32_e32 v5, 0x80000000, v5
	v_lshlrev_b32_e32 v4, 16, v4
	v_and_or_b32 v2, v2, s27, v3
	v_and_b32_e32 v3, 0xff, v6
	v_addc_co_u32_e32 v9, vcc, v12, v9, vcc
	v_or3_b32 v4, v5, v7, v4
	v_lshlrev_b32_e32 v2, 8, v2
	v_and_or_b32 v3, v10, s26, v3
	v_add_u32_e32 v10, s16, v0
	v_or3_b32 v2, v4, v2, v3
	v_cmp_gt_u32_e32 vcc, s12, v10
	s_mov_b64 s[4:5], -1
	global_store_dword v[8:9], v2, off
	s_and_saveexec_b64 s[2:3], vcc
	s_cbranch_execz .LBB36_64
; %bb.90:                               ;   in Loop: Header=BB36_65 Depth=1
	v_mov_b32_e32 v11, v1
	v_bfe_u32 v19, v10, 4, 26
	v_lshlrev_b64 v[6:7], 4, v[10:11]
	v_mad_u64_u32 v[12:13], s[4:5], v14, v19, 0
	v_mov_b32_e32 v3, s44
	v_add_co_u32_e32 v2, vcc, s33, v6
	v_mov_b32_e32 v20, v13
	v_addc_co_u32_e32 v3, vcc, v3, v7, vcc
	v_mad_u64_u32 v[20:21], s[4:5], v15, v19, v[20:21]
	v_mov_b32_e32 v8, s15
	v_add_co_u32_e32 v6, vcc, s14, v6
	v_mov_b32_e32 v13, v20
	v_addc_co_u32_e32 v7, vcc, v8, v7, vcc
	v_lshlrev_b64 v[12:13], 2, v[12:13]
	global_load_dwordx4 v[2:5], v[2:3], off
	v_mov_b32_e32 v19, s19
	v_add_co_u32_e32 v12, vcc, s18, v12
	global_load_dwordx4 v[6:9], v[6:7], off
	v_addc_co_u32_e32 v13, vcc, v19, v13, vcc
	global_load_dword v13, v[12:13], off
	s_waitcnt vmcnt(2)
	v_mul_f32_e32 v2, v36, v2
	s_waitcnt vmcnt(1)
	v_mul_f32_e32 v6, v2, v6
	v_mov_b32_e32 v2, 0x7f
	s_waitcnt vmcnt(0)
	v_div_scale_f32 v12, s[4:5], v13, v13, v6
	v_rcp_f32_e32 v19, v12
	v_div_scale_f32 v20, vcc, v6, v13, v6
	v_fma_f32 v21, -v12, v19, 1.0
	v_fmac_f32_e32 v19, v21, v19
	v_mul_f32_e32 v21, v20, v19
	v_fma_f32 v22, -v12, v21, v20
	v_fmac_f32_e32 v21, v22, v19
	v_fma_f32 v12, -v12, v21, v20
	v_div_fmas_f32 v12, v12, v19, v21
	v_div_fixup_f32 v6, v12, v13, v6
	v_min_f32_e32 v6, 0x43e00000, v6
	v_max_f32_e32 v12, 0xc3e00000, v6
	v_and_b32_e32 v19, 0x7fffffff, v12
	v_cmp_gt_u32_e32 vcc, s22, v19
	v_mov_b32_e32 v6, 0x7f
	s_and_saveexec_b64 s[4:5], vcc
	s_cbranch_execz .LBB36_96
; %bb.91:                               ;   in Loop: Header=BB36_65 Depth=1
	v_cmp_lt_u32_e32 vcc, s23, v19
                                        ; implicit-def: $vgpr6
	s_and_saveexec_b64 s[6:7], vcc
	s_xor_b64 s[6:7], exec, s[6:7]
; %bb.92:                               ;   in Loop: Header=BB36_65 Depth=1
	v_bfe_u32 v6, v12, 20, 1
	v_add3_u32 v6, v12, v6, s24
	v_lshrrev_b32_e32 v6, 20, v6
; %bb.93:                               ;   in Loop: Header=BB36_65 Depth=1
	s_andn2_saveexec_b64 s[6:7], s[6:7]
; %bb.94:                               ;   in Loop: Header=BB36_65 Depth=1
	v_add_f32_e64 v6, |v12|, s25
; %bb.95:                               ;   in Loop: Header=BB36_65 Depth=1
	s_or_b64 exec, exec, s[6:7]
.LBB36_96:                              ;   in Loop: Header=BB36_65 Depth=1
	s_or_b64 exec, exec, s[4:5]
	v_mul_f32_e32 v3, v36, v3
	v_mul_f32_e32 v3, v3, v7
	v_div_scale_f32 v7, s[4:5], v13, v13, v3
	v_rcp_f32_e32 v19, v7
	v_div_scale_f32 v20, vcc, v3, v13, v3
	v_fma_f32 v21, -v7, v19, 1.0
	v_fmac_f32_e32 v19, v21, v19
	v_mul_f32_e32 v21, v20, v19
	v_fma_f32 v22, -v7, v21, v20
	v_fmac_f32_e32 v21, v22, v19
	v_fma_f32 v7, -v7, v21, v20
	v_div_fmas_f32 v7, v7, v19, v21
	v_div_fixup_f32 v3, v7, v13, v3
	v_min_f32_e32 v3, 0x43e00000, v3
	v_max_f32_e32 v3, 0xc3e00000, v3
	v_and_b32_e32 v7, 0x7fffffff, v3
	v_cmp_gt_u32_e32 vcc, s22, v7
	s_and_saveexec_b64 s[4:5], vcc
	s_cbranch_execz .LBB36_102
; %bb.97:                               ;   in Loop: Header=BB36_65 Depth=1
	v_cmp_lt_u32_e32 vcc, s23, v7
                                        ; implicit-def: $vgpr2
	s_and_saveexec_b64 s[6:7], vcc
	s_xor_b64 s[6:7], exec, s[6:7]
; %bb.98:                               ;   in Loop: Header=BB36_65 Depth=1
	v_bfe_u32 v2, v3, 20, 1
	v_add3_u32 v2, v3, v2, s24
	v_lshrrev_b32_e32 v2, 20, v2
; %bb.99:                               ;   in Loop: Header=BB36_65 Depth=1
	s_andn2_saveexec_b64 s[6:7], s[6:7]
; %bb.100:                              ;   in Loop: Header=BB36_65 Depth=1
	v_add_f32_e64 v2, |v3|, s25
; %bb.101:                              ;   in Loop: Header=BB36_65 Depth=1
	s_or_b64 exec, exec, s[6:7]
.LBB36_102:                             ;   in Loop: Header=BB36_65 Depth=1
	s_or_b64 exec, exec, s[4:5]
	v_mul_f32_e32 v4, v36, v4
	v_mul_f32_e32 v4, v4, v8
	v_div_scale_f32 v7, s[4:5], v13, v13, v4
	v_rcp_f32_e32 v8, v7
	v_div_scale_f32 v19, vcc, v4, v13, v4
	v_fma_f32 v20, -v7, v8, 1.0
	v_fmac_f32_e32 v8, v20, v8
	v_mul_f32_e32 v20, v19, v8
	v_fma_f32 v21, -v7, v20, v19
	v_fmac_f32_e32 v20, v21, v8
	v_fma_f32 v7, -v7, v20, v19
	v_div_fmas_f32 v7, v7, v8, v20
	v_div_fixup_f32 v4, v7, v13, v4
	v_min_f32_e32 v4, 0x43e00000, v4
	v_max_f32_e32 v8, 0xc3e00000, v4
	v_and_b32_e32 v19, 0x7fffffff, v8
	v_cmp_gt_u32_e32 vcc, s22, v19
	v_mov_b32_e32 v7, 0x7f
	v_mov_b32_e32 v4, 0x7f
	s_and_saveexec_b64 s[4:5], vcc
	s_cbranch_execz .LBB36_108
; %bb.103:                              ;   in Loop: Header=BB36_65 Depth=1
	v_cmp_lt_u32_e32 vcc, s23, v19
                                        ; implicit-def: $vgpr4
	s_and_saveexec_b64 s[6:7], vcc
	s_xor_b64 s[6:7], exec, s[6:7]
; %bb.104:                              ;   in Loop: Header=BB36_65 Depth=1
	v_bfe_u32 v4, v8, 20, 1
	v_add3_u32 v4, v8, v4, s24
	v_lshrrev_b32_e32 v4, 20, v4
; %bb.105:                              ;   in Loop: Header=BB36_65 Depth=1
	s_andn2_saveexec_b64 s[6:7], s[6:7]
; %bb.106:                              ;   in Loop: Header=BB36_65 Depth=1
	v_add_f32_e64 v4, |v8|, s25
; %bb.107:                              ;   in Loop: Header=BB36_65 Depth=1
	s_or_b64 exec, exec, s[6:7]
.LBB36_108:                             ;   in Loop: Header=BB36_65 Depth=1
	s_or_b64 exec, exec, s[4:5]
	v_mul_f32_e32 v5, v36, v5
	v_mul_f32_e32 v5, v5, v9
	v_div_scale_f32 v9, s[4:5], v13, v13, v5
	v_rcp_f32_e32 v19, v9
	v_div_scale_f32 v20, vcc, v5, v13, v5
	v_fma_f32 v21, -v9, v19, 1.0
	v_fmac_f32_e32 v19, v21, v19
	v_mul_f32_e32 v21, v20, v19
	v_fma_f32 v22, -v9, v21, v20
	v_fmac_f32_e32 v21, v22, v19
	v_fma_f32 v9, -v9, v21, v20
	v_div_fmas_f32 v9, v9, v19, v21
	v_div_fixup_f32 v5, v9, v13, v5
	v_min_f32_e32 v5, 0x43e00000, v5
	v_max_f32_e32 v5, 0xc3e00000, v5
	v_and_b32_e32 v9, 0x7fffffff, v5
	v_cmp_gt_u32_e32 vcc, s22, v9
	s_and_saveexec_b64 s[4:5], vcc
	s_cbranch_execz .LBB36_114
; %bb.109:                              ;   in Loop: Header=BB36_65 Depth=1
	v_cmp_lt_u32_e32 vcc, s23, v9
                                        ; implicit-def: $vgpr7
	s_and_saveexec_b64 s[6:7], vcc
	s_xor_b64 s[6:7], exec, s[6:7]
; %bb.110:                              ;   in Loop: Header=BB36_65 Depth=1
	v_bfe_u32 v7, v5, 20, 1
	v_add3_u32 v7, v5, v7, s24
	v_lshrrev_b32_e32 v7, 20, v7
; %bb.111:                              ;   in Loop: Header=BB36_65 Depth=1
	s_andn2_saveexec_b64 s[6:7], s[6:7]
; %bb.112:                              ;   in Loop: Header=BB36_65 Depth=1
	v_add_f32_e64 v7, |v5|, s25
; %bb.113:                              ;   in Loop: Header=BB36_65 Depth=1
	s_or_b64 exec, exec, s[6:7]
.LBB36_114:                             ;   in Loop: Header=BB36_65 Depth=1
	s_or_b64 exec, exec, s[4:5]
	v_and_b32_sdwa v13, v8, s26 dst_sel:DWORD dst_unused:UNUSED_PAD src0_sel:BYTE_3 src1_sel:DWORD
	v_and_b32_sdwa v3, v3, s26 dst_sel:DWORD dst_unused:UNUSED_PAD src0_sel:BYTE_3 src1_sel:DWORD
	v_lshlrev_b64 v[8:9], 2, v[10:11]
	v_and_or_b32 v4, v4, s27, v13
	v_lshrrev_b32_e32 v12, 24, v12
	v_mov_b32_e32 v11, s17
	v_add_co_u32_e32 v8, vcc, s13, v8
	v_lshlrev_b32_e32 v7, 24, v7
	v_and_b32_e32 v5, 0x80000000, v5
	v_lshlrev_b32_e32 v4, 16, v4
	v_and_or_b32 v2, v2, s27, v3
	v_and_b32_e32 v3, 0xff, v6
	v_addc_co_u32_e32 v9, vcc, v11, v9, vcc
	v_or3_b32 v4, v5, v7, v4
	v_lshlrev_b32_e32 v2, 8, v2
	v_and_or_b32 v3, v12, s26, v3
	v_add_u32_e32 v12, s21, v0
	v_or3_b32 v2, v4, v2, v3
	v_cmp_gt_u32_e32 vcc, s12, v12
	s_mov_b64 s[6:7], -1
	global_store_dword v[8:9], v2, off
	s_and_saveexec_b64 s[4:5], vcc
	s_cbranch_execz .LBB36_63
; %bb.115:                              ;   in Loop: Header=BB36_65 Depth=1
	v_mov_b32_e32 v13, v1
	v_bfe_u32 v11, v12, 4, 26
	v_lshlrev_b64 v[6:7], 4, v[12:13]
	v_mad_u64_u32 v[20:21], s[6:7], v14, v11, 0
	v_mov_b32_e32 v3, s44
	v_add_co_u32_e32 v2, vcc, s33, v6
	v_mov_b32_e32 v22, v21
	v_addc_co_u32_e32 v3, vcc, v3, v7, vcc
	v_mad_u64_u32 v[22:23], s[6:7], v15, v11, v[22:23]
	v_mov_b32_e32 v8, s15
	v_add_co_u32_e32 v6, vcc, s14, v6
	v_mov_b32_e32 v21, v22
	v_addc_co_u32_e32 v7, vcc, v8, v7, vcc
	v_lshlrev_b64 v[20:21], 2, v[20:21]
	global_load_dwordx4 v[2:5], v[2:3], off
	v_mov_b32_e32 v11, s19
	v_add_co_u32_e32 v20, vcc, s18, v20
	global_load_dwordx4 v[6:9], v[6:7], off
	v_addc_co_u32_e32 v21, vcc, v11, v21, vcc
	global_load_dword v19, v[20:21], off
	s_waitcnt vmcnt(2)
	v_mul_f32_e32 v2, v36, v2
	s_waitcnt vmcnt(1)
	v_mul_f32_e32 v6, v2, v6
	v_mov_b32_e32 v2, 0x7f
	s_waitcnt vmcnt(0)
	v_div_scale_f32 v11, s[6:7], v19, v19, v6
	v_rcp_f32_e32 v20, v11
	v_div_scale_f32 v21, vcc, v6, v19, v6
	v_fma_f32 v22, -v11, v20, 1.0
	v_fmac_f32_e32 v20, v22, v20
	v_mul_f32_e32 v22, v21, v20
	v_fma_f32 v23, -v11, v22, v21
	v_fmac_f32_e32 v22, v23, v20
	v_fma_f32 v11, -v11, v22, v21
	v_div_fmas_f32 v11, v11, v20, v22
	v_div_fixup_f32 v6, v11, v19, v6
	v_min_f32_e32 v6, 0x43e00000, v6
	v_max_f32_e32 v11, 0xc3e00000, v6
	v_and_b32_e32 v20, 0x7fffffff, v11
	v_cmp_gt_u32_e32 vcc, s22, v20
	v_mov_b32_e32 v6, 0x7f
	s_and_saveexec_b64 s[6:7], vcc
	s_cbranch_execz .LBB36_121
; %bb.116:                              ;   in Loop: Header=BB36_65 Depth=1
	v_cmp_lt_u32_e32 vcc, s23, v20
                                        ; implicit-def: $vgpr6
	s_and_saveexec_b64 s[8:9], vcc
	s_xor_b64 s[8:9], exec, s[8:9]
; %bb.117:                              ;   in Loop: Header=BB36_65 Depth=1
	v_bfe_u32 v6, v11, 20, 1
	v_add3_u32 v6, v11, v6, s24
	v_lshrrev_b32_e32 v6, 20, v6
; %bb.118:                              ;   in Loop: Header=BB36_65 Depth=1
	s_andn2_saveexec_b64 s[8:9], s[8:9]
; %bb.119:                              ;   in Loop: Header=BB36_65 Depth=1
	v_add_f32_e64 v6, |v11|, s25
; %bb.120:                              ;   in Loop: Header=BB36_65 Depth=1
	s_or_b64 exec, exec, s[8:9]
.LBB36_121:                             ;   in Loop: Header=BB36_65 Depth=1
	s_or_b64 exec, exec, s[6:7]
	v_mul_f32_e32 v3, v36, v3
	v_mul_f32_e32 v3, v3, v7
	v_div_scale_f32 v7, s[6:7], v19, v19, v3
	v_rcp_f32_e32 v20, v7
	v_div_scale_f32 v21, vcc, v3, v19, v3
	v_fma_f32 v22, -v7, v20, 1.0
	v_fmac_f32_e32 v20, v22, v20
	v_mul_f32_e32 v22, v21, v20
	v_fma_f32 v23, -v7, v22, v21
	v_fmac_f32_e32 v22, v23, v20
	v_fma_f32 v7, -v7, v22, v21
	v_div_fmas_f32 v7, v7, v20, v22
	v_div_fixup_f32 v3, v7, v19, v3
	v_min_f32_e32 v3, 0x43e00000, v3
	v_max_f32_e32 v3, 0xc3e00000, v3
	v_and_b32_e32 v7, 0x7fffffff, v3
	v_cmp_gt_u32_e32 vcc, s22, v7
	s_and_saveexec_b64 s[6:7], vcc
	s_cbranch_execz .LBB36_127
; %bb.122:                              ;   in Loop: Header=BB36_65 Depth=1
	v_cmp_lt_u32_e32 vcc, s23, v7
                                        ; implicit-def: $vgpr2
	s_and_saveexec_b64 s[8:9], vcc
	s_xor_b64 s[8:9], exec, s[8:9]
; %bb.123:                              ;   in Loop: Header=BB36_65 Depth=1
	v_bfe_u32 v2, v3, 20, 1
	v_add3_u32 v2, v3, v2, s24
	v_lshrrev_b32_e32 v2, 20, v2
; %bb.124:                              ;   in Loop: Header=BB36_65 Depth=1
	s_andn2_saveexec_b64 s[8:9], s[8:9]
; %bb.125:                              ;   in Loop: Header=BB36_65 Depth=1
	v_add_f32_e64 v2, |v3|, s25
; %bb.126:                              ;   in Loop: Header=BB36_65 Depth=1
	s_or_b64 exec, exec, s[8:9]
.LBB36_127:                             ;   in Loop: Header=BB36_65 Depth=1
	s_or_b64 exec, exec, s[6:7]
	v_mul_f32_e32 v4, v36, v4
	v_mul_f32_e32 v4, v4, v8
	v_div_scale_f32 v7, s[6:7], v19, v19, v4
	v_rcp_f32_e32 v8, v7
	v_div_scale_f32 v20, vcc, v4, v19, v4
	v_fma_f32 v21, -v7, v8, 1.0
	v_fmac_f32_e32 v8, v21, v8
	v_mul_f32_e32 v21, v20, v8
	v_fma_f32 v22, -v7, v21, v20
	v_fmac_f32_e32 v21, v22, v8
	v_fma_f32 v7, -v7, v21, v20
	v_div_fmas_f32 v7, v7, v8, v21
	v_div_fixup_f32 v4, v7, v19, v4
	v_min_f32_e32 v4, 0x43e00000, v4
	v_max_f32_e32 v8, 0xc3e00000, v4
	v_and_b32_e32 v20, 0x7fffffff, v8
	v_cmp_gt_u32_e32 vcc, s22, v20
	v_mov_b32_e32 v7, 0x7f
	v_mov_b32_e32 v4, 0x7f
	s_and_saveexec_b64 s[6:7], vcc
	s_cbranch_execz .LBB36_133
; %bb.128:                              ;   in Loop: Header=BB36_65 Depth=1
	v_cmp_lt_u32_e32 vcc, s23, v20
                                        ; implicit-def: $vgpr4
	s_and_saveexec_b64 s[8:9], vcc
	s_xor_b64 s[8:9], exec, s[8:9]
; %bb.129:                              ;   in Loop: Header=BB36_65 Depth=1
	v_bfe_u32 v4, v8, 20, 1
	v_add3_u32 v4, v8, v4, s24
	v_lshrrev_b32_e32 v4, 20, v4
; %bb.130:                              ;   in Loop: Header=BB36_65 Depth=1
	s_andn2_saveexec_b64 s[8:9], s[8:9]
; %bb.131:                              ;   in Loop: Header=BB36_65 Depth=1
	v_add_f32_e64 v4, |v8|, s25
; %bb.132:                              ;   in Loop: Header=BB36_65 Depth=1
	s_or_b64 exec, exec, s[8:9]
.LBB36_133:                             ;   in Loop: Header=BB36_65 Depth=1
	s_or_b64 exec, exec, s[6:7]
	v_mul_f32_e32 v5, v36, v5
	v_mul_f32_e32 v5, v5, v9
	v_div_scale_f32 v9, s[6:7], v19, v19, v5
	v_rcp_f32_e32 v20, v9
	v_div_scale_f32 v21, vcc, v5, v19, v5
	v_fma_f32 v22, -v9, v20, 1.0
	v_fmac_f32_e32 v20, v22, v20
	v_mul_f32_e32 v22, v21, v20
	v_fma_f32 v23, -v9, v22, v21
	v_fmac_f32_e32 v22, v23, v20
	v_fma_f32 v9, -v9, v22, v21
	v_div_fmas_f32 v9, v9, v20, v22
	v_div_fixup_f32 v5, v9, v19, v5
	v_min_f32_e32 v5, 0x43e00000, v5
	v_max_f32_e32 v5, 0xc3e00000, v5
	v_and_b32_e32 v9, 0x7fffffff, v5
	v_cmp_gt_u32_e32 vcc, s22, v9
	s_and_saveexec_b64 s[6:7], vcc
	s_cbranch_execz .LBB36_139
; %bb.134:                              ;   in Loop: Header=BB36_65 Depth=1
	v_cmp_lt_u32_e32 vcc, s23, v9
                                        ; implicit-def: $vgpr7
	s_and_saveexec_b64 s[8:9], vcc
	s_xor_b64 s[8:9], exec, s[8:9]
; %bb.135:                              ;   in Loop: Header=BB36_65 Depth=1
	v_bfe_u32 v7, v5, 20, 1
	v_add3_u32 v7, v5, v7, s24
	v_lshrrev_b32_e32 v7, 20, v7
; %bb.136:                              ;   in Loop: Header=BB36_65 Depth=1
	s_andn2_saveexec_b64 s[8:9], s[8:9]
; %bb.137:                              ;   in Loop: Header=BB36_65 Depth=1
	v_add_f32_e64 v7, |v5|, s25
; %bb.138:                              ;   in Loop: Header=BB36_65 Depth=1
	s_or_b64 exec, exec, s[8:9]
.LBB36_139:                             ;   in Loop: Header=BB36_65 Depth=1
	s_or_b64 exec, exec, s[6:7]
	v_and_b32_sdwa v19, v8, s26 dst_sel:DWORD dst_unused:UNUSED_PAD src0_sel:BYTE_3 src1_sel:DWORD
	v_and_b32_sdwa v3, v3, s26 dst_sel:DWORD dst_unused:UNUSED_PAD src0_sel:BYTE_3 src1_sel:DWORD
	v_lshlrev_b64 v[8:9], 2, v[12:13]
	v_and_or_b32 v4, v4, s27, v19
	v_lshrrev_b32_e32 v11, 24, v11
	v_mov_b32_e32 v12, s17
	v_add_co_u32_e32 v8, vcc, s13, v8
	v_lshlrev_b32_e32 v7, 24, v7
	v_and_b32_e32 v5, 0x80000000, v5
	v_lshlrev_b32_e32 v4, 16, v4
	v_and_or_b32 v2, v2, s27, v3
	v_and_b32_e32 v3, 0xff, v6
	v_addc_co_u32_e32 v9, vcc, v12, v9, vcc
	v_or3_b32 v4, v5, v7, v4
	v_lshlrev_b32_e32 v2, 8, v2
	v_and_or_b32 v3, v11, s26, v3
	v_add_u32_e32 v0, s20, v0
	v_or3_b32 v2, v4, v2, v3
	v_cmp_gt_u32_e32 vcc, s12, v0
	s_mov_b64 s[8:9], -1
	global_store_dword v[8:9], v2, off
	s_and_saveexec_b64 s[6:7], vcc
	s_cbranch_execz .LBB36_62
; %bb.140:                              ;   in Loop: Header=BB36_65 Depth=1
	v_bfe_u32 v11, v0, 4, 26
	v_lshlrev_b64 v[6:7], 4, v[0:1]
	v_mad_u64_u32 v[12:13], s[8:9], v14, v11, 0
	v_mov_b32_e32 v3, s44
	v_add_co_u32_e32 v2, vcc, s33, v6
	v_mov_b32_e32 v20, v13
	v_addc_co_u32_e32 v3, vcc, v3, v7, vcc
	v_mad_u64_u32 v[20:21], s[8:9], v15, v11, v[20:21]
	v_mov_b32_e32 v8, s15
	v_add_co_u32_e32 v6, vcc, s14, v6
	v_mov_b32_e32 v13, v20
	v_addc_co_u32_e32 v7, vcc, v8, v7, vcc
	v_lshlrev_b64 v[12:13], 2, v[12:13]
	global_load_dwordx4 v[2:5], v[2:3], off
	v_mov_b32_e32 v11, s19
	v_add_co_u32_e32 v12, vcc, s18, v12
	global_load_dwordx4 v[6:9], v[6:7], off
	v_addc_co_u32_e32 v13, vcc, v11, v13, vcc
	global_load_dword v12, v[12:13], off
	s_waitcnt vmcnt(2)
	v_mul_f32_e32 v2, v36, v2
	s_waitcnt vmcnt(1)
	v_mul_f32_e32 v6, v2, v6
	v_mov_b32_e32 v2, 0x7f
	s_waitcnt vmcnt(0)
	v_div_scale_f32 v11, s[8:9], v12, v12, v6
	v_rcp_f32_e32 v13, v11
	v_div_scale_f32 v19, vcc, v6, v12, v6
	v_fma_f32 v20, -v11, v13, 1.0
	v_fmac_f32_e32 v13, v20, v13
	v_mul_f32_e32 v20, v19, v13
	v_fma_f32 v21, -v11, v20, v19
	v_fmac_f32_e32 v20, v21, v13
	v_fma_f32 v11, -v11, v20, v19
	v_div_fmas_f32 v11, v11, v13, v20
	v_div_fixup_f32 v6, v11, v12, v6
	v_min_f32_e32 v6, 0x43e00000, v6
	v_max_f32_e32 v11, 0xc3e00000, v6
	v_and_b32_e32 v13, 0x7fffffff, v11
	v_cmp_gt_u32_e32 vcc, s22, v13
	v_mov_b32_e32 v6, 0x7f
	s_and_saveexec_b64 s[8:9], vcc
	s_cbranch_execz .LBB36_146
; %bb.141:                              ;   in Loop: Header=BB36_65 Depth=1
	v_cmp_lt_u32_e32 vcc, s23, v13
                                        ; implicit-def: $vgpr6
	s_and_saveexec_b64 s[10:11], vcc
	s_xor_b64 s[10:11], exec, s[10:11]
; %bb.142:                              ;   in Loop: Header=BB36_65 Depth=1
	v_bfe_u32 v6, v11, 20, 1
	v_add3_u32 v6, v11, v6, s24
	v_lshrrev_b32_e32 v6, 20, v6
; %bb.143:                              ;   in Loop: Header=BB36_65 Depth=1
	s_andn2_saveexec_b64 s[10:11], s[10:11]
; %bb.144:                              ;   in Loop: Header=BB36_65 Depth=1
	v_add_f32_e64 v6, |v11|, s25
; %bb.145:                              ;   in Loop: Header=BB36_65 Depth=1
	s_or_b64 exec, exec, s[10:11]
.LBB36_146:                             ;   in Loop: Header=BB36_65 Depth=1
	s_or_b64 exec, exec, s[8:9]
	v_mul_f32_e32 v3, v36, v3
	v_mul_f32_e32 v3, v3, v7
	v_div_scale_f32 v7, s[8:9], v12, v12, v3
	v_rcp_f32_e32 v13, v7
	v_div_scale_f32 v19, vcc, v3, v12, v3
	v_fma_f32 v20, -v7, v13, 1.0
	v_fmac_f32_e32 v13, v20, v13
	v_mul_f32_e32 v20, v19, v13
	v_fma_f32 v21, -v7, v20, v19
	v_fmac_f32_e32 v20, v21, v13
	v_fma_f32 v7, -v7, v20, v19
	v_div_fmas_f32 v7, v7, v13, v20
	v_div_fixup_f32 v3, v7, v12, v3
	v_min_f32_e32 v3, 0x43e00000, v3
	v_max_f32_e32 v3, 0xc3e00000, v3
	v_and_b32_e32 v7, 0x7fffffff, v3
	v_cmp_gt_u32_e32 vcc, s22, v7
	s_and_saveexec_b64 s[8:9], vcc
	s_cbranch_execz .LBB36_152
; %bb.147:                              ;   in Loop: Header=BB36_65 Depth=1
	v_cmp_lt_u32_e32 vcc, s23, v7
                                        ; implicit-def: $vgpr2
	s_and_saveexec_b64 s[10:11], vcc
	s_xor_b64 s[10:11], exec, s[10:11]
; %bb.148:                              ;   in Loop: Header=BB36_65 Depth=1
	v_bfe_u32 v2, v3, 20, 1
	v_add3_u32 v2, v3, v2, s24
	v_lshrrev_b32_e32 v2, 20, v2
; %bb.149:                              ;   in Loop: Header=BB36_65 Depth=1
	s_andn2_saveexec_b64 s[10:11], s[10:11]
; %bb.150:                              ;   in Loop: Header=BB36_65 Depth=1
	v_add_f32_e64 v2, |v3|, s25
; %bb.151:                              ;   in Loop: Header=BB36_65 Depth=1
	s_or_b64 exec, exec, s[10:11]
.LBB36_152:                             ;   in Loop: Header=BB36_65 Depth=1
	s_or_b64 exec, exec, s[8:9]
	v_mul_f32_e32 v4, v36, v4
	v_mul_f32_e32 v4, v4, v8
	v_div_scale_f32 v7, s[8:9], v12, v12, v4
	v_rcp_f32_e32 v8, v7
	v_div_scale_f32 v13, vcc, v4, v12, v4
	v_fma_f32 v19, -v7, v8, 1.0
	v_fmac_f32_e32 v8, v19, v8
	v_mul_f32_e32 v19, v13, v8
	v_fma_f32 v20, -v7, v19, v13
	v_fmac_f32_e32 v19, v20, v8
	v_fma_f32 v7, -v7, v19, v13
	v_div_fmas_f32 v7, v7, v8, v19
	v_div_fixup_f32 v4, v7, v12, v4
	v_min_f32_e32 v4, 0x43e00000, v4
	v_max_f32_e32 v8, 0xc3e00000, v4
	v_and_b32_e32 v13, 0x7fffffff, v8
	v_cmp_gt_u32_e32 vcc, s22, v13
	v_mov_b32_e32 v7, 0x7f
	v_mov_b32_e32 v4, 0x7f
	s_and_saveexec_b64 s[8:9], vcc
	s_cbranch_execz .LBB36_158
; %bb.153:                              ;   in Loop: Header=BB36_65 Depth=1
	v_cmp_lt_u32_e32 vcc, s23, v13
                                        ; implicit-def: $vgpr4
	s_and_saveexec_b64 s[10:11], vcc
	s_xor_b64 s[10:11], exec, s[10:11]
; %bb.154:                              ;   in Loop: Header=BB36_65 Depth=1
	v_bfe_u32 v4, v8, 20, 1
	v_add3_u32 v4, v8, v4, s24
	v_lshrrev_b32_e32 v4, 20, v4
; %bb.155:                              ;   in Loop: Header=BB36_65 Depth=1
	s_andn2_saveexec_b64 s[10:11], s[10:11]
; %bb.156:                              ;   in Loop: Header=BB36_65 Depth=1
	v_add_f32_e64 v4, |v8|, s25
; %bb.157:                              ;   in Loop: Header=BB36_65 Depth=1
	s_or_b64 exec, exec, s[10:11]
.LBB36_158:                             ;   in Loop: Header=BB36_65 Depth=1
	s_or_b64 exec, exec, s[8:9]
	v_mul_f32_e32 v5, v36, v5
	v_mul_f32_e32 v5, v5, v9
	v_div_scale_f32 v9, s[8:9], v12, v12, v5
	v_rcp_f32_e32 v13, v9
	v_div_scale_f32 v19, vcc, v5, v12, v5
	v_fma_f32 v20, -v9, v13, 1.0
	v_fmac_f32_e32 v13, v20, v13
	v_mul_f32_e32 v20, v19, v13
	v_fma_f32 v21, -v9, v20, v19
	v_fmac_f32_e32 v20, v21, v13
	v_fma_f32 v9, -v9, v20, v19
	v_div_fmas_f32 v9, v9, v13, v20
	v_div_fixup_f32 v5, v9, v12, v5
	v_min_f32_e32 v5, 0x43e00000, v5
	v_max_f32_e32 v5, 0xc3e00000, v5
	v_and_b32_e32 v9, 0x7fffffff, v5
	v_cmp_gt_u32_e32 vcc, s22, v9
	s_and_saveexec_b64 s[8:9], vcc
	s_cbranch_execz .LBB36_61
; %bb.159:                              ;   in Loop: Header=BB36_65 Depth=1
	v_cmp_lt_u32_e32 vcc, s23, v9
                                        ; implicit-def: $vgpr7
	s_and_saveexec_b64 s[10:11], vcc
	s_xor_b64 s[10:11], exec, s[10:11]
; %bb.160:                              ;   in Loop: Header=BB36_65 Depth=1
	v_bfe_u32 v7, v5, 20, 1
	v_add3_u32 v7, v5, v7, s24
	v_lshrrev_b32_e32 v7, 20, v7
; %bb.161:                              ;   in Loop: Header=BB36_65 Depth=1
	s_andn2_saveexec_b64 s[10:11], s[10:11]
	s_cbranch_execz .LBB36_60
; %bb.162:                              ;   in Loop: Header=BB36_65 Depth=1
	v_add_f32_e64 v7, |v5|, s25
	s_branch .LBB36_60
.LBB36_163:
	s_endpgm
.LBB36_164:
                                        ; implicit-def: $vgpr4_vgpr5
	s_andn2_b64 vcc, exec, s[26:27]
	s_cbranch_vccz .LBB36_53
	s_branch .LBB36_54
.LBB36_165:
                                        ; implicit-def: $vgpr2_vgpr3
	s_andn2_b64 vcc, exec, s[22:23]
	s_cbranch_vccz .LBB36_58
	s_branch .LBB36_59
	.section	.rodata,"a",@progbits
	.p2align	6, 0x0
	.amdhsa_kernel _ZN4vllm31rms_norm_per_block_quant_kernelIfN3c1013Float8_e4m3fnELb0ELb1ELi64EEEvPT0_PfPKT_S8_PKffiiPS6_l
		.amdhsa_group_segment_fixed_size 4164
		.amdhsa_private_segment_fixed_size 0
		.amdhsa_kernarg_size 328
		.amdhsa_user_sgpr_count 6
		.amdhsa_user_sgpr_private_segment_buffer 1
		.amdhsa_user_sgpr_dispatch_ptr 0
		.amdhsa_user_sgpr_queue_ptr 0
		.amdhsa_user_sgpr_kernarg_segment_ptr 1
		.amdhsa_user_sgpr_dispatch_id 0
		.amdhsa_user_sgpr_flat_scratch_init 0
		.amdhsa_user_sgpr_kernarg_preload_length 0
		.amdhsa_user_sgpr_kernarg_preload_offset 0
		.amdhsa_user_sgpr_private_segment_size 0
		.amdhsa_uses_dynamic_stack 0
		.amdhsa_system_sgpr_private_segment_wavefront_offset 0
		.amdhsa_system_sgpr_workgroup_id_x 1
		.amdhsa_system_sgpr_workgroup_id_y 0
		.amdhsa_system_sgpr_workgroup_id_z 0
		.amdhsa_system_sgpr_workgroup_info 0
		.amdhsa_system_vgpr_workitem_id 0
		.amdhsa_next_free_vgpr 40
		.amdhsa_next_free_sgpr 46
		.amdhsa_accum_offset 40
		.amdhsa_reserve_vcc 1
		.amdhsa_reserve_flat_scratch 0
		.amdhsa_float_round_mode_32 0
		.amdhsa_float_round_mode_16_64 0
		.amdhsa_float_denorm_mode_32 3
		.amdhsa_float_denorm_mode_16_64 3
		.amdhsa_dx10_clamp 1
		.amdhsa_ieee_mode 1
		.amdhsa_fp16_overflow 0
		.amdhsa_tg_split 0
		.amdhsa_exception_fp_ieee_invalid_op 0
		.amdhsa_exception_fp_denorm_src 0
		.amdhsa_exception_fp_ieee_div_zero 0
		.amdhsa_exception_fp_ieee_overflow 0
		.amdhsa_exception_fp_ieee_underflow 0
		.amdhsa_exception_fp_ieee_inexact 0
		.amdhsa_exception_int_div_zero 0
	.end_amdhsa_kernel
	.section	.text._ZN4vllm31rms_norm_per_block_quant_kernelIfN3c1013Float8_e4m3fnELb0ELb1ELi64EEEvPT0_PfPKT_S8_PKffiiPS6_l,"axG",@progbits,_ZN4vllm31rms_norm_per_block_quant_kernelIfN3c1013Float8_e4m3fnELb0ELb1ELi64EEEvPT0_PfPKT_S8_PKffiiPS6_l,comdat
.Lfunc_end36:
	.size	_ZN4vllm31rms_norm_per_block_quant_kernelIfN3c1013Float8_e4m3fnELb0ELb1ELi64EEEvPT0_PfPKT_S8_PKffiiPS6_l, .Lfunc_end36-_ZN4vllm31rms_norm_per_block_quant_kernelIfN3c1013Float8_e4m3fnELb0ELb1ELi64EEEvPT0_PfPKT_S8_PKffiiPS6_l
                                        ; -- End function
	.section	.AMDGPU.csdata,"",@progbits
; Kernel info:
; codeLenInByte = 9208
; NumSgprs: 50
; NumVgprs: 40
; NumAgprs: 0
; TotalNumVgprs: 40
; ScratchSize: 0
; MemoryBound: 0
; FloatMode: 240
; IeeeMode: 1
; LDSByteSize: 4164 bytes/workgroup (compile time only)
; SGPRBlocks: 6
; VGPRBlocks: 4
; NumSGPRsForWavesPerEU: 50
; NumVGPRsForWavesPerEU: 40
; AccumOffset: 40
; Occupancy: 8
; WaveLimiterHint : 0
; COMPUTE_PGM_RSRC2:SCRATCH_EN: 0
; COMPUTE_PGM_RSRC2:USER_SGPR: 6
; COMPUTE_PGM_RSRC2:TRAP_HANDLER: 0
; COMPUTE_PGM_RSRC2:TGID_X_EN: 1
; COMPUTE_PGM_RSRC2:TGID_Y_EN: 0
; COMPUTE_PGM_RSRC2:TGID_Z_EN: 0
; COMPUTE_PGM_RSRC2:TIDIG_COMP_CNT: 0
; COMPUTE_PGM_RSRC3_GFX90A:ACCUM_OFFSET: 9
; COMPUTE_PGM_RSRC3_GFX90A:TG_SPLIT: 0
	.section	.text._ZN4vllm31rms_norm_per_block_quant_kernelIfN3c1015Float8_e4m3fnuzELb0ELb1ELi64EEEvPT0_PfPKT_S8_PKffiiPS6_l,"axG",@progbits,_ZN4vllm31rms_norm_per_block_quant_kernelIfN3c1015Float8_e4m3fnuzELb0ELb1ELi64EEEvPT0_PfPKT_S8_PKffiiPS6_l,comdat
	.protected	_ZN4vllm31rms_norm_per_block_quant_kernelIfN3c1015Float8_e4m3fnuzELb0ELb1ELi64EEEvPT0_PfPKT_S8_PKffiiPS6_l ; -- Begin function _ZN4vllm31rms_norm_per_block_quant_kernelIfN3c1015Float8_e4m3fnuzELb0ELb1ELi64EEEvPT0_PfPKT_S8_PKffiiPS6_l
	.globl	_ZN4vllm31rms_norm_per_block_quant_kernelIfN3c1015Float8_e4m3fnuzELb0ELb1ELi64EEEvPT0_PfPKT_S8_PKffiiPS6_l
	.p2align	8
	.type	_ZN4vllm31rms_norm_per_block_quant_kernelIfN3c1015Float8_e4m3fnuzELb0ELb1ELi64EEEvPT0_PfPKT_S8_PKffiiPS6_l,@function
_ZN4vllm31rms_norm_per_block_quant_kernelIfN3c1015Float8_e4m3fnuzELb0ELb1ELi64EEEvPT0_PfPKT_S8_PKffiiPS6_l: ; @_ZN4vllm31rms_norm_per_block_quant_kernelIfN3c1015Float8_e4m3fnuzELb0ELb1ELi64EEEvPT0_PfPKT_S8_PKffiiPS6_l
; %bb.0:
	s_load_dwordx4 s[16:19], s[4:5], 0x28
	s_load_dwordx8 s[8:15], s[4:5], 0x0
	s_load_dword s46, s[4:5], 0x48
	s_mov_b32 s7, 0
	v_mov_b32_e32 v1, 0
	s_waitcnt lgkmcnt(0)
	s_ashr_i32 s0, s18, 31
	s_mul_hi_u32 s1, s18, s6
	s_mul_i32 s0, s0, s6
	s_add_i32 s1, s1, s0
	s_mul_i32 s0, s18, s6
	s_lshl_b64 s[0:1], s[0:1], 2
	s_add_u32 s33, s12, s0
	s_addc_u32 s44, s13, s1
	s_ashr_i32 s12, s17, 2
	s_add_u32 s18, s4, 0x48
	s_mov_b32 s20, s17
	v_cmp_gt_u32_e64 s[0:1], s12, v0
	s_addc_u32 s19, s5, 0
	s_and_saveexec_b64 s[2:3], s[0:1]
	s_cbranch_execz .LBB37_10
; %bb.1:
	s_cmp_lt_u32 s6, s46
	s_cselect_b32 s13, 12, 18
	s_add_u32 s22, s18, s13
	s_addc_u32 s23, s19, 0
	v_mov_b32_e32 v3, 0
	global_load_ushort v8, v3, s[22:23]
	s_mov_b64 s[22:23], 0
	v_mov_b32_e32 v9, s44
	v_mov_b32_e32 v2, v0
                                        ; implicit-def: $sgpr24_sgpr25
	s_waitcnt vmcnt(0)
	v_add_u32_e32 v1, v8, v8
	v_mul_lo_u32 v10, v8, 3
	v_lshlrev_b32_e32 v11, 1, v8
	v_add_u32_e32 v12, v1, v8
	v_mov_b32_e32 v1, v3
	s_branch .LBB37_5
.LBB37_2:                               ;   in Loop: Header=BB37_5 Depth=1
	s_or_b64 exec, exec, s[30:31]
	s_orn2_b64 s[30:31], s[34:35], exec
.LBB37_3:                               ;   in Loop: Header=BB37_5 Depth=1
	s_or_b64 exec, exec, s[28:29]
	s_andn2_b64 s[24:25], s[24:25], exec
	s_and_b64 s[28:29], s[30:31], exec
	s_or_b64 s[24:25], s[24:25], s[28:29]
.LBB37_4:                               ;   in Loop: Header=BB37_5 Depth=1
	s_or_b64 exec, exec, s[26:27]
	s_and_b64 s[26:27], exec, s[24:25]
	s_or_b64 s[22:23], s[26:27], s[22:23]
	s_andn2_b64 exec, exec, s[22:23]
	s_cbranch_execz .LBB37_9
.LBB37_5:                               ; =>This Inner Loop Header: Depth=1
	v_lshlrev_b64 v[4:5], 4, v[2:3]
	v_add_co_u32_e32 v4, vcc, s33, v4
	v_addc_co_u32_e32 v5, vcc, v9, v5, vcc
	global_load_dwordx4 v[14:17], v[4:5], off
	v_add_u32_e32 v4, v2, v8
	v_cmp_gt_u32_e32 vcc, s12, v4
	s_or_b64 s[24:25], s[24:25], exec
	s_waitcnt vmcnt(0)
	v_fmac_f32_e32 v1, v14, v14
	v_fmac_f32_e32 v1, v15, v15
	v_fmac_f32_e32 v1, v16, v16
	v_fmac_f32_e32 v1, v17, v17
	s_and_saveexec_b64 s[26:27], vcc
	s_cbranch_execz .LBB37_4
; %bb.6:                                ;   in Loop: Header=BB37_5 Depth=1
	v_mov_b32_e32 v5, v3
	v_lshlrev_b64 v[6:7], 4, v[4:5]
	v_add_co_u32_e32 v6, vcc, s33, v6
	v_addc_co_u32_e32 v7, vcc, v9, v7, vcc
	global_load_dwordx4 v[14:17], v[6:7], off
	v_add_u32_e32 v6, v11, v2
	v_cmp_gt_u32_e32 vcc, s12, v6
	s_mov_b64 s[30:31], -1
	s_waitcnt vmcnt(0)
	v_fmac_f32_e32 v1, v14, v14
	v_fmac_f32_e32 v1, v15, v15
	;; [unrolled: 1-line block ×4, first 2 shown]
	s_and_saveexec_b64 s[28:29], vcc
	s_cbranch_execz .LBB37_3
; %bb.7:                                ;   in Loop: Header=BB37_5 Depth=1
	v_mov_b32_e32 v7, v3
	v_lshlrev_b64 v[6:7], 4, v[6:7]
	v_add_co_u32_e32 v6, vcc, s33, v6
	v_addc_co_u32_e32 v7, vcc, v9, v7, vcc
	global_load_dwordx4 v[14:17], v[6:7], off
	v_add_u32_e32 v2, v10, v2
	v_cmp_gt_u32_e32 vcc, s12, v2
	s_mov_b64 s[34:35], -1
	s_waitcnt vmcnt(0)
	v_fmac_f32_e32 v1, v14, v14
	v_fmac_f32_e32 v1, v15, v15
	;; [unrolled: 1-line block ×4, first 2 shown]
	s_and_saveexec_b64 s[30:31], vcc
	s_xor_b64 s[30:31], exec, s[30:31]
	s_cbranch_execz .LBB37_2
; %bb.8:                                ;   in Loop: Header=BB37_5 Depth=1
	v_lshlrev_b64 v[6:7], 4, v[2:3]
	v_add_co_u32_e32 v6, vcc, s33, v6
	v_addc_co_u32_e32 v7, vcc, v9, v7, vcc
	global_load_dwordx4 v[14:17], v[6:7], off
	v_add_u32_e32 v2, v12, v4
	v_cmp_le_u32_e32 vcc, s12, v2
	s_orn2_b64 s[34:35], vcc, exec
	s_waitcnt vmcnt(0)
	v_fmac_f32_e32 v1, v14, v14
	v_fmac_f32_e32 v1, v15, v15
	;; [unrolled: 1-line block ×4, first 2 shown]
	s_branch .LBB37_2
.LBB37_9:
	s_or_b64 exec, exec, s[22:23]
.LBB37_10:
	s_or_b64 exec, exec, s[2:3]
	v_mbcnt_lo_u32_b32 v2, -1, 0
	v_mbcnt_hi_u32_b32 v2, -1, v2
	v_and_b32_e32 v3, 63, v2
	v_cmp_ne_u32_e32 vcc, 63, v3
	s_load_dword s2, s[18:19], 0xc
	v_addc_co_u32_e32 v4, vcc, 0, v2, vcc
	v_lshlrev_b32_e32 v4, 2, v4
	ds_bpermute_b32 v4, v4, v1
	s_waitcnt lgkmcnt(0)
	s_and_b32 s13, s2, 0xffff
	v_and_b32_e32 v5, 0x3c0, v0
	v_sub_u32_e64 v5, s13, v5 clamp
	v_add_u32_e32 v6, 1, v2
	v_add_f32_e32 v4, v1, v4
	v_cmp_lt_u32_e32 vcc, v6, v5
	v_cndmask_b32_e32 v1, v1, v4, vcc
	v_cmp_gt_u32_e32 vcc, 62, v3
	v_cndmask_b32_e64 v4, 0, 1, vcc
	v_lshlrev_b32_e32 v4, 1, v4
	v_add_lshl_u32 v4, v4, v2, 2
	ds_bpermute_b32 v4, v4, v1
	v_add_u32_e32 v6, 2, v2
	v_cmp_lt_u32_e32 vcc, v6, v5
	v_add_u32_e32 v6, 4, v2
	s_waitcnt lgkmcnt(0)
	v_add_f32_e32 v4, v1, v4
	v_cndmask_b32_e32 v1, v1, v4, vcc
	v_cmp_gt_u32_e32 vcc, 60, v3
	v_cndmask_b32_e64 v4, 0, 1, vcc
	v_lshlrev_b32_e32 v4, 2, v4
	v_add_lshl_u32 v4, v4, v2, 2
	ds_bpermute_b32 v4, v4, v1
	v_cmp_lt_u32_e32 vcc, v6, v5
	v_add_u32_e32 v6, 8, v2
	s_waitcnt lgkmcnt(0)
	v_add_f32_e32 v4, v1, v4
	v_cndmask_b32_e32 v1, v1, v4, vcc
	v_cmp_gt_u32_e32 vcc, 56, v3
	v_cndmask_b32_e64 v4, 0, 1, vcc
	v_lshlrev_b32_e32 v4, 3, v4
	v_add_lshl_u32 v4, v4, v2, 2
	ds_bpermute_b32 v4, v4, v1
	;; [unrolled: 10-line block ×3, first 2 shown]
	v_cmp_lt_u32_e32 vcc, v6, v5
	s_waitcnt lgkmcnt(0)
	v_add_f32_e32 v4, v1, v4
	v_cndmask_b32_e32 v1, v1, v4, vcc
	v_cmp_gt_u32_e32 vcc, 32, v3
	v_cndmask_b32_e64 v3, 0, 1, vcc
	v_lshlrev_b32_e32 v3, 5, v3
	v_add_lshl_u32 v3, v3, v2, 2
	ds_bpermute_b32 v3, v3, v1
	v_add_u32_e32 v4, 32, v2
	v_cmp_lt_u32_e32 vcc, v4, v5
	s_waitcnt lgkmcnt(0)
	v_add_f32_e32 v3, v1, v3
	v_cndmask_b32_e32 v1, v1, v3, vcc
	v_cmp_eq_u32_e32 vcc, 0, v2
	s_and_saveexec_b64 s[2:3], vcc
	s_cbranch_execz .LBB37_12
; %bb.11:
	v_lshrrev_b32_e32 v3, 4, v0
	v_and_b32_e32 v3, 60, v3
	ds_write_b32 v3, v1 offset:4096
.LBB37_12:
	s_or_b64 exec, exec, s[2:3]
	v_cmp_gt_u32_e32 vcc, 16, v0
	s_waitcnt lgkmcnt(0)
	s_barrier
	s_and_saveexec_b64 s[22:23], vcc
	s_cbranch_execz .LBB37_14
; %bb.13:
	v_lshlrev_b32_e32 v1, 2, v2
	ds_read_b32 v1, v1 offset:4096
	v_and_b32_e32 v3, 15, v2
	v_cmp_ne_u32_e32 vcc, 15, v3
	v_addc_co_u32_e32 v4, vcc, 0, v2, vcc
	v_lshlrev_b32_e32 v4, 2, v4
	s_waitcnt lgkmcnt(0)
	ds_bpermute_b32 v4, v4, v1
	s_add_i32 s13, s13, 63
	s_lshr_b32 s13, s13, 6
	v_add_u32_e32 v5, 1, v3
	v_cmp_gt_u32_e64 s[2:3], 14, v3
	v_cmp_gt_u32_e32 vcc, s13, v5
	v_cndmask_b32_e64 v5, 0, 1, s[2:3]
	s_waitcnt lgkmcnt(0)
	v_add_f32_e32 v4, v1, v4
	v_lshlrev_b32_e32 v5, 1, v5
	v_cndmask_b32_e32 v4, v1, v4, vcc
	v_add_lshl_u32 v5, v5, v2, 2
	ds_bpermute_b32 v5, v5, v4
	v_add_u32_e32 v6, 2, v3
	v_cmp_gt_u32_e64 s[2:3], s13, v6
	v_add_u32_e32 v6, 4, v3
	s_waitcnt lgkmcnt(0)
	v_add_f32_e32 v5, v4, v5
	v_cndmask_b32_e64 v4, v4, v5, s[2:3]
	v_cmp_gt_u32_e64 s[2:3], 12, v3
	v_cndmask_b32_e64 v5, 0, 1, s[2:3]
	v_lshlrev_b32_e32 v5, 2, v5
	v_add_lshl_u32 v5, v5, v2, 2
	ds_bpermute_b32 v5, v5, v4
	v_cmp_gt_u32_e64 s[2:3], s13, v6
	s_waitcnt lgkmcnt(0)
	v_add_f32_e32 v5, v4, v5
	v_cndmask_b32_e64 v4, v4, v5, s[2:3]
	v_cmp_gt_u32_e64 s[2:3], 8, v3
	v_cndmask_b32_e64 v5, 0, 1, s[2:3]
	v_lshlrev_b32_e32 v5, 3, v5
	v_add_lshl_u32 v2, v5, v2, 2
	ds_bpermute_b32 v2, v2, v4
	v_add_u32_e32 v3, 8, v3
	v_cmp_gt_u32_e64 s[2:3], s13, v3
	s_waitcnt lgkmcnt(0)
	v_add_f32_e32 v2, v4, v2
	v_cndmask_b32_e64 v2, v4, v2, s[2:3]
	v_cndmask_b32_e32 v1, v1, v2, vcc
.LBB37_14:
	s_or_b64 exec, exec, s[22:23]
	v_cmp_eq_u32_e32 vcc, 0, v0
	s_and_saveexec_b64 s[2:3], vcc
	s_cbranch_execz .LBB37_16
; %bb.15:
	v_cvt_f32_i32_e32 v2, s17
	s_mov_b32 s13, 0x800000
	v_div_scale_f32 v3, s[22:23], v2, v2, v1
	v_rcp_f32_e32 v4, v3
	v_div_scale_f32 v5, vcc, v1, v2, v1
	v_fma_f32 v6, -v3, v4, 1.0
	v_fmac_f32_e32 v4, v6, v4
	v_mul_f32_e32 v6, v5, v4
	v_fma_f32 v7, -v3, v6, v5
	v_fmac_f32_e32 v6, v7, v4
	v_fma_f32 v3, -v3, v6, v5
	v_div_fmas_f32 v3, v3, v4, v6
	v_div_fixup_f32 v1, v3, v2, v1
	v_add_f32_e32 v1, s16, v1
	v_mul_f32_e32 v2, 0x4b800000, v1
	v_cmp_gt_f32_e32 vcc, s13, v1
	v_cndmask_b32_e32 v1, v1, v2, vcc
	v_rsq_f32_e32 v1, v1
	v_mul_f32_e32 v2, 0x45800000, v1
	v_cndmask_b32_e32 v1, v1, v2, vcc
	v_mov_b32_e32 v2, 0
	ds_write_b32 v2, v1 offset:4160
.LBB37_16:
	s_or_b64 exec, exec, s[2:3]
	s_ashr_i32 s21, s17, 31
	s_lshr_b32 s2, s21, 26
	s_add_i32 s3, s17, s2
	s_ashr_i32 s2, s3, 6
	s_cmp_lt_u32 s6, s46
	s_cselect_b32 s13, 12, 18
	s_add_u32 s18, s18, s13
	v_mov_b32_e32 v5, 0
	s_addc_u32 s19, s19, 0
	s_waitcnt lgkmcnt(0)
	s_barrier
	global_load_ushort v1, v5, s[18:19]
	ds_read_b32 v36, v5 offset:4160
	s_abs_i32 s13, s2
	v_cvt_f32_u32_e32 v2, s13
	s_sub_i32 s16, 0, s13
	s_ashr_i32 s3, s3, 31
	v_mov_b32_e32 v10, s12
	v_rcp_iflag_f32_e32 v2, v2
	v_mul_f32_e32 v2, 0x4f7ffffe, v2
	v_cvt_u32_f32_e32 v2, v2
	v_readfirstlane_b32 s18, v2
	s_mul_i32 s16, s16, s18
	s_mul_hi_u32 s16, s18, s16
	s_add_i32 s18, s18, s16
	s_waitcnt vmcnt(0)
	v_readfirstlane_b32 s45, v1
	s_mul_hi_u32 s16, s45, s18
	s_mul_i32 s18, s16, s13
	s_sub_i32 s18, s45, s18
	s_add_i32 s19, s16, 1
	s_sub_i32 s22, s18, s13
	s_cmp_ge_u32 s18, s13
	s_cselect_b32 s16, s19, s16
	s_cselect_b32 s18, s22, s18
	s_add_i32 s19, s16, 1
	s_cmp_ge_u32 s18, s13
	s_cselect_b32 s13, s19, s16
	s_xor_b32 s13, s13, s3
	s_sub_i32 s18, s13, s3
	s_abs_i32 s3, s18
	v_cvt_f32_u32_e32 v1, s3
	s_sub_i32 s16, 0, s3
	s_ashr_i32 s19, s18, 31
	s_ashr_i32 s13, s12, 31
	v_rcp_iflag_f32_e32 v1, v1
	v_mov_b32_e32 v11, s13
	v_mul_f32_e32 v1, 0x4f7ffffe, v1
	v_cvt_u32_f32_e32 v1, v1
	v_mul_lo_u32 v2, s16, v1
	v_mul_hi_u32 v2, v1, v2
	v_add_u32_e32 v1, v1, v2
	v_mul_hi_u32 v1, v0, v1
	v_mul_lo_u32 v2, v1, s3
	v_sub_u32_e32 v2, v0, v2
	v_add_u32_e32 v3, 1, v1
	v_cmp_le_u32_e32 vcc, s3, v2
	v_cndmask_b32_e32 v1, v1, v3, vcc
	v_subrev_u32_e32 v3, s3, v2
	v_cndmask_b32_e32 v2, v2, v3, vcc
	v_add_u32_e32 v3, 1, v1
	v_cmp_le_u32_e32 vcc, s3, v2
	v_cndmask_b32_e32 v1, v1, v3, vcc
	v_xor_b32_e32 v1, s19, v1
	v_subrev_u32_e32 v2, s19, v1
	v_mul_lo_u32 v1, v2, s18
	v_ashrrev_i32_e32 v3, 31, v2
	v_sub_u32_e32 v4, v0, v1
	v_lshlrev_b64 v[8:9], 4, v[2:3]
	v_add_co_u32_e32 v6, vcc, v8, v4
	v_addc_co_u32_e32 v7, vcc, 0, v9, vcc
	v_add_co_u32_e32 v8, vcc, 16, v8
	v_addc_co_u32_e32 v9, vcc, 0, v9, vcc
	v_cmp_gt_i64_e32 vcc, s[12:13], v[8:9]
	v_cndmask_b32_e32 v8, v10, v8, vcc
	v_cndmask_b32_e32 v9, v11, v9, vcc
	v_ashrrev_i32_e32 v11, 31, v8
	v_mov_b32_e32 v10, v8
	v_cmp_lt_i64_e32 vcc, v[6:7], v[10:11]
	s_and_saveexec_b64 s[22:23], vcc
	s_cbranch_execz .LBB37_26
; %bb.17:
	v_lshlrev_b64 v[12:13], 8, v[2:3]
	v_lshlrev_b64 v[14:15], 4, v[4:5]
	v_add_co_u32_e32 v12, vcc, v12, v14
	v_addc_co_u32_e32 v1, vcc, v13, v15, vcc
	s_lshl_b64 s[24:25], s[18:19], 6
	s_mul_hi_i32 s3, s18, 3
	s_mul_i32 s13, s18, 3
	s_lshl_b64 s[26:27], s[18:19], 1
	s_lshl_b64 s[30:31], s[18:19], 4
	s_mov_b64 s[28:29], 0
	v_mov_b32_e32 v5, 0
	v_mov_b32_e32 v13, s44
	;; [unrolled: 1-line block ×4, first 2 shown]
	v_pk_mov_b32 v[14:15], v[6:7], v[6:7] op_sel:[0,1]
                                        ; implicit-def: $sgpr34_sgpr35
	s_branch .LBB37_21
.LBB37_18:                              ;   in Loop: Header=BB37_21 Depth=1
	s_or_b64 exec, exec, s[40:41]
	s_orn2_b64 s[40:41], s[42:43], exec
.LBB37_19:                              ;   in Loop: Header=BB37_21 Depth=1
	s_or_b64 exec, exec, s[38:39]
	s_andn2_b64 s[34:35], s[34:35], exec
	s_and_b64 s[38:39], s[40:41], exec
	s_or_b64 s[34:35], s[34:35], s[38:39]
.LBB37_20:                              ;   in Loop: Header=BB37_21 Depth=1
	s_or_b64 exec, exec, s[36:37]
	s_and_b64 s[36:37], exec, s[34:35]
	s_or_b64 s[28:29], s[36:37], s[28:29]
	s_andn2_b64 exec, exec, s[28:29]
	s_cbranch_execz .LBB37_25
.LBB37_21:                              ; =>This Inner Loop Header: Depth=1
	v_add_co_u32_e32 v18, vcc, s33, v12
	v_addc_co_u32_e32 v19, vcc, v13, v1, vcc
	v_add_co_u32_e32 v20, vcc, s14, v12
	global_load_dwordx4 v[24:27], v[18:19], off
	v_addc_co_u32_e32 v21, vcc, v22, v1, vcc
	global_load_dwordx4 v[28:31], v[20:21], off
	v_add_co_u32_e32 v16, vcc, s18, v14
	v_addc_co_u32_e32 v17, vcc, v15, v23, vcc
	v_cmp_lt_i64_e32 vcc, v[16:17], v[10:11]
	s_or_b64 s[34:35], s[34:35], exec
	s_waitcnt vmcnt(1) lgkmcnt(0)
	v_mul_f32_e32 v24, v36, v24
	v_mul_f32_e32 v25, v36, v25
	;; [unrolled: 1-line block ×4, first 2 shown]
	s_waitcnt vmcnt(0)
	v_mul_f32_e32 v24, v24, v28
	v_mul_f32_e32 v25, v25, v29
	;; [unrolled: 1-line block ×4, first 2 shown]
	v_max3_f32 v5, v5, |v24|, |v25|
	v_max3_f32 v5, v5, |v26|, |v27|
	s_and_saveexec_b64 s[36:37], vcc
	s_cbranch_execz .LBB37_20
; %bb.22:                               ;   in Loop: Header=BB37_21 Depth=1
	v_mov_b32_e32 v28, s31
	v_add_co_u32_e32 v18, vcc, s30, v18
	v_addc_co_u32_e32 v19, vcc, v19, v28, vcc
	v_add_co_u32_e32 v20, vcc, s30, v20
	global_load_dwordx4 v[24:27], v[18:19], off
	v_addc_co_u32_e32 v21, vcc, v21, v28, vcc
	global_load_dwordx4 v[28:31], v[20:21], off
	v_mov_b32_e32 v33, s27
	v_add_co_u32_e32 v32, vcc, s26, v14
	v_addc_co_u32_e32 v33, vcc, v33, v15, vcc
	v_cmp_lt_i64_e32 vcc, v[32:33], v[10:11]
	s_mov_b64 s[40:41], -1
	s_waitcnt vmcnt(1)
	v_mul_f32_e32 v24, v36, v24
	v_mul_f32_e32 v25, v36, v25
	;; [unrolled: 1-line block ×4, first 2 shown]
	s_waitcnt vmcnt(0)
	v_mul_f32_e32 v24, v24, v28
	v_mul_f32_e32 v25, v25, v29
	;; [unrolled: 1-line block ×4, first 2 shown]
	v_max3_f32 v5, v5, |v24|, |v25|
	v_max3_f32 v5, v5, |v26|, |v27|
	s_and_saveexec_b64 s[38:39], vcc
	s_cbranch_execz .LBB37_19
; %bb.23:                               ;   in Loop: Header=BB37_21 Depth=1
	v_mov_b32_e32 v28, s31
	v_add_co_u32_e32 v18, vcc, s30, v18
	v_addc_co_u32_e32 v19, vcc, v19, v28, vcc
	v_add_co_u32_e32 v20, vcc, s30, v20
	global_load_dwordx4 v[24:27], v[18:19], off
	v_addc_co_u32_e32 v21, vcc, v21, v28, vcc
	global_load_dwordx4 v[28:31], v[20:21], off
	v_mov_b32_e32 v32, s3
	v_add_co_u32_e32 v14, vcc, s13, v14
	v_addc_co_u32_e32 v15, vcc, v32, v15, vcc
	v_cmp_lt_i64_e32 vcc, v[14:15], v[10:11]
	s_mov_b64 s[42:43], -1
	s_waitcnt vmcnt(1)
	v_mul_f32_e32 v14, v36, v24
	v_mul_f32_e32 v15, v36, v25
	;; [unrolled: 1-line block ×4, first 2 shown]
	s_waitcnt vmcnt(0)
	v_mul_f32_e32 v14, v14, v28
	v_mul_f32_e32 v15, v15, v29
	v_mul_f32_e32 v24, v24, v30
	v_mul_f32_e32 v25, v25, v31
	v_max3_f32 v5, v5, |v14|, |v15|
	v_max3_f32 v5, v5, |v24|, |v25|
                                        ; implicit-def: $vgpr14_vgpr15
	s_and_saveexec_b64 s[40:41], vcc
	s_xor_b64 s[40:41], exec, s[40:41]
	s_cbranch_execz .LBB37_18
; %bb.24:                               ;   in Loop: Header=BB37_21 Depth=1
	v_mov_b32_e32 v28, s31
	v_add_co_u32_e32 v14, vcc, s30, v18
	v_addc_co_u32_e32 v15, vcc, v19, v28, vcc
	global_load_dwordx4 v[24:27], v[14:15], off
	v_add_co_u32_e32 v14, vcc, s30, v20
	v_addc_co_u32_e32 v15, vcc, v21, v28, vcc
	global_load_dwordx4 v[18:21], v[14:15], off
	s_add_u32 s16, s18, s18
	s_addc_u32 s42, s19, s19
	v_mov_b32_e32 v14, s25
	v_add_co_u32_e32 v12, vcc, s24, v12
	s_add_u32 s16, s16, s18
	v_addc_co_u32_e32 v1, vcc, v1, v14, vcc
	s_addc_u32 s42, s42, s19
	v_mov_b32_e32 v15, s42
	v_add_co_u32_e32 v14, vcc, s16, v16
	v_addc_co_u32_e32 v15, vcc, v15, v17, vcc
	v_cmp_ge_i64_e32 vcc, v[14:15], v[10:11]
	s_orn2_b64 s[42:43], vcc, exec
	s_waitcnt vmcnt(1)
	v_mul_f32_e32 v16, v36, v24
	v_mul_f32_e32 v17, v36, v25
	;; [unrolled: 1-line block ×4, first 2 shown]
	s_waitcnt vmcnt(0)
	v_mul_f32_e32 v16, v16, v18
	v_mul_f32_e32 v17, v17, v19
	v_mul_f32_e32 v18, v24, v20
	v_mul_f32_e32 v19, v25, v21
	v_max3_f32 v5, v5, |v16|, |v17|
	v_max3_f32 v5, v5, |v18|, |v19|
	s_branch .LBB37_18
.LBB37_25:
	s_or_b64 exec, exec, s[28:29]
.LBB37_26:
	s_or_b64 exec, exec, s[22:23]
	s_lshr_b32 s13, s45, 6
	v_cvt_f32_u32_e32 v10, s13
	v_lshlrev_b32_e32 v1, 2, v0
	ds_write_b32 v1, v5
	s_sub_i32 s22, 0, s13
	v_rcp_iflag_f32_e32 v5, v10
	s_add_i32 s3, s2, s13
	s_add_i32 s3, s3, -1
	s_ashr_i32 s16, s3, 31
	v_mul_f32_e32 v5, 0x4f7ffffe, v5
	v_cvt_u32_f32_e32 v5, v5
	s_abs_i32 s3, s3
	s_waitcnt lgkmcnt(0)
	s_barrier
	v_readfirstlane_b32 s23, v5
	s_mul_i32 s22, s22, s23
	s_mul_hi_u32 s22, s23, s22
	s_add_i32 s23, s23, s22
	s_mul_hi_u32 s22, s3, s23
	s_mul_i32 s23, s22, s13
	s_sub_i32 s3, s3, s23
	s_add_i32 s23, s22, 1
	s_sub_i32 s24, s3, s13
	s_cmp_ge_u32 s3, s13
	s_cselect_b32 s22, s23, s22
	s_cselect_b32 s3, s24, s3
	s_add_i32 s23, s22, 1
	s_cmp_ge_u32 s3, s13
	s_cselect_b32 s3, s23, s22
	s_xor_b32 s3, s3, s16
	s_sub_i32 s22, s3, s16
	s_ashr_i32 s23, s22, 31
	v_cmp_lt_i64_e64 s[24:25], s[22:23], 1
	s_and_b64 vcc, exec, s[24:25]
	s_cbranch_vccnz .LBB37_48
; %bb.27:
	v_and_b32_e32 v12, 63, v0
	v_add_co_u32_e32 v14, vcc, 32, v12
	v_addc_co_u32_e64 v15, s[24:25], 0, 0, vcc
	v_add_co_u32_e32 v16, vcc, 16, v12
	v_addc_co_u32_e64 v17, s[24:25], 0, 0, vcc
	v_add_co_u32_e32 v18, vcc, 8, v12
	v_lshrrev_b32_e32 v10, 6, v0
	v_addc_co_u32_e64 v19, s[24:25], 0, 0, vcc
	v_add_co_u32_e32 v20, vcc, 4, v12
	v_addc_co_u32_e64 v21, s[24:25], 0, 0, vcc
	v_add_co_u32_e32 v22, vcc, 2, v12
	v_mul_lo_u32 v5, s18, v10
	v_addc_co_u32_e64 v23, s[24:25], 0, 0, vcc
	v_add_co_u32_e32 v24, vcc, 1, v12
	v_lshlrev_b32_e32 v5, 2, v5
	v_lshlrev_b32_e32 v26, 2, v12
	s_movk_i32 s16, 0x100
	v_mov_b32_e32 v11, 0
	v_addc_co_u32_e64 v25, s[24:25], 0, 0, vcc
	v_add3_u32 v5, v5, v26, s16
	s_mul_i32 s16, s18, s13
	s_ashr_i32 s3, s2, 31
	v_mov_b32_e32 v13, v11
	s_lshl_b32 s16, s16, 2
	s_mov_b64 s[24:25], 0
	v_mov_b32_e32 v37, s13
	s_mov_b64 s[26:27], src_shared_base
	s_branch .LBB37_30
.LBB37_28:                              ;   in Loop: Header=BB37_30 Depth=1
	s_or_b64 exec, exec, s[30:31]
	v_mov_b32_e32 v27, s27
	flat_load_dword v26, v[26:27] glc
	s_waitcnt vmcnt(0)
.LBB37_29:                              ;   in Loop: Header=BB37_30 Depth=1
	s_or_b64 exec, exec, s[28:29]
	s_add_u32 s24, s24, 1
	s_addc_u32 s25, s25, 0
	s_cmp_eq_u64 s[24:25], s[22:23]
	v_add_u32_e32 v5, s16, v5
	s_cbranch_scc1 .LBB37_48
.LBB37_30:                              ; =>This Loop Header: Depth=1
                                        ;     Child Loop BB37_33 Depth 2
	v_mad_u64_u32 v[30:31], s[28:29], s24, v37, v[10:11]
	s_mul_i32 s26, s25, s13
	v_add_u32_e32 v31, s26, v31
	v_cmp_gt_i64_e32 vcc, s[2:3], v[30:31]
	s_and_saveexec_b64 s[28:29], vcc
	s_cbranch_execz .LBB37_29
; %bb.31:                               ;   in Loop: Header=BB37_30 Depth=1
	v_pk_mov_b32 v[32:33], s[18:19], s[18:19] op_sel:[0,1]
	v_mul_lo_u32 v29, v31, s18
	v_mul_lo_u32 v38, v30, s19
	v_mad_u64_u32 v[32:33], s[30:31], v30, s18, v[32:33]
	v_add3_u32 v33, v29, v33, v38
	v_mov_b32_e32 v28, s21
	v_cmp_gt_i64_e32 vcc, s[20:21], v[32:33]
	s_waitcnt lgkmcnt(0)
	v_mad_u64_u32 v[26:27], s[30:31], v30, s18, v[12:13]
	v_cndmask_b32_e32 v33, v28, v33, vcc
	v_mov_b32_e32 v28, s17
	v_add3_u32 v27, v29, v27, v38
	v_cndmask_b32_e32 v32, v28, v32, vcc
	v_add_co_u32_e32 v34, vcc, 64, v26
	v_addc_co_u32_e32 v35, vcc, 0, v27, vcc
	v_cmp_lt_i64_e32 vcc, v[34:35], v[32:33]
	v_lshlrev_b32_e32 v28, 2, v26
	s_and_saveexec_b64 s[30:31], vcc
	s_cbranch_execz .LBB37_34
; %bb.32:                               ;   in Loop: Header=BB37_30 Depth=1
	ds_read_b32 v31, v28
	s_mov_b64 s[34:35], 0
	v_mov_b32_e32 v27, v5
.LBB37_33:                              ;   Parent Loop BB37_30 Depth=1
                                        ; =>  This Inner Loop Header: Depth=2
	ds_read_b32 v39, v27
	v_add_co_u32_e32 v34, vcc, 64, v34
	v_addc_co_u32_e32 v35, vcc, 0, v35, vcc
	s_waitcnt lgkmcnt(1)
	v_max_f32_e32 v31, v31, v31
	v_cmp_ge_i64_e32 vcc, v[34:35], v[32:33]
	s_waitcnt lgkmcnt(0)
	v_max_f32_e32 v39, v39, v39
	v_add_u32_e32 v27, 0x100, v27
	s_or_b64 s[34:35], vcc, s[34:35]
	v_max_f32_e32 v31, v31, v39
	ds_write_b32 v28, v31
	s_andn2_b64 exec, exec, s[34:35]
	s_cbranch_execnz .LBB37_33
.LBB37_34:                              ;   in Loop: Header=BB37_30 Depth=1
	s_or_b64 exec, exec, s[30:31]
	v_mad_u64_u32 v[30:31], s[30:31], v30, s18, 0
	v_add3_u32 v27, v31, v38, v29
	v_sub_co_u32_e32 v30, vcc, v32, v30
	v_subb_co_u32_e32 v31, vcc, v33, v27, vcc
	v_cmp_gt_i64_e32 vcc, 64, v[30:31]
	v_cndmask_b32_e32 v31, 0, v31, vcc
	v_cndmask_b32_e32 v30, 64, v30, vcc
	v_cmp_lt_i64_e32 vcc, v[14:15], v[30:31]
	s_and_saveexec_b64 s[30:31], vcc
	s_cbranch_execnz .LBB37_46
; %bb.35:                               ;   in Loop: Header=BB37_30 Depth=1
	s_or_b64 exec, exec, s[30:31]
	v_cmp_lt_i64_e32 vcc, v[16:17], v[30:31]
	s_and_saveexec_b64 s[30:31], vcc
	s_cbranch_execnz .LBB37_47
.LBB37_36:                              ;   in Loop: Header=BB37_30 Depth=1
	s_or_b64 exec, exec, s[30:31]
	v_cmp_lt_i64_e32 vcc, v[18:19], v[30:31]
	s_and_saveexec_b64 s[30:31], vcc
	s_cbranch_execz .LBB37_38
.LBB37_37:                              ;   in Loop: Header=BB37_30 Depth=1
	v_mov_b32_e32 v29, s27
	v_add_u32_e32 v32, 32, v28
	v_mov_b32_e32 v33, s27
	flat_load_dword v27, v[28:29] glc
	s_waitcnt vmcnt(0)
	flat_load_dword v34, v[32:33] glc
	s_waitcnt vmcnt(0) lgkmcnt(0)
	v_max_f32_e32 v27, v27, v27
	v_max_f32_e32 v32, v34, v34
	;; [unrolled: 1-line block ×3, first 2 shown]
	flat_store_dword v[28:29], v27
	s_waitcnt vmcnt(0)
.LBB37_38:                              ;   in Loop: Header=BB37_30 Depth=1
	s_or_b64 exec, exec, s[30:31]
	v_cmp_ge_i64_e32 vcc, v[20:21], v[30:31]
	s_and_saveexec_b64 s[30:31], vcc
	s_xor_b64 s[30:31], exec, s[30:31]
; %bb.39:                               ;   in Loop: Header=BB37_30 Depth=1
                                        ; implicit-def: $vgpr28
; %bb.40:                               ;   in Loop: Header=BB37_30 Depth=1
	s_andn2_saveexec_b64 s[30:31], s[30:31]
	s_cbranch_execz .LBB37_42
; %bb.41:                               ;   in Loop: Header=BB37_30 Depth=1
	v_mov_b32_e32 v29, s27
	v_add_u32_e32 v32, 16, v28
	v_mov_b32_e32 v33, s27
	flat_load_dword v27, v[28:29] glc
	s_waitcnt vmcnt(0)
	flat_load_dword v34, v[32:33] glc
	s_waitcnt vmcnt(0) lgkmcnt(0)
	v_max_f32_e32 v27, v27, v27
	v_max_f32_e32 v32, v34, v34
	;; [unrolled: 1-line block ×3, first 2 shown]
	flat_store_dword v[28:29], v27
	s_waitcnt vmcnt(0)
.LBB37_42:                              ;   in Loop: Header=BB37_30 Depth=1
	s_or_b64 exec, exec, s[30:31]
	v_cmp_lt_i64_e32 vcc, v[22:23], v[30:31]
	v_lshlrev_b32_e32 v26, 2, v26
	s_and_saveexec_b64 s[30:31], vcc
	s_cbranch_execz .LBB37_44
; %bb.43:                               ;   in Loop: Header=BB37_30 Depth=1
	v_mov_b32_e32 v27, s27
	v_add_u32_e32 v28, 8, v26
	v_mov_b32_e32 v29, s27
	flat_load_dword v32, v[26:27] glc
	s_waitcnt vmcnt(0)
	flat_load_dword v33, v[28:29] glc
	s_waitcnt vmcnt(0) lgkmcnt(0)
	v_max_f32_e32 v28, v32, v32
	v_max_f32_e32 v29, v33, v33
	;; [unrolled: 1-line block ×3, first 2 shown]
	flat_store_dword v[26:27], v28
	s_waitcnt vmcnt(0)
.LBB37_44:                              ;   in Loop: Header=BB37_30 Depth=1
	s_or_b64 exec, exec, s[30:31]
	v_cmp_lt_i64_e32 vcc, v[24:25], v[30:31]
	s_and_saveexec_b64 s[30:31], vcc
	s_cbranch_execz .LBB37_28
; %bb.45:                               ;   in Loop: Header=BB37_30 Depth=1
	v_mov_b32_e32 v27, s27
	v_add_u32_e32 v28, 4, v26
	v_mov_b32_e32 v29, s27
	flat_load_dword v30, v[26:27] glc
	s_waitcnt vmcnt(0)
	flat_load_dword v31, v[28:29] glc
	s_waitcnt vmcnt(0) lgkmcnt(0)
	v_max_f32_e32 v28, v30, v30
	v_max_f32_e32 v29, v31, v31
	;; [unrolled: 1-line block ×3, first 2 shown]
	flat_store_dword v[26:27], v28
	s_waitcnt vmcnt(0)
	s_branch .LBB37_28
.LBB37_46:                              ;   in Loop: Header=BB37_30 Depth=1
	v_mov_b32_e32 v29, s27
	v_add_u32_e32 v32, 0x80, v28
	v_mov_b32_e32 v33, s27
	flat_load_dword v27, v[28:29] glc
	s_waitcnt vmcnt(0)
	flat_load_dword v34, v[32:33] glc
	s_waitcnt vmcnt(0) lgkmcnt(0)
	v_max_f32_e32 v27, v27, v27
	v_max_f32_e32 v32, v34, v34
	;; [unrolled: 1-line block ×3, first 2 shown]
	flat_store_dword v[28:29], v27
	s_waitcnt vmcnt(0)
	s_or_b64 exec, exec, s[30:31]
	v_cmp_lt_i64_e32 vcc, v[16:17], v[30:31]
	s_and_saveexec_b64 s[30:31], vcc
	s_cbranch_execz .LBB37_36
.LBB37_47:                              ;   in Loop: Header=BB37_30 Depth=1
	v_mov_b32_e32 v29, s27
	v_add_u32_e32 v32, 64, v28
	v_mov_b32_e32 v33, s27
	flat_load_dword v27, v[28:29] glc
	s_waitcnt vmcnt(0)
	flat_load_dword v34, v[32:33] glc
	s_waitcnt vmcnt(0) lgkmcnt(0)
	v_max_f32_e32 v27, v27, v27
	v_max_f32_e32 v32, v34, v34
	;; [unrolled: 1-line block ×3, first 2 shown]
	flat_store_dword v[28:29], v27
	s_waitcnt vmcnt(0)
	s_or_b64 exec, exec, s[30:31]
	v_cmp_lt_i64_e32 vcc, v[18:19], v[30:31]
	s_and_saveexec_b64 s[30:31], vcc
	s_cbranch_execnz .LBB37_37
	s_branch .LBB37_38
.LBB37_48:
	s_load_dwordx2 s[18:19], s[4:5], 0x40
	v_cmp_eq_u32_e32 vcc, 0, v4
	v_cmp_lt_i64_e64 s[2:3], v[6:7], v[8:9]
	s_and_b64 s[2:3], vcc, s[2:3]
	s_waitcnt lgkmcnt(0)
	s_barrier
	s_and_saveexec_b64 s[22:23], s[2:3]
	s_cbranch_execz .LBB37_55
; %bb.49:
	s_load_dwordx2 s[2:3], s[4:5], 0x20
	ds_read_b32 v1, v1
	s_waitcnt lgkmcnt(0)
	s_cmp_eq_u64 s[2:3], 0
	s_cbranch_scc1 .LBB37_51
; %bb.50:
	s_load_dword s2, s[2:3], 0x0
	v_max_f32_e32 v1, v1, v1
	s_waitcnt lgkmcnt(0)
	v_max_f32_e64 v4, s2, s2
	v_min_f32_e32 v1, v1, v4
.LBB37_51:
	s_add_u32 s3, s18, s46
	s_addc_u32 s4, s19, 0
	s_add_u32 s24, s3, -1
	s_addc_u32 s25, s4, -1
	s_or_b64 s[4:5], s[24:25], s[18:19]
	s_mov_b32 s2, 0
	s_mov_b32 s3, s5
	s_cmp_lg_u64 s[2:3], 0
	s_mov_b64 s[26:27], -1
	s_cbranch_scc0 .LBB37_196
; %bb.52:
	s_ashr_i32 s2, s19, 31
	s_add_u32 s4, s18, s2
	s_mov_b32 s3, s2
	s_addc_u32 s5, s19, s2
	s_xor_b64 s[28:29], s[4:5], s[2:3]
	v_cvt_f32_u32_e32 v4, s28
	v_cvt_f32_u32_e32 v5, s29
	s_sub_u32 s2, 0, s28
	s_subb_u32 s3, 0, s29
	v_madmk_f32 v4, v5, 0x4f800000, v4
	v_rcp_f32_e32 v4, v4
	v_mul_f32_e32 v4, 0x5f7ffffc, v4
	v_mul_f32_e32 v5, 0x2f800000, v4
	v_trunc_f32_e32 v5, v5
	v_madmk_f32 v4, v5, 0xcf800000, v4
	v_cvt_u32_f32_e32 v5, v5
	v_cvt_u32_f32_e32 v4, v4
	v_readfirstlane_b32 s4, v5
	v_readfirstlane_b32 s5, v4
	s_mul_i32 s13, s2, s4
	s_mul_hi_u32 s20, s2, s5
	s_mul_i32 s16, s3, s5
	s_add_i32 s13, s20, s13
	s_add_i32 s13, s13, s16
	s_mul_i32 s30, s2, s5
	s_mul_hi_u32 s16, s5, s13
	s_mul_i32 s20, s5, s13
	s_mul_hi_u32 s5, s5, s30
	s_add_u32 s5, s5, s20
	s_addc_u32 s16, 0, s16
	s_mul_hi_u32 s31, s4, s30
	s_mul_i32 s30, s4, s30
	s_add_u32 s5, s5, s30
	s_mul_hi_u32 s20, s4, s13
	s_addc_u32 s5, s16, s31
	s_addc_u32 s16, s20, 0
	s_mul_i32 s13, s4, s13
	s_add_u32 s5, s5, s13
	s_addc_u32 s13, 0, s16
	v_add_co_u32_e32 v4, vcc, s5, v4
	s_cmp_lg_u64 vcc, 0
	s_addc_u32 s4, s4, s13
	v_readfirstlane_b32 s13, v4
	s_mul_i32 s5, s2, s4
	s_mul_hi_u32 s16, s2, s13
	s_add_i32 s5, s16, s5
	s_mul_i32 s3, s3, s13
	s_add_i32 s5, s5, s3
	s_mul_i32 s2, s2, s13
	s_mul_hi_u32 s16, s4, s2
	s_mul_i32 s20, s4, s2
	s_mul_i32 s31, s13, s5
	s_mul_hi_u32 s2, s13, s2
	s_mul_hi_u32 s30, s13, s5
	s_add_u32 s2, s2, s31
	s_addc_u32 s13, 0, s30
	s_add_u32 s2, s2, s20
	s_mul_hi_u32 s3, s4, s5
	s_addc_u32 s2, s13, s16
	s_addc_u32 s3, s3, 0
	s_mul_i32 s5, s4, s5
	s_add_u32 s2, s2, s5
	s_addc_u32 s3, 0, s3
	v_add_co_u32_e32 v4, vcc, s2, v4
	s_cmp_lg_u64 vcc, 0
	s_addc_u32 s4, s4, s3
	s_ashr_i32 s30, s25, 31
	s_add_u32 s2, s24, s30
	s_mov_b32 s31, s30
	s_addc_u32 s3, s25, s30
	s_xor_b64 s[34:35], s[2:3], s[30:31]
	v_readfirstlane_b32 s5, v4
	s_mul_i32 s3, s34, s4
	s_mul_hi_u32 s13, s34, s5
	s_mul_hi_u32 s2, s34, s4
	s_add_u32 s3, s13, s3
	s_addc_u32 s2, 0, s2
	s_mul_hi_u32 s16, s35, s5
	s_mul_i32 s5, s35, s5
	s_add_u32 s3, s3, s5
	s_mul_hi_u32 s13, s35, s4
	s_addc_u32 s2, s2, s16
	s_addc_u32 s3, s13, 0
	s_mul_i32 s4, s35, s4
	s_add_u32 s2, s2, s4
	s_addc_u32 s3, 0, s3
	s_mul_i32 s3, s28, s3
	s_mul_hi_u32 s4, s28, s2
	s_add_i32 s3, s4, s3
	s_mul_i32 s4, s29, s2
	s_mul_i32 s2, s28, s2
	s_add_i32 s13, s3, s4
	v_mov_b32_e32 v4, s2
	s_sub_i32 s3, s35, s13
	v_sub_co_u32_e32 v4, vcc, s34, v4
	s_cmp_lg_u64 vcc, 0
	s_subb_u32 s16, s3, s29
	v_subrev_co_u32_e64 v5, s[2:3], s28, v4
	s_cmp_lg_u64 s[2:3], 0
	s_subb_u32 s20, s16, 0
	s_cmp_ge_u32 s20, s29
	s_cselect_b32 s31, -1, 0
	v_cmp_le_u32_e64 s[4:5], s28, v5
	s_cmp_eq_u32 s20, s29
	v_cndmask_b32_e64 v6, 0, -1, s[4:5]
	v_mov_b32_e32 v7, s31
	s_cselect_b64 s[4:5], -1, 0
	s_cmp_lg_u64 s[2:3], 0
	v_cndmask_b32_e64 v6, v7, v6, s[4:5]
	s_subb_u32 s4, s16, s29
	v_subrev_co_u32_e64 v7, s[2:3], s28, v5
	s_cmp_lg_u64 s[2:3], 0
	s_subb_u32 s4, s4, 0
	v_cmp_ne_u32_e64 s[2:3], 0, v6
	v_cndmask_b32_e64 v5, v5, v7, s[2:3]
	v_mov_b32_e32 v6, s20
	v_mov_b32_e32 v7, s4
	s_cmp_lg_u64 vcc, 0
	v_cndmask_b32_e64 v6, v6, v7, s[2:3]
	s_subb_u32 s2, s35, s13
	s_cmp_ge_u32 s2, s29
	s_cselect_b32 s3, -1, 0
	v_cmp_le_u32_e32 vcc, s28, v4
	s_cmp_eq_u32 s2, s29
	v_cndmask_b32_e64 v7, 0, -1, vcc
	v_mov_b32_e32 v8, s3
	s_cselect_b64 vcc, -1, 0
	v_cndmask_b32_e32 v7, v8, v7, vcc
	v_cmp_ne_u32_e32 vcc, 0, v7
	v_mov_b32_e32 v8, s2
	v_cndmask_b32_e32 v4, v4, v5, vcc
	v_cndmask_b32_e32 v6, v8, v6, vcc
	v_xor_b32_e32 v4, s30, v4
	v_xor_b32_e32 v5, s30, v6
	v_mov_b32_e32 v6, s30
	v_subrev_co_u32_e32 v4, vcc, s30, v4
	v_subb_co_u32_e32 v5, vcc, v5, v6, vcc
	s_cbranch_execnz .LBB37_54
.LBB37_53:
	v_cvt_f32_u32_e32 v4, s18
	s_sub_i32 s2, 0, s18
	v_rcp_iflag_f32_e32 v4, v4
	v_mul_f32_e32 v4, 0x4f7ffffe, v4
	v_cvt_u32_f32_e32 v4, v4
	v_mul_lo_u32 v5, s2, v4
	v_mul_hi_u32 v5, v4, v5
	v_add_u32_e32 v4, v4, v5
	v_mul_hi_u32 v4, s24, v4
	v_mul_lo_u32 v4, v4, s18
	v_sub_u32_e32 v4, s24, v4
	v_subrev_u32_e32 v5, s18, v4
	v_cmp_le_u32_e32 vcc, s18, v4
	v_cndmask_b32_e32 v4, v4, v5, vcc
	v_subrev_u32_e32 v5, s18, v4
	v_cmp_le_u32_e32 vcc, s18, v4
	v_cndmask_b32_e32 v4, v4, v5, vcc
	v_mov_b32_e32 v5, 0
.LBB37_54:
	s_mov_b32 s4, 0x43600000
	v_div_scale_f32 v6, s[2:3], s4, s4, v1
	v_rcp_f32_e32 v7, v6
	v_div_scale_f32 v8, vcc, v1, s4, v1
	v_fma_f32 v9, -v6, v7, 1.0
	v_fmac_f32_e32 v7, v9, v7
	v_mul_f32_e32 v9, v8, v7
	v_fma_f32 v10, -v6, v9, v8
	v_fmac_f32_e32 v9, v10, v7
	v_fma_f32 v6, -v6, v9, v8
	v_div_fmas_f32 v6, v6, v7, v9
	v_div_fixup_f32 v1, v6, s4, v1
	v_mov_b32_e32 v6, s25
	v_sub_co_u32_e32 v4, vcc, s24, v4
	v_subb_co_u32_e32 v5, vcc, v6, v5, vcc
	v_mul_lo_u32 v5, v5, v2
	v_mul_lo_u32 v6, v4, v3
	v_mad_u64_u32 v[2:3], s[2:3], v4, v2, 0
	s_lshl_b64 s[2:3], s[6:7], 2
	v_add3_u32 v3, v3, v6, v5
	s_add_u32 s2, s2, s10
	v_lshlrev_b64 v[2:3], 2, v[2:3]
	s_addc_u32 s3, s3, s11
	v_mov_b32_e32 v4, s3
	v_add_co_u32_e32 v2, vcc, s2, v2
	v_max_f32_e32 v1, 0x37124925, v1
	v_addc_co_u32_e32 v3, vcc, v4, v3, vcc
	global_store_dword v[2:3], v1, off
.LBB37_55:
	s_or_b64 exec, exec, s[22:23]
	s_barrier
	s_and_saveexec_b64 s[2:3], s[0:1]
	s_cbranch_execz .LBB37_195
; %bb.56:
	s_add_u32 s1, s18, s46
	s_addc_u32 s2, s19, 0
	s_add_u32 s4, s1, -1
	s_addc_u32 s5, s2, -1
	s_or_b64 s[2:3], s[4:5], s[18:19]
	s_mov_b32 s0, 0
	s_mov_b32 s1, s3
	s_cmp_lg_u64 s[0:1], 0
	s_mov_b64 s[22:23], -1
	s_cbranch_scc0 .LBB37_197
; %bb.57:
	s_ashr_i32 s0, s19, 31
	s_add_u32 s2, s18, s0
	s_mov_b32 s1, s0
	s_addc_u32 s3, s19, s0
	s_xor_b64 s[24:25], s[2:3], s[0:1]
	v_cvt_f32_u32_e32 v1, s24
	v_cvt_f32_u32_e32 v2, s25
	s_sub_u32 s0, 0, s24
	s_subb_u32 s1, 0, s25
	v_madmk_f32 v1, v2, 0x4f800000, v1
	v_rcp_f32_e32 v1, v1
	v_mul_f32_e32 v1, 0x5f7ffffc, v1
	v_mul_f32_e32 v2, 0x2f800000, v1
	v_trunc_f32_e32 v2, v2
	v_madmk_f32 v1, v2, 0xcf800000, v1
	v_cvt_u32_f32_e32 v2, v2
	v_cvt_u32_f32_e32 v1, v1
	v_readfirstlane_b32 s2, v2
	v_readfirstlane_b32 s3, v1
	s_mul_i32 s13, s0, s2
	s_mul_hi_u32 s19, s0, s3
	s_mul_i32 s16, s1, s3
	s_add_i32 s13, s19, s13
	s_add_i32 s13, s13, s16
	s_mul_i32 s20, s0, s3
	s_mul_hi_u32 s16, s3, s13
	s_mul_i32 s19, s3, s13
	s_mul_hi_u32 s3, s3, s20
	s_add_u32 s3, s3, s19
	s_addc_u32 s16, 0, s16
	s_mul_hi_u32 s26, s2, s20
	s_mul_i32 s20, s2, s20
	s_add_u32 s3, s3, s20
	s_mul_hi_u32 s19, s2, s13
	s_addc_u32 s3, s16, s26
	s_addc_u32 s16, s19, 0
	s_mul_i32 s13, s2, s13
	s_add_u32 s3, s3, s13
	s_addc_u32 s13, 0, s16
	v_add_co_u32_e32 v1, vcc, s3, v1
	s_cmp_lg_u64 vcc, 0
	s_addc_u32 s2, s2, s13
	v_readfirstlane_b32 s13, v1
	s_mul_i32 s3, s0, s2
	s_mul_hi_u32 s16, s0, s13
	s_add_i32 s3, s16, s3
	s_mul_i32 s1, s1, s13
	s_add_i32 s3, s3, s1
	s_mul_i32 s0, s0, s13
	s_mul_hi_u32 s16, s2, s0
	s_mul_i32 s19, s2, s0
	s_mul_i32 s26, s13, s3
	s_mul_hi_u32 s0, s13, s0
	s_mul_hi_u32 s20, s13, s3
	s_add_u32 s0, s0, s26
	s_addc_u32 s13, 0, s20
	s_add_u32 s0, s0, s19
	s_mul_hi_u32 s1, s2, s3
	s_addc_u32 s0, s13, s16
	s_addc_u32 s1, s1, 0
	s_mul_i32 s3, s2, s3
	s_add_u32 s0, s0, s3
	s_addc_u32 s1, 0, s1
	v_add_co_u32_e32 v1, vcc, s0, v1
	s_cmp_lg_u64 vcc, 0
	s_addc_u32 s2, s2, s1
	s_ashr_i32 s26, s5, 31
	s_add_u32 s0, s4, s26
	s_mov_b32 s27, s26
	s_addc_u32 s1, s5, s26
	s_xor_b64 s[28:29], s[0:1], s[26:27]
	v_readfirstlane_b32 s3, v1
	s_mul_i32 s1, s28, s2
	s_mul_hi_u32 s13, s28, s3
	s_mul_hi_u32 s0, s28, s2
	s_add_u32 s1, s13, s1
	s_addc_u32 s0, 0, s0
	s_mul_hi_u32 s16, s29, s3
	s_mul_i32 s3, s29, s3
	s_add_u32 s1, s1, s3
	s_mul_hi_u32 s13, s29, s2
	s_addc_u32 s0, s0, s16
	s_addc_u32 s1, s13, 0
	s_mul_i32 s2, s29, s2
	s_add_u32 s0, s0, s2
	s_addc_u32 s1, 0, s1
	s_mul_i32 s1, s24, s1
	s_mul_hi_u32 s2, s24, s0
	s_add_i32 s1, s2, s1
	s_mul_i32 s2, s25, s0
	s_mul_i32 s0, s24, s0
	s_add_i32 s13, s1, s2
	v_mov_b32_e32 v1, s0
	s_sub_i32 s1, s29, s13
	v_sub_co_u32_e32 v1, vcc, s28, v1
	s_cmp_lg_u64 vcc, 0
	s_subb_u32 s16, s1, s25
	v_subrev_co_u32_e64 v2, s[0:1], s24, v1
	s_cmp_lg_u64 s[0:1], 0
	s_subb_u32 s19, s16, 0
	s_cmp_ge_u32 s19, s25
	s_cselect_b32 s20, -1, 0
	v_cmp_le_u32_e64 s[2:3], s24, v2
	s_cmp_eq_u32 s19, s25
	v_cndmask_b32_e64 v3, 0, -1, s[2:3]
	v_mov_b32_e32 v4, s20
	s_cselect_b64 s[2:3], -1, 0
	s_cmp_lg_u64 s[0:1], 0
	v_cndmask_b32_e64 v3, v4, v3, s[2:3]
	s_subb_u32 s2, s16, s25
	v_subrev_co_u32_e64 v4, s[0:1], s24, v2
	s_cmp_lg_u64 s[0:1], 0
	s_subb_u32 s2, s2, 0
	v_cmp_ne_u32_e64 s[0:1], 0, v3
	v_cndmask_b32_e64 v2, v2, v4, s[0:1]
	v_mov_b32_e32 v3, s19
	v_mov_b32_e32 v4, s2
	s_cmp_lg_u64 vcc, 0
	v_cndmask_b32_e64 v3, v3, v4, s[0:1]
	s_subb_u32 s0, s29, s13
	s_cmp_ge_u32 s0, s25
	s_cselect_b32 s1, -1, 0
	v_cmp_le_u32_e32 vcc, s24, v1
	s_cmp_eq_u32 s0, s25
	v_cndmask_b32_e64 v4, 0, -1, vcc
	v_mov_b32_e32 v5, s1
	s_cselect_b64 vcc, -1, 0
	v_cndmask_b32_e32 v4, v5, v4, vcc
	v_cmp_ne_u32_e32 vcc, 0, v4
	v_mov_b32_e32 v5, s0
	v_cndmask_b32_e32 v1, v1, v2, vcc
	v_cndmask_b32_e32 v3, v5, v3, vcc
	v_xor_b32_e32 v1, s26, v1
	v_xor_b32_e32 v3, s26, v3
	v_mov_b32_e32 v4, s26
	v_subrev_co_u32_e32 v2, vcc, s26, v1
	v_subb_co_u32_e32 v3, vcc, v3, v4, vcc
	s_cbranch_execnz .LBB37_59
.LBB37_58:
	v_cvt_f32_u32_e32 v1, s18
	s_sub_i32 s0, 0, s18
	v_mov_b32_e32 v3, 0
	v_rcp_iflag_f32_e32 v1, v1
	v_mul_f32_e32 v1, 0x4f7ffffe, v1
	v_cvt_u32_f32_e32 v1, v1
	v_mul_lo_u32 v2, s0, v1
	v_mul_hi_u32 v2, v1, v2
	v_add_u32_e32 v1, v1, v2
	v_mul_hi_u32 v1, s4, v1
	v_mul_lo_u32 v1, v1, s18
	v_sub_u32_e32 v1, s4, v1
	v_subrev_u32_e32 v2, s18, v1
	v_cmp_le_u32_e32 vcc, s18, v1
	v_cndmask_b32_e32 v1, v1, v2, vcc
	v_subrev_u32_e32 v2, s18, v1
	v_cmp_le_u32_e32 vcc, s18, v1
	v_cndmask_b32_e32 v2, v1, v2, vcc
.LBB37_59:
	s_mul_i32 s0, s21, s6
	s_mul_hi_u32 s1, s17, s6
	s_add_i32 s1, s1, s0
	s_mul_i32 s0, s17, s6
	s_add_u32 s13, s8, s0
	s_addc_u32 s18, s9, s1
	s_lshl_b64 s[0:1], s[6:7], 2
	s_add_u32 s19, s10, s0
	s_addc_u32 s20, s11, s1
	v_mov_b32_e32 v1, s5
	v_sub_co_u32_e32 v14, vcc, s4, v2
	v_subb_co_u32_e32 v15, vcc, v1, v3, vcc
	s_mul_i32 s21, s45, 3
	s_lshl_b32 s22, s45, 1
	s_mov_b64 s[0:1], 0
	v_mov_b32_e32 v1, 0
	v_mov_b32_e32 v16, s44
	;; [unrolled: 1-line block ×4, first 2 shown]
	s_mov_b32 s23, 0x43800000
	s_mov_b32 s24, 0x3bffffff
	;; [unrolled: 1-line block ×4, first 2 shown]
	s_movk_i32 s27, 0x80
	s_mov_b32 s28, 0x4020c0c
	s_branch .LBB37_65
.LBB37_60:                              ;   in Loop: Header=BB37_65 Depth=1
	s_or_b64 exec, exec, s[16:17]
.LBB37_61:                              ;   in Loop: Header=BB37_65 Depth=1
	s_or_b64 exec, exec, s[8:9]
	v_lshlrev_b64 v[8:9], 2, v[0:1]
	v_mov_b32_e32 v0, s18
	v_add_co_u32_e32 v8, vcc, s13, v8
	v_addc_co_u32_e32 v9, vcc, v0, v9, vcc
	v_lshlrev_b32_e32 v0, 16, v4
	v_lshlrev_b32_e32 v2, 8, v2
	v_perm_b32 v0, v3, v0, s28
	v_and_b32_e32 v2, 0xff00, v2
	v_and_b32_e32 v3, 0xff, v6
	s_add_i32 s8, s45, s45
	v_or3_b32 v0, v0, v2, v3
	s_add_i32 s8, s8, s45
	global_store_dword v[8:9], v0, off
	v_add_u32_e32 v0, s8, v10
	v_cmp_le_u32_e32 vcc, s12, v0
	s_orn2_b64 s[8:9], vcc, exec
.LBB37_62:                              ;   in Loop: Header=BB37_65 Depth=1
	s_or_b64 exec, exec, s[6:7]
	s_orn2_b64 s[6:7], s[8:9], exec
.LBB37_63:                              ;   in Loop: Header=BB37_65 Depth=1
	s_or_b64 exec, exec, s[4:5]
	s_orn2_b64 s[4:5], s[6:7], exec
.LBB37_64:                              ;   in Loop: Header=BB37_65 Depth=1
	s_or_b64 exec, exec, s[2:3]
	s_and_b64 s[2:3], exec, s[4:5]
	s_or_b64 s[0:1], s[2:3], s[0:1]
	s_andn2_b64 exec, exec, s[0:1]
	s_cbranch_execz .LBB37_195
.LBB37_65:                              ; =>This Inner Loop Header: Depth=1
	v_bfe_u32 v13, v0, 4, 26
	v_lshlrev_b64 v[6:7], 4, v[0:1]
	v_mad_u64_u32 v[10:11], s[2:3], v14, v13, 0
	v_add_co_u32_e32 v2, vcc, s33, v6
	v_mov_b32_e32 v12, v11
	v_addc_co_u32_e32 v3, vcc, v16, v7, vcc
	v_mad_u64_u32 v[12:13], s[2:3], v15, v13, v[12:13]
	v_add_co_u32_e32 v6, vcc, s14, v6
	v_mov_b32_e32 v11, v12
	v_addc_co_u32_e32 v7, vcc, v17, v7, vcc
	v_lshlrev_b64 v[10:11], 2, v[10:11]
	global_load_dwordx4 v[2:5], v[2:3], off
	v_add_co_u32_e32 v10, vcc, s19, v10
	global_load_dwordx4 v[6:9], v[6:7], off
	v_addc_co_u32_e32 v11, vcc, v18, v11, vcc
	global_load_dword v10, v[10:11], off
	s_waitcnt vmcnt(2)
	v_mul_f32_e32 v2, v36, v2
	s_waitcnt vmcnt(1)
	v_mul_f32_e32 v6, v2, v6
	v_mov_b32_e32 v2, 0x80
	s_waitcnt vmcnt(0)
	v_div_scale_f32 v11, s[2:3], v10, v10, v6
	v_rcp_f32_e32 v12, v11
	v_div_scale_f32 v13, vcc, v6, v10, v6
	v_fma_f32 v19, -v11, v12, 1.0
	v_fmac_f32_e32 v12, v19, v12
	v_mul_f32_e32 v19, v13, v12
	v_fma_f32 v20, -v11, v19, v13
	v_fmac_f32_e32 v19, v20, v12
	v_fma_f32 v11, -v11, v19, v13
	v_div_fmas_f32 v11, v11, v12, v19
	v_div_fixup_f32 v6, v11, v10, v6
	v_min_f32_e32 v6, 0x43600000, v6
	v_max_f32_e32 v11, 0xc3600000, v6
	v_and_b32_e32 v12, 0x7fffffff, v11
	v_cmp_gt_u32_e32 vcc, s23, v12
	v_mov_b32_e32 v6, 0x80
	s_and_saveexec_b64 s[2:3], vcc
	s_cbranch_execz .LBB37_71
; %bb.66:                               ;   in Loop: Header=BB37_65 Depth=1
	v_cmp_lt_u32_e32 vcc, s24, v12
	s_mov_b64 s[4:5], 0
                                        ; implicit-def: $vgpr12
	s_and_saveexec_b64 s[6:7], vcc
	s_xor_b64 s[6:7], exec, s[6:7]
	s_cbranch_execnz .LBB37_162
; %bb.67:                               ;   in Loop: Header=BB37_65 Depth=1
	s_or_saveexec_b64 s[6:7], s[6:7]
                                        ; implicit-def: $sgpr8
	s_xor_b64 exec, exec, s[6:7]
	s_cbranch_execnz .LBB37_163
.LBB37_68:                              ;   in Loop: Header=BB37_65 Depth=1
	s_or_b64 exec, exec, s[6:7]
	v_mov_b32_e32 v6, s8
	s_and_saveexec_b64 s[6:7], s[4:5]
.LBB37_69:                              ;   in Loop: Header=BB37_65 Depth=1
	v_lshrrev_b32_e32 v6, 24, v11
	v_and_or_b32 v6, v6, s27, v12
.LBB37_70:                              ;   in Loop: Header=BB37_65 Depth=1
	s_or_b64 exec, exec, s[6:7]
.LBB37_71:                              ;   in Loop: Header=BB37_65 Depth=1
	s_or_b64 exec, exec, s[2:3]
	v_mul_f32_e32 v3, v36, v3
	v_mul_f32_e32 v3, v3, v7
	v_div_scale_f32 v7, s[2:3], v10, v10, v3
	v_rcp_f32_e32 v11, v7
	v_div_scale_f32 v12, vcc, v3, v10, v3
	v_fma_f32 v13, -v7, v11, 1.0
	v_fmac_f32_e32 v11, v13, v11
	v_mul_f32_e32 v13, v12, v11
	v_fma_f32 v19, -v7, v13, v12
	v_fmac_f32_e32 v13, v19, v11
	v_fma_f32 v7, -v7, v13, v12
	v_div_fmas_f32 v7, v7, v11, v13
	v_div_fixup_f32 v3, v7, v10, v3
	v_min_f32_e32 v3, 0x43600000, v3
	v_max_f32_e32 v3, 0xc3600000, v3
	v_and_b32_e32 v7, 0x7fffffff, v3
	v_cmp_gt_u32_e32 vcc, s23, v7
	s_and_saveexec_b64 s[2:3], vcc
	s_cbranch_execz .LBB37_77
; %bb.72:                               ;   in Loop: Header=BB37_65 Depth=1
	v_cmp_lt_u32_e32 vcc, s24, v7
	s_mov_b64 s[4:5], 0
                                        ; implicit-def: $vgpr7
	s_and_saveexec_b64 s[6:7], vcc
	s_xor_b64 s[6:7], exec, s[6:7]
	s_cbranch_execnz .LBB37_164
; %bb.73:                               ;   in Loop: Header=BB37_65 Depth=1
	s_or_saveexec_b64 s[6:7], s[6:7]
                                        ; implicit-def: $sgpr8
	s_xor_b64 exec, exec, s[6:7]
	s_cbranch_execnz .LBB37_165
.LBB37_74:                              ;   in Loop: Header=BB37_65 Depth=1
	s_or_b64 exec, exec, s[6:7]
	v_mov_b32_e32 v2, s8
	s_and_saveexec_b64 s[6:7], s[4:5]
.LBB37_75:                              ;   in Loop: Header=BB37_65 Depth=1
	v_lshrrev_b32_e32 v2, 24, v3
	v_and_or_b32 v2, v2, s27, v7
.LBB37_76:                              ;   in Loop: Header=BB37_65 Depth=1
	s_or_b64 exec, exec, s[6:7]
.LBB37_77:                              ;   in Loop: Header=BB37_65 Depth=1
	s_or_b64 exec, exec, s[2:3]
	v_mul_f32_e32 v3, v36, v4
	v_mul_f32_e32 v3, v3, v8
	v_div_scale_f32 v4, s[2:3], v10, v10, v3
	v_rcp_f32_e32 v7, v4
	v_div_scale_f32 v8, vcc, v3, v10, v3
	v_fma_f32 v11, -v4, v7, 1.0
	v_fmac_f32_e32 v7, v11, v7
	v_mul_f32_e32 v11, v8, v7
	v_fma_f32 v12, -v4, v11, v8
	v_fmac_f32_e32 v11, v12, v7
	v_fma_f32 v4, -v4, v11, v8
	v_div_fmas_f32 v4, v4, v7, v11
	v_div_fixup_f32 v3, v4, v10, v3
	v_min_f32_e32 v3, 0x43600000, v3
	v_max_f32_e32 v7, 0xc3600000, v3
	v_and_b32_e32 v8, 0x7fffffff, v7
	v_cmp_gt_u32_e32 vcc, s23, v8
	v_mov_b32_e32 v3, 0x80
	v_mov_b32_e32 v4, 0x80
	s_and_saveexec_b64 s[2:3], vcc
	s_cbranch_execz .LBB37_83
; %bb.78:                               ;   in Loop: Header=BB37_65 Depth=1
	v_cmp_lt_u32_e32 vcc, s24, v8
	s_mov_b64 s[4:5], 0
                                        ; implicit-def: $vgpr8
	s_and_saveexec_b64 s[6:7], vcc
	s_xor_b64 s[6:7], exec, s[6:7]
	s_cbranch_execnz .LBB37_166
; %bb.79:                               ;   in Loop: Header=BB37_65 Depth=1
	s_or_saveexec_b64 s[6:7], s[6:7]
                                        ; implicit-def: $sgpr8
	s_xor_b64 exec, exec, s[6:7]
	s_cbranch_execnz .LBB37_167
.LBB37_80:                              ;   in Loop: Header=BB37_65 Depth=1
	s_or_b64 exec, exec, s[6:7]
	v_mov_b32_e32 v4, s8
	s_and_saveexec_b64 s[6:7], s[4:5]
.LBB37_81:                              ;   in Loop: Header=BB37_65 Depth=1
	v_lshrrev_b32_e32 v4, 24, v7
	v_and_or_b32 v4, v4, s27, v8
.LBB37_82:                              ;   in Loop: Header=BB37_65 Depth=1
	s_or_b64 exec, exec, s[6:7]
.LBB37_83:                              ;   in Loop: Header=BB37_65 Depth=1
	s_or_b64 exec, exec, s[2:3]
	v_mul_f32_e32 v5, v36, v5
	v_mul_f32_e32 v5, v5, v9
	v_div_scale_f32 v7, s[2:3], v10, v10, v5
	v_rcp_f32_e32 v8, v7
	v_div_scale_f32 v9, vcc, v5, v10, v5
	v_fma_f32 v11, -v7, v8, 1.0
	v_fmac_f32_e32 v8, v11, v8
	v_mul_f32_e32 v11, v9, v8
	v_fma_f32 v12, -v7, v11, v9
	v_fmac_f32_e32 v11, v12, v8
	v_fma_f32 v7, -v7, v11, v9
	v_div_fmas_f32 v7, v7, v8, v11
	v_div_fixup_f32 v5, v7, v10, v5
	v_min_f32_e32 v5, 0x43600000, v5
	v_max_f32_e32 v5, 0xc3600000, v5
	v_and_b32_e32 v7, 0x7fffffff, v5
	v_cmp_gt_u32_e32 vcc, s23, v7
	s_and_saveexec_b64 s[2:3], vcc
	s_cbranch_execz .LBB37_89
; %bb.84:                               ;   in Loop: Header=BB37_65 Depth=1
	v_cmp_lt_u32_e32 vcc, s24, v7
	s_mov_b64 s[4:5], 0
                                        ; implicit-def: $vgpr7
	s_and_saveexec_b64 s[6:7], vcc
	s_xor_b64 s[6:7], exec, s[6:7]
	s_cbranch_execnz .LBB37_168
; %bb.85:                               ;   in Loop: Header=BB37_65 Depth=1
	s_or_saveexec_b64 s[6:7], s[6:7]
                                        ; implicit-def: $sgpr8
	s_xor_b64 exec, exec, s[6:7]
	s_cbranch_execnz .LBB37_169
.LBB37_86:                              ;   in Loop: Header=BB37_65 Depth=1
	s_or_b64 exec, exec, s[6:7]
	v_mov_b32_e32 v3, s8
	s_and_saveexec_b64 s[6:7], s[4:5]
.LBB37_87:                              ;   in Loop: Header=BB37_65 Depth=1
	v_lshrrev_b32_e32 v3, 24, v5
	v_and_or_b32 v3, v3, s27, v7
.LBB37_88:                              ;   in Loop: Header=BB37_65 Depth=1
	s_or_b64 exec, exec, s[6:7]
.LBB37_89:                              ;   in Loop: Header=BB37_65 Depth=1
	s_or_b64 exec, exec, s[2:3]
	v_lshlrev_b64 v[8:9], 2, v[0:1]
	v_mov_b32_e32 v5, s18
	v_add_co_u32_e32 v8, vcc, s13, v8
	v_lshlrev_b32_e32 v4, 16, v4
	v_lshlrev_b32_e32 v2, 8, v2
	v_addc_co_u32_e32 v9, vcc, v5, v9, vcc
	v_perm_b32 v3, v3, v4, s28
	v_and_b32_e32 v2, 0xff00, v2
	v_and_b32_e32 v4, 0xff, v6
	v_add_u32_e32 v10, s45, v0
	v_or3_b32 v2, v3, v2, v4
	v_cmp_gt_u32_e32 vcc, s12, v10
	s_mov_b64 s[4:5], -1
	global_store_dword v[8:9], v2, off
	s_and_saveexec_b64 s[2:3], vcc
	s_cbranch_execz .LBB37_64
; %bb.90:                               ;   in Loop: Header=BB37_65 Depth=1
	v_mov_b32_e32 v11, v1
	v_bfe_u32 v19, v10, 4, 26
	v_lshlrev_b64 v[6:7], 4, v[10:11]
	v_mad_u64_u32 v[12:13], s[4:5], v14, v19, 0
	v_mov_b32_e32 v3, s44
	v_add_co_u32_e32 v2, vcc, s33, v6
	v_mov_b32_e32 v20, v13
	v_addc_co_u32_e32 v3, vcc, v3, v7, vcc
	v_mad_u64_u32 v[20:21], s[4:5], v15, v19, v[20:21]
	v_mov_b32_e32 v8, s15
	v_add_co_u32_e32 v6, vcc, s14, v6
	v_mov_b32_e32 v13, v20
	v_addc_co_u32_e32 v7, vcc, v8, v7, vcc
	v_lshlrev_b64 v[12:13], 2, v[12:13]
	global_load_dwordx4 v[2:5], v[2:3], off
	v_mov_b32_e32 v19, s20
	v_add_co_u32_e32 v12, vcc, s19, v12
	global_load_dwordx4 v[6:9], v[6:7], off
	v_addc_co_u32_e32 v13, vcc, v19, v13, vcc
	global_load_dword v12, v[12:13], off
	s_waitcnt vmcnt(2)
	v_mul_f32_e32 v2, v36, v2
	s_waitcnt vmcnt(1)
	v_mul_f32_e32 v6, v2, v6
	v_mov_b32_e32 v2, 0x80
	s_waitcnt vmcnt(0)
	v_div_scale_f32 v13, s[4:5], v12, v12, v6
	v_rcp_f32_e32 v19, v13
	v_div_scale_f32 v20, vcc, v6, v12, v6
	v_fma_f32 v21, -v13, v19, 1.0
	v_fmac_f32_e32 v19, v21, v19
	v_mul_f32_e32 v21, v20, v19
	v_fma_f32 v22, -v13, v21, v20
	v_fmac_f32_e32 v21, v22, v19
	v_fma_f32 v13, -v13, v21, v20
	v_div_fmas_f32 v13, v13, v19, v21
	v_div_fixup_f32 v6, v13, v12, v6
	v_min_f32_e32 v6, 0x43600000, v6
	v_max_f32_e32 v13, 0xc3600000, v6
	v_and_b32_e32 v19, 0x7fffffff, v13
	v_cmp_gt_u32_e32 vcc, s23, v19
	v_mov_b32_e32 v6, 0x80
	s_and_saveexec_b64 s[4:5], vcc
	s_cbranch_execz .LBB37_96
; %bb.91:                               ;   in Loop: Header=BB37_65 Depth=1
	v_cmp_lt_u32_e32 vcc, s24, v19
	s_mov_b64 s[6:7], 0
                                        ; implicit-def: $vgpr19
	s_and_saveexec_b64 s[8:9], vcc
	s_xor_b64 s[8:9], exec, s[8:9]
	s_cbranch_execnz .LBB37_170
; %bb.92:                               ;   in Loop: Header=BB37_65 Depth=1
	s_or_saveexec_b64 s[8:9], s[8:9]
                                        ; implicit-def: $sgpr10
	s_xor_b64 exec, exec, s[8:9]
	s_cbranch_execnz .LBB37_171
.LBB37_93:                              ;   in Loop: Header=BB37_65 Depth=1
	s_or_b64 exec, exec, s[8:9]
	v_mov_b32_e32 v6, s10
	s_and_saveexec_b64 s[8:9], s[6:7]
.LBB37_94:                              ;   in Loop: Header=BB37_65 Depth=1
	v_lshrrev_b32_e32 v6, 24, v13
	v_and_or_b32 v6, v6, s27, v19
.LBB37_95:                              ;   in Loop: Header=BB37_65 Depth=1
	s_or_b64 exec, exec, s[8:9]
.LBB37_96:                              ;   in Loop: Header=BB37_65 Depth=1
	s_or_b64 exec, exec, s[4:5]
	v_mul_f32_e32 v3, v36, v3
	v_mul_f32_e32 v3, v3, v7
	v_div_scale_f32 v7, s[4:5], v12, v12, v3
	v_rcp_f32_e32 v13, v7
	v_div_scale_f32 v19, vcc, v3, v12, v3
	v_fma_f32 v20, -v7, v13, 1.0
	v_fmac_f32_e32 v13, v20, v13
	v_mul_f32_e32 v20, v19, v13
	v_fma_f32 v21, -v7, v20, v19
	v_fmac_f32_e32 v20, v21, v13
	v_fma_f32 v7, -v7, v20, v19
	v_div_fmas_f32 v7, v7, v13, v20
	v_div_fixup_f32 v3, v7, v12, v3
	v_min_f32_e32 v3, 0x43600000, v3
	v_max_f32_e32 v3, 0xc3600000, v3
	v_and_b32_e32 v7, 0x7fffffff, v3
	v_cmp_gt_u32_e32 vcc, s23, v7
	s_and_saveexec_b64 s[4:5], vcc
	s_cbranch_execz .LBB37_102
; %bb.97:                               ;   in Loop: Header=BB37_65 Depth=1
	v_cmp_lt_u32_e32 vcc, s24, v7
	s_mov_b64 s[6:7], 0
                                        ; implicit-def: $vgpr7
	s_and_saveexec_b64 s[8:9], vcc
	s_xor_b64 s[8:9], exec, s[8:9]
	s_cbranch_execnz .LBB37_172
; %bb.98:                               ;   in Loop: Header=BB37_65 Depth=1
	s_or_saveexec_b64 s[8:9], s[8:9]
                                        ; implicit-def: $sgpr10
	s_xor_b64 exec, exec, s[8:9]
	s_cbranch_execnz .LBB37_173
.LBB37_99:                              ;   in Loop: Header=BB37_65 Depth=1
	s_or_b64 exec, exec, s[8:9]
	v_mov_b32_e32 v2, s10
	s_and_saveexec_b64 s[8:9], s[6:7]
.LBB37_100:                             ;   in Loop: Header=BB37_65 Depth=1
	v_lshrrev_b32_e32 v2, 24, v3
	v_and_or_b32 v2, v2, s27, v7
.LBB37_101:                             ;   in Loop: Header=BB37_65 Depth=1
	s_or_b64 exec, exec, s[8:9]
.LBB37_102:                             ;   in Loop: Header=BB37_65 Depth=1
	s_or_b64 exec, exec, s[4:5]
	v_mul_f32_e32 v3, v36, v4
	v_mul_f32_e32 v3, v3, v8
	v_div_scale_f32 v4, s[4:5], v12, v12, v3
	v_rcp_f32_e32 v7, v4
	v_div_scale_f32 v8, vcc, v3, v12, v3
	v_fma_f32 v13, -v4, v7, 1.0
	v_fmac_f32_e32 v7, v13, v7
	v_mul_f32_e32 v13, v8, v7
	v_fma_f32 v19, -v4, v13, v8
	v_fmac_f32_e32 v13, v19, v7
	v_fma_f32 v4, -v4, v13, v8
	v_div_fmas_f32 v4, v4, v7, v13
	v_div_fixup_f32 v3, v4, v12, v3
	v_min_f32_e32 v3, 0x43600000, v3
	v_max_f32_e32 v7, 0xc3600000, v3
	v_and_b32_e32 v8, 0x7fffffff, v7
	v_cmp_gt_u32_e32 vcc, s23, v8
	v_mov_b32_e32 v3, 0x80
	v_mov_b32_e32 v4, 0x80
	s_and_saveexec_b64 s[4:5], vcc
	s_cbranch_execz .LBB37_108
; %bb.103:                              ;   in Loop: Header=BB37_65 Depth=1
	v_cmp_lt_u32_e32 vcc, s24, v8
	s_mov_b64 s[6:7], 0
                                        ; implicit-def: $vgpr8
	s_and_saveexec_b64 s[8:9], vcc
	s_xor_b64 s[8:9], exec, s[8:9]
	s_cbranch_execnz .LBB37_174
; %bb.104:                              ;   in Loop: Header=BB37_65 Depth=1
	s_or_saveexec_b64 s[8:9], s[8:9]
                                        ; implicit-def: $sgpr10
	s_xor_b64 exec, exec, s[8:9]
	s_cbranch_execnz .LBB37_175
.LBB37_105:                             ;   in Loop: Header=BB37_65 Depth=1
	s_or_b64 exec, exec, s[8:9]
	v_mov_b32_e32 v4, s10
	s_and_saveexec_b64 s[8:9], s[6:7]
.LBB37_106:                             ;   in Loop: Header=BB37_65 Depth=1
	v_lshrrev_b32_e32 v4, 24, v7
	v_and_or_b32 v4, v4, s27, v8
.LBB37_107:                             ;   in Loop: Header=BB37_65 Depth=1
	s_or_b64 exec, exec, s[8:9]
.LBB37_108:                             ;   in Loop: Header=BB37_65 Depth=1
	s_or_b64 exec, exec, s[4:5]
	v_mul_f32_e32 v5, v36, v5
	v_mul_f32_e32 v5, v5, v9
	v_div_scale_f32 v7, s[4:5], v12, v12, v5
	v_rcp_f32_e32 v8, v7
	v_div_scale_f32 v9, vcc, v5, v12, v5
	v_fma_f32 v13, -v7, v8, 1.0
	v_fmac_f32_e32 v8, v13, v8
	v_mul_f32_e32 v13, v9, v8
	v_fma_f32 v19, -v7, v13, v9
	v_fmac_f32_e32 v13, v19, v8
	v_fma_f32 v7, -v7, v13, v9
	v_div_fmas_f32 v7, v7, v8, v13
	v_div_fixup_f32 v5, v7, v12, v5
	v_min_f32_e32 v5, 0x43600000, v5
	v_max_f32_e32 v5, 0xc3600000, v5
	v_and_b32_e32 v7, 0x7fffffff, v5
	v_cmp_gt_u32_e32 vcc, s23, v7
	s_and_saveexec_b64 s[4:5], vcc
	s_cbranch_execz .LBB37_114
; %bb.109:                              ;   in Loop: Header=BB37_65 Depth=1
	v_cmp_lt_u32_e32 vcc, s24, v7
	s_mov_b64 s[6:7], 0
                                        ; implicit-def: $vgpr7
	s_and_saveexec_b64 s[8:9], vcc
	s_xor_b64 s[8:9], exec, s[8:9]
	s_cbranch_execnz .LBB37_176
; %bb.110:                              ;   in Loop: Header=BB37_65 Depth=1
	s_or_saveexec_b64 s[8:9], s[8:9]
                                        ; implicit-def: $sgpr10
	s_xor_b64 exec, exec, s[8:9]
	s_cbranch_execnz .LBB37_177
.LBB37_111:                             ;   in Loop: Header=BB37_65 Depth=1
	s_or_b64 exec, exec, s[8:9]
	v_mov_b32_e32 v3, s10
	s_and_saveexec_b64 s[8:9], s[6:7]
.LBB37_112:                             ;   in Loop: Header=BB37_65 Depth=1
	v_lshrrev_b32_e32 v3, 24, v5
	v_and_or_b32 v3, v3, s27, v7
.LBB37_113:                             ;   in Loop: Header=BB37_65 Depth=1
	s_or_b64 exec, exec, s[8:9]
.LBB37_114:                             ;   in Loop: Header=BB37_65 Depth=1
	s_or_b64 exec, exec, s[4:5]
	v_lshlrev_b64 v[8:9], 2, v[10:11]
	v_mov_b32_e32 v5, s18
	v_add_co_u32_e32 v8, vcc, s13, v8
	v_lshlrev_b32_e32 v4, 16, v4
	v_lshlrev_b32_e32 v2, 8, v2
	v_addc_co_u32_e32 v9, vcc, v5, v9, vcc
	v_perm_b32 v3, v3, v4, s28
	v_and_b32_e32 v2, 0xff00, v2
	v_and_b32_e32 v4, 0xff, v6
	v_add_u32_e32 v12, s22, v0
	v_or3_b32 v2, v3, v2, v4
	v_cmp_gt_u32_e32 vcc, s12, v12
	s_mov_b64 s[6:7], -1
	global_store_dword v[8:9], v2, off
	s_and_saveexec_b64 s[4:5], vcc
	s_cbranch_execz .LBB37_63
; %bb.115:                              ;   in Loop: Header=BB37_65 Depth=1
	v_mov_b32_e32 v13, v1
	v_bfe_u32 v11, v12, 4, 26
	v_lshlrev_b64 v[6:7], 4, v[12:13]
	v_mad_u64_u32 v[20:21], s[6:7], v14, v11, 0
	v_mov_b32_e32 v3, s44
	v_add_co_u32_e32 v2, vcc, s33, v6
	v_mov_b32_e32 v22, v21
	v_addc_co_u32_e32 v3, vcc, v3, v7, vcc
	v_mad_u64_u32 v[22:23], s[6:7], v15, v11, v[22:23]
	v_mov_b32_e32 v8, s15
	v_add_co_u32_e32 v6, vcc, s14, v6
	v_mov_b32_e32 v21, v22
	v_addc_co_u32_e32 v7, vcc, v8, v7, vcc
	v_lshlrev_b64 v[20:21], 2, v[20:21]
	global_load_dwordx4 v[2:5], v[2:3], off
	v_mov_b32_e32 v11, s20
	v_add_co_u32_e32 v20, vcc, s19, v20
	global_load_dwordx4 v[6:9], v[6:7], off
	v_addc_co_u32_e32 v21, vcc, v11, v21, vcc
	global_load_dword v11, v[20:21], off
	s_waitcnt vmcnt(2)
	v_mul_f32_e32 v2, v36, v2
	s_waitcnt vmcnt(1)
	v_mul_f32_e32 v6, v2, v6
	v_mov_b32_e32 v2, 0x80
	s_waitcnt vmcnt(0)
	v_div_scale_f32 v19, s[6:7], v11, v11, v6
	v_rcp_f32_e32 v20, v19
	v_div_scale_f32 v21, vcc, v6, v11, v6
	v_fma_f32 v22, -v19, v20, 1.0
	v_fmac_f32_e32 v20, v22, v20
	v_mul_f32_e32 v22, v21, v20
	v_fma_f32 v23, -v19, v22, v21
	v_fmac_f32_e32 v22, v23, v20
	v_fma_f32 v19, -v19, v22, v21
	v_div_fmas_f32 v19, v19, v20, v22
	v_div_fixup_f32 v6, v19, v11, v6
	v_min_f32_e32 v6, 0x43600000, v6
	v_max_f32_e32 v19, 0xc3600000, v6
	v_and_b32_e32 v20, 0x7fffffff, v19
	v_cmp_gt_u32_e32 vcc, s23, v20
	v_mov_b32_e32 v6, 0x80
	s_and_saveexec_b64 s[6:7], vcc
	s_cbranch_execz .LBB37_121
; %bb.116:                              ;   in Loop: Header=BB37_65 Depth=1
	v_cmp_lt_u32_e32 vcc, s24, v20
	s_mov_b64 s[8:9], 0
                                        ; implicit-def: $vgpr20
	s_and_saveexec_b64 s[10:11], vcc
	s_xor_b64 s[10:11], exec, s[10:11]
	s_cbranch_execnz .LBB37_178
; %bb.117:                              ;   in Loop: Header=BB37_65 Depth=1
	s_or_saveexec_b64 s[10:11], s[10:11]
                                        ; implicit-def: $sgpr16
	s_xor_b64 exec, exec, s[10:11]
	s_cbranch_execnz .LBB37_179
.LBB37_118:                             ;   in Loop: Header=BB37_65 Depth=1
	s_or_b64 exec, exec, s[10:11]
	v_mov_b32_e32 v6, s16
	s_and_saveexec_b64 s[10:11], s[8:9]
.LBB37_119:                             ;   in Loop: Header=BB37_65 Depth=1
	v_lshrrev_b32_e32 v6, 24, v19
	v_and_or_b32 v6, v6, s27, v20
.LBB37_120:                             ;   in Loop: Header=BB37_65 Depth=1
	s_or_b64 exec, exec, s[10:11]
.LBB37_121:                             ;   in Loop: Header=BB37_65 Depth=1
	s_or_b64 exec, exec, s[6:7]
	v_mul_f32_e32 v3, v36, v3
	v_mul_f32_e32 v3, v3, v7
	v_div_scale_f32 v7, s[6:7], v11, v11, v3
	v_rcp_f32_e32 v19, v7
	v_div_scale_f32 v20, vcc, v3, v11, v3
	v_fma_f32 v21, -v7, v19, 1.0
	v_fmac_f32_e32 v19, v21, v19
	v_mul_f32_e32 v21, v20, v19
	v_fma_f32 v22, -v7, v21, v20
	v_fmac_f32_e32 v21, v22, v19
	v_fma_f32 v7, -v7, v21, v20
	v_div_fmas_f32 v7, v7, v19, v21
	v_div_fixup_f32 v3, v7, v11, v3
	v_min_f32_e32 v3, 0x43600000, v3
	v_max_f32_e32 v3, 0xc3600000, v3
	v_and_b32_e32 v7, 0x7fffffff, v3
	v_cmp_gt_u32_e32 vcc, s23, v7
	s_and_saveexec_b64 s[6:7], vcc
	s_cbranch_execz .LBB37_127
; %bb.122:                              ;   in Loop: Header=BB37_65 Depth=1
	v_cmp_lt_u32_e32 vcc, s24, v7
	s_mov_b64 s[8:9], 0
                                        ; implicit-def: $vgpr7
	s_and_saveexec_b64 s[10:11], vcc
	s_xor_b64 s[10:11], exec, s[10:11]
	s_cbranch_execnz .LBB37_180
; %bb.123:                              ;   in Loop: Header=BB37_65 Depth=1
	s_or_saveexec_b64 s[10:11], s[10:11]
                                        ; implicit-def: $sgpr16
	s_xor_b64 exec, exec, s[10:11]
	s_cbranch_execnz .LBB37_181
.LBB37_124:                             ;   in Loop: Header=BB37_65 Depth=1
	s_or_b64 exec, exec, s[10:11]
	v_mov_b32_e32 v2, s16
	s_and_saveexec_b64 s[10:11], s[8:9]
.LBB37_125:                             ;   in Loop: Header=BB37_65 Depth=1
	v_lshrrev_b32_e32 v2, 24, v3
	v_and_or_b32 v2, v2, s27, v7
.LBB37_126:                             ;   in Loop: Header=BB37_65 Depth=1
	s_or_b64 exec, exec, s[10:11]
.LBB37_127:                             ;   in Loop: Header=BB37_65 Depth=1
	s_or_b64 exec, exec, s[6:7]
	v_mul_f32_e32 v3, v36, v4
	v_mul_f32_e32 v3, v3, v8
	v_div_scale_f32 v4, s[6:7], v11, v11, v3
	v_rcp_f32_e32 v7, v4
	v_div_scale_f32 v8, vcc, v3, v11, v3
	v_fma_f32 v19, -v4, v7, 1.0
	v_fmac_f32_e32 v7, v19, v7
	v_mul_f32_e32 v19, v8, v7
	v_fma_f32 v20, -v4, v19, v8
	v_fmac_f32_e32 v19, v20, v7
	v_fma_f32 v4, -v4, v19, v8
	v_div_fmas_f32 v4, v4, v7, v19
	v_div_fixup_f32 v3, v4, v11, v3
	v_min_f32_e32 v3, 0x43600000, v3
	v_max_f32_e32 v7, 0xc3600000, v3
	v_and_b32_e32 v8, 0x7fffffff, v7
	v_cmp_gt_u32_e32 vcc, s23, v8
	v_mov_b32_e32 v3, 0x80
	v_mov_b32_e32 v4, 0x80
	s_and_saveexec_b64 s[6:7], vcc
	s_cbranch_execz .LBB37_133
; %bb.128:                              ;   in Loop: Header=BB37_65 Depth=1
	v_cmp_lt_u32_e32 vcc, s24, v8
	s_mov_b64 s[8:9], 0
                                        ; implicit-def: $vgpr8
	s_and_saveexec_b64 s[10:11], vcc
	s_xor_b64 s[10:11], exec, s[10:11]
	s_cbranch_execnz .LBB37_182
; %bb.129:                              ;   in Loop: Header=BB37_65 Depth=1
	s_or_saveexec_b64 s[10:11], s[10:11]
                                        ; implicit-def: $sgpr16
	s_xor_b64 exec, exec, s[10:11]
	s_cbranch_execnz .LBB37_183
.LBB37_130:                             ;   in Loop: Header=BB37_65 Depth=1
	s_or_b64 exec, exec, s[10:11]
	v_mov_b32_e32 v4, s16
	s_and_saveexec_b64 s[10:11], s[8:9]
.LBB37_131:                             ;   in Loop: Header=BB37_65 Depth=1
	v_lshrrev_b32_e32 v4, 24, v7
	v_and_or_b32 v4, v4, s27, v8
.LBB37_132:                             ;   in Loop: Header=BB37_65 Depth=1
	s_or_b64 exec, exec, s[10:11]
.LBB37_133:                             ;   in Loop: Header=BB37_65 Depth=1
	s_or_b64 exec, exec, s[6:7]
	v_mul_f32_e32 v5, v36, v5
	v_mul_f32_e32 v5, v5, v9
	v_div_scale_f32 v7, s[6:7], v11, v11, v5
	v_rcp_f32_e32 v8, v7
	v_div_scale_f32 v9, vcc, v5, v11, v5
	v_fma_f32 v19, -v7, v8, 1.0
	v_fmac_f32_e32 v8, v19, v8
	v_mul_f32_e32 v19, v9, v8
	v_fma_f32 v20, -v7, v19, v9
	v_fmac_f32_e32 v19, v20, v8
	v_fma_f32 v7, -v7, v19, v9
	v_div_fmas_f32 v7, v7, v8, v19
	v_div_fixup_f32 v5, v7, v11, v5
	v_min_f32_e32 v5, 0x43600000, v5
	v_max_f32_e32 v5, 0xc3600000, v5
	v_and_b32_e32 v7, 0x7fffffff, v5
	v_cmp_gt_u32_e32 vcc, s23, v7
	s_and_saveexec_b64 s[6:7], vcc
	s_cbranch_execz .LBB37_139
; %bb.134:                              ;   in Loop: Header=BB37_65 Depth=1
	v_cmp_lt_u32_e32 vcc, s24, v7
	s_mov_b64 s[8:9], 0
                                        ; implicit-def: $vgpr7
	s_and_saveexec_b64 s[10:11], vcc
	s_xor_b64 s[10:11], exec, s[10:11]
	s_cbranch_execnz .LBB37_184
; %bb.135:                              ;   in Loop: Header=BB37_65 Depth=1
	s_or_saveexec_b64 s[10:11], s[10:11]
                                        ; implicit-def: $sgpr16
	s_xor_b64 exec, exec, s[10:11]
	s_cbranch_execnz .LBB37_185
.LBB37_136:                             ;   in Loop: Header=BB37_65 Depth=1
	s_or_b64 exec, exec, s[10:11]
	v_mov_b32_e32 v3, s16
	s_and_saveexec_b64 s[10:11], s[8:9]
.LBB37_137:                             ;   in Loop: Header=BB37_65 Depth=1
	v_lshrrev_b32_e32 v3, 24, v5
	v_and_or_b32 v3, v3, s27, v7
.LBB37_138:                             ;   in Loop: Header=BB37_65 Depth=1
	s_or_b64 exec, exec, s[10:11]
.LBB37_139:                             ;   in Loop: Header=BB37_65 Depth=1
	s_or_b64 exec, exec, s[6:7]
	v_lshlrev_b64 v[8:9], 2, v[12:13]
	v_mov_b32_e32 v5, s18
	v_add_co_u32_e32 v8, vcc, s13, v8
	v_lshlrev_b32_e32 v4, 16, v4
	v_lshlrev_b32_e32 v2, 8, v2
	v_addc_co_u32_e32 v9, vcc, v5, v9, vcc
	v_perm_b32 v3, v3, v4, s28
	v_and_b32_e32 v2, 0xff00, v2
	v_and_b32_e32 v4, 0xff, v6
	v_add_u32_e32 v0, s21, v0
	v_or3_b32 v2, v3, v2, v4
	v_cmp_gt_u32_e32 vcc, s12, v0
	s_mov_b64 s[8:9], -1
	global_store_dword v[8:9], v2, off
	s_and_saveexec_b64 s[6:7], vcc
	s_cbranch_execz .LBB37_62
; %bb.140:                              ;   in Loop: Header=BB37_65 Depth=1
	v_bfe_u32 v11, v0, 4, 26
	v_lshlrev_b64 v[6:7], 4, v[0:1]
	v_mad_u64_u32 v[12:13], s[8:9], v14, v11, 0
	v_mov_b32_e32 v3, s44
	v_add_co_u32_e32 v2, vcc, s33, v6
	v_mov_b32_e32 v20, v13
	v_addc_co_u32_e32 v3, vcc, v3, v7, vcc
	v_mad_u64_u32 v[20:21], s[8:9], v15, v11, v[20:21]
	v_mov_b32_e32 v8, s15
	v_add_co_u32_e32 v6, vcc, s14, v6
	v_mov_b32_e32 v13, v20
	v_addc_co_u32_e32 v7, vcc, v8, v7, vcc
	v_lshlrev_b64 v[12:13], 2, v[12:13]
	global_load_dwordx4 v[2:5], v[2:3], off
	v_mov_b32_e32 v11, s20
	v_add_co_u32_e32 v12, vcc, s19, v12
	global_load_dwordx4 v[6:9], v[6:7], off
	v_addc_co_u32_e32 v13, vcc, v11, v13, vcc
	global_load_dword v11, v[12:13], off
	s_waitcnt vmcnt(2)
	v_mul_f32_e32 v2, v36, v2
	s_waitcnt vmcnt(1)
	v_mul_f32_e32 v6, v2, v6
	v_mov_b32_e32 v2, 0x80
	s_waitcnt vmcnt(0)
	v_div_scale_f32 v12, s[8:9], v11, v11, v6
	v_rcp_f32_e32 v13, v12
	v_div_scale_f32 v19, vcc, v6, v11, v6
	v_fma_f32 v20, -v12, v13, 1.0
	v_fmac_f32_e32 v13, v20, v13
	v_mul_f32_e32 v20, v19, v13
	v_fma_f32 v21, -v12, v20, v19
	v_fmac_f32_e32 v20, v21, v13
	v_fma_f32 v12, -v12, v20, v19
	v_div_fmas_f32 v12, v12, v13, v20
	v_div_fixup_f32 v6, v12, v11, v6
	v_min_f32_e32 v6, 0x43600000, v6
	v_max_f32_e32 v12, 0xc3600000, v6
	v_and_b32_e32 v13, 0x7fffffff, v12
	v_cmp_gt_u32_e32 vcc, s23, v13
	v_mov_b32_e32 v6, 0x80
	s_and_saveexec_b64 s[8:9], vcc
	s_cbranch_execz .LBB37_146
; %bb.141:                              ;   in Loop: Header=BB37_65 Depth=1
	v_cmp_lt_u32_e32 vcc, s24, v13
	s_mov_b64 s[10:11], 0
                                        ; implicit-def: $vgpr13
	s_and_saveexec_b64 s[16:17], vcc
	s_xor_b64 s[16:17], exec, s[16:17]
	s_cbranch_execnz .LBB37_186
; %bb.142:                              ;   in Loop: Header=BB37_65 Depth=1
	s_or_saveexec_b64 s[16:17], s[16:17]
                                        ; implicit-def: $sgpr29
	s_xor_b64 exec, exec, s[16:17]
	s_cbranch_execnz .LBB37_187
.LBB37_143:                             ;   in Loop: Header=BB37_65 Depth=1
	s_or_b64 exec, exec, s[16:17]
	v_mov_b32_e32 v6, s29
	s_and_saveexec_b64 s[16:17], s[10:11]
.LBB37_144:                             ;   in Loop: Header=BB37_65 Depth=1
	v_lshrrev_b32_e32 v6, 24, v12
	v_and_or_b32 v6, v6, s27, v13
.LBB37_145:                             ;   in Loop: Header=BB37_65 Depth=1
	s_or_b64 exec, exec, s[16:17]
.LBB37_146:                             ;   in Loop: Header=BB37_65 Depth=1
	s_or_b64 exec, exec, s[8:9]
	v_mul_f32_e32 v3, v36, v3
	v_mul_f32_e32 v3, v3, v7
	v_div_scale_f32 v7, s[8:9], v11, v11, v3
	v_rcp_f32_e32 v12, v7
	v_div_scale_f32 v13, vcc, v3, v11, v3
	v_fma_f32 v19, -v7, v12, 1.0
	v_fmac_f32_e32 v12, v19, v12
	v_mul_f32_e32 v19, v13, v12
	v_fma_f32 v20, -v7, v19, v13
	v_fmac_f32_e32 v19, v20, v12
	v_fma_f32 v7, -v7, v19, v13
	v_div_fmas_f32 v7, v7, v12, v19
	v_div_fixup_f32 v3, v7, v11, v3
	v_min_f32_e32 v3, 0x43600000, v3
	v_max_f32_e32 v3, 0xc3600000, v3
	v_and_b32_e32 v7, 0x7fffffff, v3
	v_cmp_gt_u32_e32 vcc, s23, v7
	s_and_saveexec_b64 s[8:9], vcc
	s_cbranch_execz .LBB37_152
; %bb.147:                              ;   in Loop: Header=BB37_65 Depth=1
	v_cmp_lt_u32_e32 vcc, s24, v7
	s_mov_b64 s[10:11], 0
                                        ; implicit-def: $vgpr7
	s_and_saveexec_b64 s[16:17], vcc
	s_xor_b64 s[16:17], exec, s[16:17]
	s_cbranch_execnz .LBB37_188
; %bb.148:                              ;   in Loop: Header=BB37_65 Depth=1
	s_or_saveexec_b64 s[16:17], s[16:17]
                                        ; implicit-def: $sgpr29
	s_xor_b64 exec, exec, s[16:17]
	s_cbranch_execnz .LBB37_189
.LBB37_149:                             ;   in Loop: Header=BB37_65 Depth=1
	s_or_b64 exec, exec, s[16:17]
	v_mov_b32_e32 v2, s29
	s_and_saveexec_b64 s[16:17], s[10:11]
.LBB37_150:                             ;   in Loop: Header=BB37_65 Depth=1
	v_lshrrev_b32_e32 v2, 24, v3
	v_and_or_b32 v2, v2, s27, v7
.LBB37_151:                             ;   in Loop: Header=BB37_65 Depth=1
	s_or_b64 exec, exec, s[16:17]
.LBB37_152:                             ;   in Loop: Header=BB37_65 Depth=1
	s_or_b64 exec, exec, s[8:9]
	v_mul_f32_e32 v3, v36, v4
	v_mul_f32_e32 v3, v3, v8
	v_div_scale_f32 v4, s[8:9], v11, v11, v3
	v_rcp_f32_e32 v7, v4
	v_div_scale_f32 v8, vcc, v3, v11, v3
	v_fma_f32 v12, -v4, v7, 1.0
	v_fmac_f32_e32 v7, v12, v7
	v_mul_f32_e32 v12, v8, v7
	v_fma_f32 v13, -v4, v12, v8
	v_fmac_f32_e32 v12, v13, v7
	v_fma_f32 v4, -v4, v12, v8
	v_div_fmas_f32 v4, v4, v7, v12
	v_div_fixup_f32 v3, v4, v11, v3
	v_min_f32_e32 v3, 0x43600000, v3
	v_max_f32_e32 v7, 0xc3600000, v3
	v_and_b32_e32 v8, 0x7fffffff, v7
	v_cmp_gt_u32_e32 vcc, s23, v8
	v_mov_b32_e32 v3, 0x80
	v_mov_b32_e32 v4, 0x80
	s_and_saveexec_b64 s[8:9], vcc
	s_cbranch_execz .LBB37_158
; %bb.153:                              ;   in Loop: Header=BB37_65 Depth=1
	v_cmp_lt_u32_e32 vcc, s24, v8
	s_mov_b64 s[10:11], 0
                                        ; implicit-def: $vgpr8
	s_and_saveexec_b64 s[16:17], vcc
	s_xor_b64 s[16:17], exec, s[16:17]
	s_cbranch_execnz .LBB37_190
; %bb.154:                              ;   in Loop: Header=BB37_65 Depth=1
	s_or_saveexec_b64 s[16:17], s[16:17]
                                        ; implicit-def: $sgpr29
	s_xor_b64 exec, exec, s[16:17]
	s_cbranch_execnz .LBB37_191
.LBB37_155:                             ;   in Loop: Header=BB37_65 Depth=1
	s_or_b64 exec, exec, s[16:17]
	v_mov_b32_e32 v4, s29
	s_and_saveexec_b64 s[16:17], s[10:11]
.LBB37_156:                             ;   in Loop: Header=BB37_65 Depth=1
	v_lshrrev_b32_e32 v4, 24, v7
	v_and_or_b32 v4, v4, s27, v8
.LBB37_157:                             ;   in Loop: Header=BB37_65 Depth=1
	s_or_b64 exec, exec, s[16:17]
.LBB37_158:                             ;   in Loop: Header=BB37_65 Depth=1
	s_or_b64 exec, exec, s[8:9]
	v_mul_f32_e32 v5, v36, v5
	v_mul_f32_e32 v5, v5, v9
	v_div_scale_f32 v7, s[8:9], v11, v11, v5
	v_rcp_f32_e32 v8, v7
	v_div_scale_f32 v9, vcc, v5, v11, v5
	v_fma_f32 v12, -v7, v8, 1.0
	v_fmac_f32_e32 v8, v12, v8
	v_mul_f32_e32 v12, v9, v8
	v_fma_f32 v13, -v7, v12, v9
	v_fmac_f32_e32 v12, v13, v8
	v_fma_f32 v7, -v7, v12, v9
	v_div_fmas_f32 v7, v7, v8, v12
	v_div_fixup_f32 v5, v7, v11, v5
	v_min_f32_e32 v5, 0x43600000, v5
	v_max_f32_e32 v5, 0xc3600000, v5
	v_and_b32_e32 v7, 0x7fffffff, v5
	v_cmp_gt_u32_e32 vcc, s23, v7
	s_and_saveexec_b64 s[8:9], vcc
	s_cbranch_execz .LBB37_61
; %bb.159:                              ;   in Loop: Header=BB37_65 Depth=1
	v_cmp_lt_u32_e32 vcc, s24, v7
	s_mov_b64 s[10:11], 0
                                        ; implicit-def: $vgpr7
	s_and_saveexec_b64 s[16:17], vcc
	s_xor_b64 s[16:17], exec, s[16:17]
	s_cbranch_execnz .LBB37_192
; %bb.160:                              ;   in Loop: Header=BB37_65 Depth=1
	s_or_saveexec_b64 s[16:17], s[16:17]
                                        ; implicit-def: $sgpr29
	s_xor_b64 exec, exec, s[16:17]
	s_cbranch_execnz .LBB37_193
.LBB37_161:                             ;   in Loop: Header=BB37_65 Depth=1
	s_or_b64 exec, exec, s[16:17]
	v_mov_b32_e32 v3, s29
	s_and_saveexec_b64 s[16:17], s[10:11]
	s_cbranch_execz .LBB37_60
	s_branch .LBB37_194
.LBB37_162:                             ;   in Loop: Header=BB37_65 Depth=1
	v_bfe_u32 v6, v11, 20, 1
	v_add3_u32 v6, v11, v6, s25
	s_mov_b64 s[4:5], exec
	v_lshrrev_b32_e32 v12, 20, v6
	s_or_saveexec_b64 s[6:7], s[6:7]
                                        ; implicit-def: $sgpr8
	s_xor_b64 exec, exec, s[6:7]
	s_cbranch_execz .LBB37_68
.LBB37_163:                             ;   in Loop: Header=BB37_65 Depth=1
	v_add_f32_e64 v6, |v11|, s26
	v_and_b32_e32 v12, 0xff, v6
	v_cmp_ne_u32_e32 vcc, 0, v12
	s_andn2_b64 s[4:5], s[4:5], exec
	s_and_b64 s[10:11], vcc, exec
	s_mov_b32 s8, 0
	s_or_b64 s[4:5], s[4:5], s[10:11]
	s_or_b64 exec, exec, s[6:7]
	v_mov_b32_e32 v6, s8
	s_and_saveexec_b64 s[6:7], s[4:5]
	s_cbranch_execnz .LBB37_69
	s_branch .LBB37_70
.LBB37_164:                             ;   in Loop: Header=BB37_65 Depth=1
	v_bfe_u32 v2, v3, 20, 1
	v_add3_u32 v2, v3, v2, s25
	s_mov_b64 s[4:5], exec
	v_lshrrev_b32_e32 v7, 20, v2
	s_or_saveexec_b64 s[6:7], s[6:7]
                                        ; implicit-def: $sgpr8
	s_xor_b64 exec, exec, s[6:7]
	s_cbranch_execz .LBB37_74
.LBB37_165:                             ;   in Loop: Header=BB37_65 Depth=1
	v_add_f32_e64 v2, |v3|, s26
	v_and_b32_e32 v7, 0xff, v2
	v_cmp_ne_u32_e32 vcc, 0, v7
	s_andn2_b64 s[4:5], s[4:5], exec
	s_and_b64 s[10:11], vcc, exec
	s_mov_b32 s8, 0
	s_or_b64 s[4:5], s[4:5], s[10:11]
	s_or_b64 exec, exec, s[6:7]
	v_mov_b32_e32 v2, s8
	s_and_saveexec_b64 s[6:7], s[4:5]
	s_cbranch_execnz .LBB37_75
	s_branch .LBB37_76
.LBB37_166:                             ;   in Loop: Header=BB37_65 Depth=1
	v_bfe_u32 v4, v7, 20, 1
	v_add3_u32 v4, v7, v4, s25
	s_mov_b64 s[4:5], exec
	v_lshrrev_b32_e32 v8, 20, v4
	s_or_saveexec_b64 s[6:7], s[6:7]
                                        ; implicit-def: $sgpr8
	s_xor_b64 exec, exec, s[6:7]
	s_cbranch_execz .LBB37_80
.LBB37_167:                             ;   in Loop: Header=BB37_65 Depth=1
	v_add_f32_e64 v4, |v7|, s26
	v_and_b32_e32 v8, 0xff, v4
	v_cmp_ne_u32_e32 vcc, 0, v8
	s_andn2_b64 s[4:5], s[4:5], exec
	s_and_b64 s[10:11], vcc, exec
	s_mov_b32 s8, 0
	s_or_b64 s[4:5], s[4:5], s[10:11]
	s_or_b64 exec, exec, s[6:7]
	v_mov_b32_e32 v4, s8
	s_and_saveexec_b64 s[6:7], s[4:5]
	s_cbranch_execnz .LBB37_81
	s_branch .LBB37_82
.LBB37_168:                             ;   in Loop: Header=BB37_65 Depth=1
	v_bfe_u32 v3, v5, 20, 1
	v_add3_u32 v3, v5, v3, s25
	s_mov_b64 s[4:5], exec
	v_lshrrev_b32_e32 v7, 20, v3
	s_or_saveexec_b64 s[6:7], s[6:7]
                                        ; implicit-def: $sgpr8
	s_xor_b64 exec, exec, s[6:7]
	s_cbranch_execz .LBB37_86
.LBB37_169:                             ;   in Loop: Header=BB37_65 Depth=1
	v_add_f32_e64 v3, |v5|, s26
	v_and_b32_e32 v7, 0xff, v3
	v_cmp_ne_u32_e32 vcc, 0, v7
	s_andn2_b64 s[4:5], s[4:5], exec
	s_and_b64 s[10:11], vcc, exec
	s_mov_b32 s8, 0
	s_or_b64 s[4:5], s[4:5], s[10:11]
	s_or_b64 exec, exec, s[6:7]
	v_mov_b32_e32 v3, s8
	s_and_saveexec_b64 s[6:7], s[4:5]
	s_cbranch_execnz .LBB37_87
	s_branch .LBB37_88
.LBB37_170:                             ;   in Loop: Header=BB37_65 Depth=1
	v_bfe_u32 v6, v13, 20, 1
	v_add3_u32 v6, v13, v6, s25
	s_mov_b64 s[6:7], exec
	v_lshrrev_b32_e32 v19, 20, v6
	s_or_saveexec_b64 s[8:9], s[8:9]
                                        ; implicit-def: $sgpr10
	s_xor_b64 exec, exec, s[8:9]
	s_cbranch_execz .LBB37_93
.LBB37_171:                             ;   in Loop: Header=BB37_65 Depth=1
	v_add_f32_e64 v6, |v13|, s26
	v_and_b32_e32 v19, 0xff, v6
	v_cmp_ne_u32_e32 vcc, 0, v19
	s_andn2_b64 s[6:7], s[6:7], exec
	s_and_b64 s[16:17], vcc, exec
	s_mov_b32 s10, 0
	s_or_b64 s[6:7], s[6:7], s[16:17]
	s_or_b64 exec, exec, s[8:9]
	v_mov_b32_e32 v6, s10
	s_and_saveexec_b64 s[8:9], s[6:7]
	s_cbranch_execnz .LBB37_94
	s_branch .LBB37_95
.LBB37_172:                             ;   in Loop: Header=BB37_65 Depth=1
	v_bfe_u32 v2, v3, 20, 1
	v_add3_u32 v2, v3, v2, s25
	s_mov_b64 s[6:7], exec
	v_lshrrev_b32_e32 v7, 20, v2
	s_or_saveexec_b64 s[8:9], s[8:9]
                                        ; implicit-def: $sgpr10
	s_xor_b64 exec, exec, s[8:9]
	s_cbranch_execz .LBB37_99
.LBB37_173:                             ;   in Loop: Header=BB37_65 Depth=1
	v_add_f32_e64 v2, |v3|, s26
	v_and_b32_e32 v7, 0xff, v2
	v_cmp_ne_u32_e32 vcc, 0, v7
	s_andn2_b64 s[6:7], s[6:7], exec
	s_and_b64 s[16:17], vcc, exec
	s_mov_b32 s10, 0
	s_or_b64 s[6:7], s[6:7], s[16:17]
	s_or_b64 exec, exec, s[8:9]
	v_mov_b32_e32 v2, s10
	s_and_saveexec_b64 s[8:9], s[6:7]
	s_cbranch_execnz .LBB37_100
	s_branch .LBB37_101
.LBB37_174:                             ;   in Loop: Header=BB37_65 Depth=1
	v_bfe_u32 v4, v7, 20, 1
	v_add3_u32 v4, v7, v4, s25
	s_mov_b64 s[6:7], exec
	v_lshrrev_b32_e32 v8, 20, v4
	s_or_saveexec_b64 s[8:9], s[8:9]
                                        ; implicit-def: $sgpr10
	s_xor_b64 exec, exec, s[8:9]
	s_cbranch_execz .LBB37_105
.LBB37_175:                             ;   in Loop: Header=BB37_65 Depth=1
	v_add_f32_e64 v4, |v7|, s26
	v_and_b32_e32 v8, 0xff, v4
	v_cmp_ne_u32_e32 vcc, 0, v8
	s_andn2_b64 s[6:7], s[6:7], exec
	s_and_b64 s[16:17], vcc, exec
	s_mov_b32 s10, 0
	s_or_b64 s[6:7], s[6:7], s[16:17]
	s_or_b64 exec, exec, s[8:9]
	v_mov_b32_e32 v4, s10
	s_and_saveexec_b64 s[8:9], s[6:7]
	s_cbranch_execnz .LBB37_106
	s_branch .LBB37_107
.LBB37_176:                             ;   in Loop: Header=BB37_65 Depth=1
	v_bfe_u32 v3, v5, 20, 1
	v_add3_u32 v3, v5, v3, s25
	s_mov_b64 s[6:7], exec
	v_lshrrev_b32_e32 v7, 20, v3
	s_or_saveexec_b64 s[8:9], s[8:9]
                                        ; implicit-def: $sgpr10
	s_xor_b64 exec, exec, s[8:9]
	s_cbranch_execz .LBB37_111
.LBB37_177:                             ;   in Loop: Header=BB37_65 Depth=1
	v_add_f32_e64 v3, |v5|, s26
	v_and_b32_e32 v7, 0xff, v3
	v_cmp_ne_u32_e32 vcc, 0, v7
	s_andn2_b64 s[6:7], s[6:7], exec
	s_and_b64 s[16:17], vcc, exec
	s_mov_b32 s10, 0
	s_or_b64 s[6:7], s[6:7], s[16:17]
	s_or_b64 exec, exec, s[8:9]
	v_mov_b32_e32 v3, s10
	s_and_saveexec_b64 s[8:9], s[6:7]
	s_cbranch_execnz .LBB37_112
	s_branch .LBB37_113
.LBB37_178:                             ;   in Loop: Header=BB37_65 Depth=1
	v_bfe_u32 v6, v19, 20, 1
	v_add3_u32 v6, v19, v6, s25
	s_mov_b64 s[8:9], exec
	v_lshrrev_b32_e32 v20, 20, v6
	s_or_saveexec_b64 s[10:11], s[10:11]
                                        ; implicit-def: $sgpr16
	s_xor_b64 exec, exec, s[10:11]
	s_cbranch_execz .LBB37_118
.LBB37_179:                             ;   in Loop: Header=BB37_65 Depth=1
	v_add_f32_e64 v6, |v19|, s26
	v_and_b32_e32 v20, 0xff, v6
	v_cmp_ne_u32_e32 vcc, 0, v20
	s_andn2_b64 s[8:9], s[8:9], exec
	s_and_b64 s[30:31], vcc, exec
	s_mov_b32 s16, 0
	s_or_b64 s[8:9], s[8:9], s[30:31]
	s_or_b64 exec, exec, s[10:11]
	v_mov_b32_e32 v6, s16
	s_and_saveexec_b64 s[10:11], s[8:9]
	s_cbranch_execnz .LBB37_119
	s_branch .LBB37_120
.LBB37_180:                             ;   in Loop: Header=BB37_65 Depth=1
	v_bfe_u32 v2, v3, 20, 1
	v_add3_u32 v2, v3, v2, s25
	s_mov_b64 s[8:9], exec
	v_lshrrev_b32_e32 v7, 20, v2
	s_or_saveexec_b64 s[10:11], s[10:11]
                                        ; implicit-def: $sgpr16
	s_xor_b64 exec, exec, s[10:11]
	s_cbranch_execz .LBB37_124
.LBB37_181:                             ;   in Loop: Header=BB37_65 Depth=1
	v_add_f32_e64 v2, |v3|, s26
	v_and_b32_e32 v7, 0xff, v2
	v_cmp_ne_u32_e32 vcc, 0, v7
	s_andn2_b64 s[8:9], s[8:9], exec
	s_and_b64 s[30:31], vcc, exec
	s_mov_b32 s16, 0
	s_or_b64 s[8:9], s[8:9], s[30:31]
	s_or_b64 exec, exec, s[10:11]
	v_mov_b32_e32 v2, s16
	s_and_saveexec_b64 s[10:11], s[8:9]
	s_cbranch_execnz .LBB37_125
	s_branch .LBB37_126
.LBB37_182:                             ;   in Loop: Header=BB37_65 Depth=1
	v_bfe_u32 v4, v7, 20, 1
	v_add3_u32 v4, v7, v4, s25
	s_mov_b64 s[8:9], exec
	v_lshrrev_b32_e32 v8, 20, v4
	s_or_saveexec_b64 s[10:11], s[10:11]
                                        ; implicit-def: $sgpr16
	s_xor_b64 exec, exec, s[10:11]
	s_cbranch_execz .LBB37_130
.LBB37_183:                             ;   in Loop: Header=BB37_65 Depth=1
	v_add_f32_e64 v4, |v7|, s26
	v_and_b32_e32 v8, 0xff, v4
	v_cmp_ne_u32_e32 vcc, 0, v8
	s_andn2_b64 s[8:9], s[8:9], exec
	s_and_b64 s[30:31], vcc, exec
	s_mov_b32 s16, 0
	s_or_b64 s[8:9], s[8:9], s[30:31]
	s_or_b64 exec, exec, s[10:11]
	v_mov_b32_e32 v4, s16
	s_and_saveexec_b64 s[10:11], s[8:9]
	s_cbranch_execnz .LBB37_131
	s_branch .LBB37_132
.LBB37_184:                             ;   in Loop: Header=BB37_65 Depth=1
	v_bfe_u32 v3, v5, 20, 1
	v_add3_u32 v3, v5, v3, s25
	s_mov_b64 s[8:9], exec
	v_lshrrev_b32_e32 v7, 20, v3
	s_or_saveexec_b64 s[10:11], s[10:11]
                                        ; implicit-def: $sgpr16
	s_xor_b64 exec, exec, s[10:11]
	s_cbranch_execz .LBB37_136
.LBB37_185:                             ;   in Loop: Header=BB37_65 Depth=1
	v_add_f32_e64 v3, |v5|, s26
	v_and_b32_e32 v7, 0xff, v3
	v_cmp_ne_u32_e32 vcc, 0, v7
	s_andn2_b64 s[8:9], s[8:9], exec
	s_and_b64 s[30:31], vcc, exec
	s_mov_b32 s16, 0
	s_or_b64 s[8:9], s[8:9], s[30:31]
	s_or_b64 exec, exec, s[10:11]
	v_mov_b32_e32 v3, s16
	s_and_saveexec_b64 s[10:11], s[8:9]
	s_cbranch_execnz .LBB37_137
	s_branch .LBB37_138
.LBB37_186:                             ;   in Loop: Header=BB37_65 Depth=1
	v_bfe_u32 v6, v12, 20, 1
	v_add3_u32 v6, v12, v6, s25
	s_mov_b64 s[10:11], exec
	v_lshrrev_b32_e32 v13, 20, v6
	s_or_saveexec_b64 s[16:17], s[16:17]
                                        ; implicit-def: $sgpr29
	s_xor_b64 exec, exec, s[16:17]
	s_cbranch_execz .LBB37_143
.LBB37_187:                             ;   in Loop: Header=BB37_65 Depth=1
	v_add_f32_e64 v6, |v12|, s26
	v_and_b32_e32 v13, 0xff, v6
	v_cmp_ne_u32_e32 vcc, 0, v13
	s_andn2_b64 s[10:11], s[10:11], exec
	s_and_b64 s[30:31], vcc, exec
	s_mov_b32 s29, 0
	s_or_b64 s[10:11], s[10:11], s[30:31]
	s_or_b64 exec, exec, s[16:17]
	v_mov_b32_e32 v6, s29
	s_and_saveexec_b64 s[16:17], s[10:11]
	s_cbranch_execnz .LBB37_144
	s_branch .LBB37_145
.LBB37_188:                             ;   in Loop: Header=BB37_65 Depth=1
	v_bfe_u32 v2, v3, 20, 1
	v_add3_u32 v2, v3, v2, s25
	s_mov_b64 s[10:11], exec
	v_lshrrev_b32_e32 v7, 20, v2
	s_or_saveexec_b64 s[16:17], s[16:17]
                                        ; implicit-def: $sgpr29
	s_xor_b64 exec, exec, s[16:17]
	s_cbranch_execz .LBB37_149
.LBB37_189:                             ;   in Loop: Header=BB37_65 Depth=1
	v_add_f32_e64 v2, |v3|, s26
	v_and_b32_e32 v7, 0xff, v2
	v_cmp_ne_u32_e32 vcc, 0, v7
	s_andn2_b64 s[10:11], s[10:11], exec
	s_and_b64 s[30:31], vcc, exec
	s_mov_b32 s29, 0
	s_or_b64 s[10:11], s[10:11], s[30:31]
	s_or_b64 exec, exec, s[16:17]
	v_mov_b32_e32 v2, s29
	s_and_saveexec_b64 s[16:17], s[10:11]
	s_cbranch_execnz .LBB37_150
	s_branch .LBB37_151
.LBB37_190:                             ;   in Loop: Header=BB37_65 Depth=1
	v_bfe_u32 v4, v7, 20, 1
	v_add3_u32 v4, v7, v4, s25
	s_mov_b64 s[10:11], exec
	v_lshrrev_b32_e32 v8, 20, v4
	s_or_saveexec_b64 s[16:17], s[16:17]
                                        ; implicit-def: $sgpr29
	s_xor_b64 exec, exec, s[16:17]
	s_cbranch_execz .LBB37_155
.LBB37_191:                             ;   in Loop: Header=BB37_65 Depth=1
	v_add_f32_e64 v4, |v7|, s26
	v_and_b32_e32 v8, 0xff, v4
	v_cmp_ne_u32_e32 vcc, 0, v8
	s_andn2_b64 s[10:11], s[10:11], exec
	s_and_b64 s[30:31], vcc, exec
	s_mov_b32 s29, 0
	s_or_b64 s[10:11], s[10:11], s[30:31]
	s_or_b64 exec, exec, s[16:17]
	v_mov_b32_e32 v4, s29
	s_and_saveexec_b64 s[16:17], s[10:11]
	s_cbranch_execnz .LBB37_156
	s_branch .LBB37_157
.LBB37_192:                             ;   in Loop: Header=BB37_65 Depth=1
	v_bfe_u32 v3, v5, 20, 1
	v_add3_u32 v3, v5, v3, s25
	s_mov_b64 s[10:11], exec
	v_lshrrev_b32_e32 v7, 20, v3
	s_or_saveexec_b64 s[16:17], s[16:17]
                                        ; implicit-def: $sgpr29
	s_xor_b64 exec, exec, s[16:17]
	s_cbranch_execz .LBB37_161
.LBB37_193:                             ;   in Loop: Header=BB37_65 Depth=1
	v_add_f32_e64 v3, |v5|, s26
	v_and_b32_e32 v7, 0xff, v3
	v_cmp_ne_u32_e32 vcc, 0, v7
	s_andn2_b64 s[10:11], s[10:11], exec
	s_and_b64 s[30:31], vcc, exec
	s_mov_b32 s29, 0
	s_or_b64 s[10:11], s[10:11], s[30:31]
	s_or_b64 exec, exec, s[16:17]
	v_mov_b32_e32 v3, s29
	s_and_saveexec_b64 s[16:17], s[10:11]
	s_cbranch_execz .LBB37_60
.LBB37_194:                             ;   in Loop: Header=BB37_65 Depth=1
	v_lshrrev_b32_e32 v3, 24, v5
	v_and_or_b32 v3, v3, s27, v7
	s_branch .LBB37_60
.LBB37_195:
	s_endpgm
.LBB37_196:
                                        ; implicit-def: $vgpr4_vgpr5
	s_andn2_b64 vcc, exec, s[26:27]
	s_cbranch_vccz .LBB37_53
	s_branch .LBB37_54
.LBB37_197:
                                        ; implicit-def: $vgpr2_vgpr3
	s_andn2_b64 vcc, exec, s[22:23]
	s_cbranch_vccz .LBB37_58
	s_branch .LBB37_59
	.section	.rodata,"a",@progbits
	.p2align	6, 0x0
	.amdhsa_kernel _ZN4vllm31rms_norm_per_block_quant_kernelIfN3c1015Float8_e4m3fnuzELb0ELb1ELi64EEEvPT0_PfPKT_S8_PKffiiPS6_l
		.amdhsa_group_segment_fixed_size 4164
		.amdhsa_private_segment_fixed_size 0
		.amdhsa_kernarg_size 328
		.amdhsa_user_sgpr_count 6
		.amdhsa_user_sgpr_private_segment_buffer 1
		.amdhsa_user_sgpr_dispatch_ptr 0
		.amdhsa_user_sgpr_queue_ptr 0
		.amdhsa_user_sgpr_kernarg_segment_ptr 1
		.amdhsa_user_sgpr_dispatch_id 0
		.amdhsa_user_sgpr_flat_scratch_init 0
		.amdhsa_user_sgpr_kernarg_preload_length 0
		.amdhsa_user_sgpr_kernarg_preload_offset 0
		.amdhsa_user_sgpr_private_segment_size 0
		.amdhsa_uses_dynamic_stack 0
		.amdhsa_system_sgpr_private_segment_wavefront_offset 0
		.amdhsa_system_sgpr_workgroup_id_x 1
		.amdhsa_system_sgpr_workgroup_id_y 0
		.amdhsa_system_sgpr_workgroup_id_z 0
		.amdhsa_system_sgpr_workgroup_info 0
		.amdhsa_system_vgpr_workitem_id 0
		.amdhsa_next_free_vgpr 40
		.amdhsa_next_free_sgpr 47
		.amdhsa_accum_offset 40
		.amdhsa_reserve_vcc 1
		.amdhsa_reserve_flat_scratch 0
		.amdhsa_float_round_mode_32 0
		.amdhsa_float_round_mode_16_64 0
		.amdhsa_float_denorm_mode_32 3
		.amdhsa_float_denorm_mode_16_64 3
		.amdhsa_dx10_clamp 1
		.amdhsa_ieee_mode 1
		.amdhsa_fp16_overflow 0
		.amdhsa_tg_split 0
		.amdhsa_exception_fp_ieee_invalid_op 0
		.amdhsa_exception_fp_denorm_src 0
		.amdhsa_exception_fp_ieee_div_zero 0
		.amdhsa_exception_fp_ieee_overflow 0
		.amdhsa_exception_fp_ieee_underflow 0
		.amdhsa_exception_fp_ieee_inexact 0
		.amdhsa_exception_int_div_zero 0
	.end_amdhsa_kernel
	.section	.text._ZN4vllm31rms_norm_per_block_quant_kernelIfN3c1015Float8_e4m3fnuzELb0ELb1ELi64EEEvPT0_PfPKT_S8_PKffiiPS6_l,"axG",@progbits,_ZN4vllm31rms_norm_per_block_quant_kernelIfN3c1015Float8_e4m3fnuzELb0ELb1ELi64EEEvPT0_PfPKT_S8_PKffiiPS6_l,comdat
.Lfunc_end37:
	.size	_ZN4vllm31rms_norm_per_block_quant_kernelIfN3c1015Float8_e4m3fnuzELb0ELb1ELi64EEEvPT0_PfPKT_S8_PKffiiPS6_l, .Lfunc_end37-_ZN4vllm31rms_norm_per_block_quant_kernelIfN3c1015Float8_e4m3fnuzELb0ELb1ELi64EEEvPT0_PfPKT_S8_PKffiiPS6_l
                                        ; -- End function
	.section	.AMDGPU.csdata,"",@progbits
; Kernel info:
; codeLenInByte = 10684
; NumSgprs: 51
; NumVgprs: 40
; NumAgprs: 0
; TotalNumVgprs: 40
; ScratchSize: 0
; MemoryBound: 0
; FloatMode: 240
; IeeeMode: 1
; LDSByteSize: 4164 bytes/workgroup (compile time only)
; SGPRBlocks: 6
; VGPRBlocks: 4
; NumSGPRsForWavesPerEU: 51
; NumVGPRsForWavesPerEU: 40
; AccumOffset: 40
; Occupancy: 8
; WaveLimiterHint : 0
; COMPUTE_PGM_RSRC2:SCRATCH_EN: 0
; COMPUTE_PGM_RSRC2:USER_SGPR: 6
; COMPUTE_PGM_RSRC2:TRAP_HANDLER: 0
; COMPUTE_PGM_RSRC2:TGID_X_EN: 1
; COMPUTE_PGM_RSRC2:TGID_Y_EN: 0
; COMPUTE_PGM_RSRC2:TGID_Z_EN: 0
; COMPUTE_PGM_RSRC2:TIDIG_COMP_CNT: 0
; COMPUTE_PGM_RSRC3_GFX90A:ACCUM_OFFSET: 9
; COMPUTE_PGM_RSRC3_GFX90A:TG_SPLIT: 0
	.section	.text._ZN4vllm31rms_norm_per_block_quant_kernelIfaLb0ELb1ELi64EEEvPT0_PfPKT_S6_PKffiiPS4_l,"axG",@progbits,_ZN4vllm31rms_norm_per_block_quant_kernelIfaLb0ELb1ELi64EEEvPT0_PfPKT_S6_PKffiiPS4_l,comdat
	.protected	_ZN4vllm31rms_norm_per_block_quant_kernelIfaLb0ELb1ELi64EEEvPT0_PfPKT_S6_PKffiiPS4_l ; -- Begin function _ZN4vllm31rms_norm_per_block_quant_kernelIfaLb0ELb1ELi64EEEvPT0_PfPKT_S6_PKffiiPS4_l
	.globl	_ZN4vllm31rms_norm_per_block_quant_kernelIfaLb0ELb1ELi64EEEvPT0_PfPKT_S6_PKffiiPS4_l
	.p2align	8
	.type	_ZN4vllm31rms_norm_per_block_quant_kernelIfaLb0ELb1ELi64EEEvPT0_PfPKT_S6_PKffiiPS4_l,@function
_ZN4vllm31rms_norm_per_block_quant_kernelIfaLb0ELb1ELi64EEEvPT0_PfPKT_S6_PKffiiPS4_l: ; @_ZN4vllm31rms_norm_per_block_quant_kernelIfaLb0ELb1ELi64EEEvPT0_PfPKT_S6_PKffiiPS4_l
; %bb.0:
	s_load_dwordx4 s[16:19], s[4:5], 0x28
	s_load_dwordx8 s[8:15], s[4:5], 0x0
	s_load_dword s46, s[4:5], 0x48
	s_mov_b32 s7, 0
	v_mov_b32_e32 v1, 0
	s_waitcnt lgkmcnt(0)
	s_ashr_i32 s0, s18, 31
	s_mul_hi_u32 s1, s18, s6
	s_mul_i32 s0, s0, s6
	s_add_i32 s1, s1, s0
	s_mul_i32 s0, s18, s6
	s_lshl_b64 s[0:1], s[0:1], 2
	s_add_u32 s33, s12, s0
	s_addc_u32 s44, s13, s1
	s_ashr_i32 s12, s17, 2
	s_add_u32 s18, s4, 0x48
	s_mov_b32 s20, s17
	v_cmp_gt_u32_e64 s[0:1], s12, v0
	s_addc_u32 s19, s5, 0
	s_and_saveexec_b64 s[2:3], s[0:1]
	s_cbranch_execz .LBB38_10
; %bb.1:
	s_cmp_lt_u32 s6, s46
	s_cselect_b32 s13, 12, 18
	s_add_u32 s22, s18, s13
	s_addc_u32 s23, s19, 0
	v_mov_b32_e32 v3, 0
	global_load_ushort v8, v3, s[22:23]
	s_mov_b64 s[22:23], 0
	v_mov_b32_e32 v9, s44
	v_mov_b32_e32 v2, v0
                                        ; implicit-def: $sgpr24_sgpr25
	s_waitcnt vmcnt(0)
	v_add_u32_e32 v1, v8, v8
	v_mul_lo_u32 v10, v8, 3
	v_lshlrev_b32_e32 v11, 1, v8
	v_add_u32_e32 v12, v1, v8
	v_mov_b32_e32 v1, v3
	s_branch .LBB38_5
.LBB38_2:                               ;   in Loop: Header=BB38_5 Depth=1
	s_or_b64 exec, exec, s[30:31]
	s_orn2_b64 s[30:31], s[34:35], exec
.LBB38_3:                               ;   in Loop: Header=BB38_5 Depth=1
	s_or_b64 exec, exec, s[28:29]
	s_andn2_b64 s[24:25], s[24:25], exec
	s_and_b64 s[28:29], s[30:31], exec
	s_or_b64 s[24:25], s[24:25], s[28:29]
.LBB38_4:                               ;   in Loop: Header=BB38_5 Depth=1
	s_or_b64 exec, exec, s[26:27]
	s_and_b64 s[26:27], exec, s[24:25]
	s_or_b64 s[22:23], s[26:27], s[22:23]
	s_andn2_b64 exec, exec, s[22:23]
	s_cbranch_execz .LBB38_9
.LBB38_5:                               ; =>This Inner Loop Header: Depth=1
	v_lshlrev_b64 v[4:5], 4, v[2:3]
	v_add_co_u32_e32 v4, vcc, s33, v4
	v_addc_co_u32_e32 v5, vcc, v9, v5, vcc
	global_load_dwordx4 v[14:17], v[4:5], off
	v_add_u32_e32 v4, v2, v8
	v_cmp_gt_u32_e32 vcc, s12, v4
	s_or_b64 s[24:25], s[24:25], exec
	s_waitcnt vmcnt(0)
	v_fmac_f32_e32 v1, v14, v14
	v_fmac_f32_e32 v1, v15, v15
	;; [unrolled: 1-line block ×4, first 2 shown]
	s_and_saveexec_b64 s[26:27], vcc
	s_cbranch_execz .LBB38_4
; %bb.6:                                ;   in Loop: Header=BB38_5 Depth=1
	v_mov_b32_e32 v5, v3
	v_lshlrev_b64 v[6:7], 4, v[4:5]
	v_add_co_u32_e32 v6, vcc, s33, v6
	v_addc_co_u32_e32 v7, vcc, v9, v7, vcc
	global_load_dwordx4 v[14:17], v[6:7], off
	v_add_u32_e32 v6, v11, v2
	v_cmp_gt_u32_e32 vcc, s12, v6
	s_mov_b64 s[30:31], -1
	s_waitcnt vmcnt(0)
	v_fmac_f32_e32 v1, v14, v14
	v_fmac_f32_e32 v1, v15, v15
	;; [unrolled: 1-line block ×4, first 2 shown]
	s_and_saveexec_b64 s[28:29], vcc
	s_cbranch_execz .LBB38_3
; %bb.7:                                ;   in Loop: Header=BB38_5 Depth=1
	v_mov_b32_e32 v7, v3
	v_lshlrev_b64 v[6:7], 4, v[6:7]
	v_add_co_u32_e32 v6, vcc, s33, v6
	v_addc_co_u32_e32 v7, vcc, v9, v7, vcc
	global_load_dwordx4 v[14:17], v[6:7], off
	v_add_u32_e32 v2, v10, v2
	v_cmp_gt_u32_e32 vcc, s12, v2
	s_mov_b64 s[34:35], -1
	s_waitcnt vmcnt(0)
	v_fmac_f32_e32 v1, v14, v14
	v_fmac_f32_e32 v1, v15, v15
	;; [unrolled: 1-line block ×4, first 2 shown]
	s_and_saveexec_b64 s[30:31], vcc
	s_xor_b64 s[30:31], exec, s[30:31]
	s_cbranch_execz .LBB38_2
; %bb.8:                                ;   in Loop: Header=BB38_5 Depth=1
	v_lshlrev_b64 v[6:7], 4, v[2:3]
	v_add_co_u32_e32 v6, vcc, s33, v6
	v_addc_co_u32_e32 v7, vcc, v9, v7, vcc
	global_load_dwordx4 v[14:17], v[6:7], off
	v_add_u32_e32 v2, v12, v4
	v_cmp_le_u32_e32 vcc, s12, v2
	s_orn2_b64 s[34:35], vcc, exec
	s_waitcnt vmcnt(0)
	v_fmac_f32_e32 v1, v14, v14
	v_fmac_f32_e32 v1, v15, v15
	v_fmac_f32_e32 v1, v16, v16
	v_fmac_f32_e32 v1, v17, v17
	s_branch .LBB38_2
.LBB38_9:
	s_or_b64 exec, exec, s[22:23]
.LBB38_10:
	s_or_b64 exec, exec, s[2:3]
	v_mbcnt_lo_u32_b32 v2, -1, 0
	v_mbcnt_hi_u32_b32 v2, -1, v2
	v_and_b32_e32 v3, 63, v2
	v_cmp_ne_u32_e32 vcc, 63, v3
	s_load_dword s2, s[18:19], 0xc
	v_addc_co_u32_e32 v4, vcc, 0, v2, vcc
	v_lshlrev_b32_e32 v4, 2, v4
	ds_bpermute_b32 v4, v4, v1
	s_waitcnt lgkmcnt(0)
	s_and_b32 s13, s2, 0xffff
	v_and_b32_e32 v5, 0x3c0, v0
	v_sub_u32_e64 v5, s13, v5 clamp
	v_add_u32_e32 v6, 1, v2
	v_add_f32_e32 v4, v1, v4
	v_cmp_lt_u32_e32 vcc, v6, v5
	v_cndmask_b32_e32 v1, v1, v4, vcc
	v_cmp_gt_u32_e32 vcc, 62, v3
	v_cndmask_b32_e64 v4, 0, 1, vcc
	v_lshlrev_b32_e32 v4, 1, v4
	v_add_lshl_u32 v4, v4, v2, 2
	ds_bpermute_b32 v4, v4, v1
	v_add_u32_e32 v6, 2, v2
	v_cmp_lt_u32_e32 vcc, v6, v5
	v_add_u32_e32 v6, 4, v2
	s_waitcnt lgkmcnt(0)
	v_add_f32_e32 v4, v1, v4
	v_cndmask_b32_e32 v1, v1, v4, vcc
	v_cmp_gt_u32_e32 vcc, 60, v3
	v_cndmask_b32_e64 v4, 0, 1, vcc
	v_lshlrev_b32_e32 v4, 2, v4
	v_add_lshl_u32 v4, v4, v2, 2
	ds_bpermute_b32 v4, v4, v1
	v_cmp_lt_u32_e32 vcc, v6, v5
	v_add_u32_e32 v6, 8, v2
	s_waitcnt lgkmcnt(0)
	v_add_f32_e32 v4, v1, v4
	v_cndmask_b32_e32 v1, v1, v4, vcc
	v_cmp_gt_u32_e32 vcc, 56, v3
	v_cndmask_b32_e64 v4, 0, 1, vcc
	v_lshlrev_b32_e32 v4, 3, v4
	v_add_lshl_u32 v4, v4, v2, 2
	ds_bpermute_b32 v4, v4, v1
	;; [unrolled: 10-line block ×3, first 2 shown]
	v_cmp_lt_u32_e32 vcc, v6, v5
	s_waitcnt lgkmcnt(0)
	v_add_f32_e32 v4, v1, v4
	v_cndmask_b32_e32 v1, v1, v4, vcc
	v_cmp_gt_u32_e32 vcc, 32, v3
	v_cndmask_b32_e64 v3, 0, 1, vcc
	v_lshlrev_b32_e32 v3, 5, v3
	v_add_lshl_u32 v3, v3, v2, 2
	ds_bpermute_b32 v3, v3, v1
	v_add_u32_e32 v4, 32, v2
	v_cmp_lt_u32_e32 vcc, v4, v5
	s_waitcnt lgkmcnt(0)
	v_add_f32_e32 v3, v1, v3
	v_cndmask_b32_e32 v1, v1, v3, vcc
	v_cmp_eq_u32_e32 vcc, 0, v2
	s_and_saveexec_b64 s[2:3], vcc
	s_cbranch_execz .LBB38_12
; %bb.11:
	v_lshrrev_b32_e32 v3, 4, v0
	v_and_b32_e32 v3, 60, v3
	ds_write_b32 v3, v1 offset:4096
.LBB38_12:
	s_or_b64 exec, exec, s[2:3]
	v_cmp_gt_u32_e32 vcc, 16, v0
	s_waitcnt lgkmcnt(0)
	s_barrier
	s_and_saveexec_b64 s[22:23], vcc
	s_cbranch_execz .LBB38_14
; %bb.13:
	v_lshlrev_b32_e32 v1, 2, v2
	ds_read_b32 v1, v1 offset:4096
	v_and_b32_e32 v3, 15, v2
	v_cmp_ne_u32_e32 vcc, 15, v3
	v_addc_co_u32_e32 v4, vcc, 0, v2, vcc
	v_lshlrev_b32_e32 v4, 2, v4
	s_waitcnt lgkmcnt(0)
	ds_bpermute_b32 v4, v4, v1
	s_add_i32 s13, s13, 63
	s_lshr_b32 s13, s13, 6
	v_add_u32_e32 v5, 1, v3
	v_cmp_gt_u32_e64 s[2:3], 14, v3
	v_cmp_gt_u32_e32 vcc, s13, v5
	v_cndmask_b32_e64 v5, 0, 1, s[2:3]
	s_waitcnt lgkmcnt(0)
	v_add_f32_e32 v4, v1, v4
	v_lshlrev_b32_e32 v5, 1, v5
	v_cndmask_b32_e32 v4, v1, v4, vcc
	v_add_lshl_u32 v5, v5, v2, 2
	ds_bpermute_b32 v5, v5, v4
	v_add_u32_e32 v6, 2, v3
	v_cmp_gt_u32_e64 s[2:3], s13, v6
	v_add_u32_e32 v6, 4, v3
	s_waitcnt lgkmcnt(0)
	v_add_f32_e32 v5, v4, v5
	v_cndmask_b32_e64 v4, v4, v5, s[2:3]
	v_cmp_gt_u32_e64 s[2:3], 12, v3
	v_cndmask_b32_e64 v5, 0, 1, s[2:3]
	v_lshlrev_b32_e32 v5, 2, v5
	v_add_lshl_u32 v5, v5, v2, 2
	ds_bpermute_b32 v5, v5, v4
	v_cmp_gt_u32_e64 s[2:3], s13, v6
	s_waitcnt lgkmcnt(0)
	v_add_f32_e32 v5, v4, v5
	v_cndmask_b32_e64 v4, v4, v5, s[2:3]
	v_cmp_gt_u32_e64 s[2:3], 8, v3
	v_cndmask_b32_e64 v5, 0, 1, s[2:3]
	v_lshlrev_b32_e32 v5, 3, v5
	v_add_lshl_u32 v2, v5, v2, 2
	ds_bpermute_b32 v2, v2, v4
	v_add_u32_e32 v3, 8, v3
	v_cmp_gt_u32_e64 s[2:3], s13, v3
	s_waitcnt lgkmcnt(0)
	v_add_f32_e32 v2, v4, v2
	v_cndmask_b32_e64 v2, v4, v2, s[2:3]
	v_cndmask_b32_e32 v1, v1, v2, vcc
.LBB38_14:
	s_or_b64 exec, exec, s[22:23]
	v_cmp_eq_u32_e32 vcc, 0, v0
	s_and_saveexec_b64 s[2:3], vcc
	s_cbranch_execz .LBB38_16
; %bb.15:
	v_cvt_f32_i32_e32 v2, s17
	s_mov_b32 s13, 0x800000
	v_div_scale_f32 v3, s[22:23], v2, v2, v1
	v_rcp_f32_e32 v4, v3
	v_div_scale_f32 v5, vcc, v1, v2, v1
	v_fma_f32 v6, -v3, v4, 1.0
	v_fmac_f32_e32 v4, v6, v4
	v_mul_f32_e32 v6, v5, v4
	v_fma_f32 v7, -v3, v6, v5
	v_fmac_f32_e32 v6, v7, v4
	v_fma_f32 v3, -v3, v6, v5
	v_div_fmas_f32 v3, v3, v4, v6
	v_div_fixup_f32 v1, v3, v2, v1
	v_add_f32_e32 v1, s16, v1
	v_mul_f32_e32 v2, 0x4b800000, v1
	v_cmp_gt_f32_e32 vcc, s13, v1
	v_cndmask_b32_e32 v1, v1, v2, vcc
	v_rsq_f32_e32 v1, v1
	v_mul_f32_e32 v2, 0x45800000, v1
	v_cndmask_b32_e32 v1, v1, v2, vcc
	v_mov_b32_e32 v2, 0
	ds_write_b32 v2, v1 offset:4160
.LBB38_16:
	s_or_b64 exec, exec, s[2:3]
	s_ashr_i32 s21, s17, 31
	s_lshr_b32 s2, s21, 26
	s_add_i32 s3, s17, s2
	s_ashr_i32 s2, s3, 6
	s_cmp_lt_u32 s6, s46
	s_cselect_b32 s13, 12, 18
	s_add_u32 s18, s18, s13
	v_mov_b32_e32 v7, 0
	s_addc_u32 s19, s19, 0
	s_waitcnt lgkmcnt(0)
	s_barrier
	global_load_ushort v1, v7, s[18:19]
	s_abs_i32 s13, s2
	v_cvt_f32_u32_e32 v2, s13
	s_sub_i32 s16, 0, s13
	s_ashr_i32 s3, s3, 31
	v_mov_b32_e32 v3, s12
	v_rcp_iflag_f32_e32 v2, v2
	v_mul_f32_e32 v2, 0x4f7ffffe, v2
	v_cvt_u32_f32_e32 v2, v2
	v_readfirstlane_b32 s18, v2
	s_mul_i32 s16, s16, s18
	s_mul_hi_u32 s16, s18, s16
	s_add_i32 s18, s18, s16
	ds_read_b32 v2, v7 offset:4160
	s_waitcnt vmcnt(0)
	v_readfirstlane_b32 s45, v1
	s_mul_hi_u32 s16, s45, s18
	s_mul_i32 s18, s16, s13
	s_sub_i32 s18, s45, s18
	s_add_i32 s19, s16, 1
	s_sub_i32 s22, s18, s13
	s_cmp_ge_u32 s18, s13
	s_cselect_b32 s16, s19, s16
	s_cselect_b32 s18, s22, s18
	s_add_i32 s19, s16, 1
	s_cmp_ge_u32 s18, s13
	s_cselect_b32 s13, s19, s16
	s_xor_b32 s13, s13, s3
	s_sub_i32 s18, s13, s3
	s_abs_i32 s3, s18
	v_cvt_f32_u32_e32 v1, s3
	s_sub_i32 s16, 0, s3
	s_ashr_i32 s19, s18, 31
	s_ashr_i32 s13, s12, 31
	v_rcp_iflag_f32_e32 v1, v1
	v_mov_b32_e32 v12, s13
	v_mul_f32_e32 v1, 0x4f7ffffe, v1
	v_cvt_u32_f32_e32 v1, v1
	v_mul_lo_u32 v4, s16, v1
	v_mul_hi_u32 v4, v1, v4
	v_add_u32_e32 v1, v1, v4
	v_mul_hi_u32 v1, v0, v1
	v_mul_lo_u32 v4, v1, s3
	v_sub_u32_e32 v4, v0, v4
	v_add_u32_e32 v5, 1, v1
	v_cmp_le_u32_e32 vcc, s3, v4
	v_cndmask_b32_e32 v1, v1, v5, vcc
	v_subrev_u32_e32 v5, s3, v4
	v_cndmask_b32_e32 v4, v4, v5, vcc
	v_add_u32_e32 v5, 1, v1
	v_cmp_le_u32_e32 vcc, s3, v4
	v_cndmask_b32_e32 v1, v1, v5, vcc
	v_xor_b32_e32 v1, s19, v1
	v_subrev_u32_e32 v4, s19, v1
	v_mul_lo_u32 v1, v4, s18
	v_ashrrev_i32_e32 v5, 31, v4
	v_sub_u32_e32 v6, v0, v1
	v_lshlrev_b64 v[10:11], 4, v[4:5]
	v_add_co_u32_e32 v8, vcc, v10, v6
	v_addc_co_u32_e32 v9, vcc, 0, v11, vcc
	v_add_co_u32_e32 v10, vcc, 16, v10
	v_addc_co_u32_e32 v11, vcc, 0, v11, vcc
	v_cmp_gt_i64_e32 vcc, s[12:13], v[10:11]
	v_cndmask_b32_e32 v10, v3, v10, vcc
	v_cndmask_b32_e32 v11, v12, v11, vcc
	v_ashrrev_i32_e32 v13, 31, v10
	v_mov_b32_e32 v12, v10
	v_cmp_lt_i64_e32 vcc, v[8:9], v[12:13]
	s_and_saveexec_b64 s[22:23], vcc
	s_cbranch_execz .LBB38_26
; %bb.17:
	v_lshlrev_b64 v[14:15], 8, v[4:5]
	v_lshlrev_b64 v[16:17], 4, v[6:7]
	v_add_co_u32_e32 v14, vcc, v14, v16
	v_addc_co_u32_e32 v1, vcc, v15, v17, vcc
	s_lshl_b64 s[24:25], s[18:19], 6
	s_mul_hi_i32 s3, s18, 3
	s_mul_i32 s13, s18, 3
	s_lshl_b64 s[26:27], s[18:19], 1
	s_lshl_b64 s[30:31], s[18:19], 4
	s_mov_b64 s[28:29], 0
	v_mov_b32_e32 v7, 0
	v_mov_b32_e32 v3, s44
	;; [unrolled: 1-line block ×4, first 2 shown]
	v_pk_mov_b32 v[16:17], v[8:9], v[8:9] op_sel:[0,1]
                                        ; implicit-def: $sgpr34_sgpr35
	s_branch .LBB38_21
.LBB38_18:                              ;   in Loop: Header=BB38_21 Depth=1
	s_or_b64 exec, exec, s[40:41]
	s_orn2_b64 s[40:41], s[42:43], exec
.LBB38_19:                              ;   in Loop: Header=BB38_21 Depth=1
	s_or_b64 exec, exec, s[38:39]
	s_andn2_b64 s[34:35], s[34:35], exec
	s_and_b64 s[38:39], s[40:41], exec
	s_or_b64 s[34:35], s[34:35], s[38:39]
.LBB38_20:                              ;   in Loop: Header=BB38_21 Depth=1
	s_or_b64 exec, exec, s[36:37]
	s_and_b64 s[36:37], exec, s[34:35]
	s_or_b64 s[28:29], s[36:37], s[28:29]
	s_andn2_b64 exec, exec, s[28:29]
	s_cbranch_execz .LBB38_25
.LBB38_21:                              ; =>This Inner Loop Header: Depth=1
	v_add_co_u32_e32 v20, vcc, s33, v14
	v_addc_co_u32_e32 v21, vcc, v3, v1, vcc
	v_add_co_u32_e32 v22, vcc, s14, v14
	global_load_dwordx4 v[26:29], v[20:21], off
	v_addc_co_u32_e32 v23, vcc, v15, v1, vcc
	global_load_dwordx4 v[30:33], v[22:23], off
	v_add_co_u32_e32 v18, vcc, s18, v16
	v_addc_co_u32_e32 v19, vcc, v17, v24, vcc
	v_cmp_lt_i64_e32 vcc, v[18:19], v[12:13]
	s_or_b64 s[34:35], s[34:35], exec
	s_waitcnt vmcnt(1) lgkmcnt(0)
	v_mul_f32_e32 v25, v2, v26
	v_mul_f32_e32 v26, v2, v27
	;; [unrolled: 1-line block ×4, first 2 shown]
	s_waitcnt vmcnt(0)
	v_mul_f32_e32 v25, v25, v30
	v_mul_f32_e32 v26, v26, v31
	;; [unrolled: 1-line block ×4, first 2 shown]
	v_max3_f32 v7, v7, |v25|, |v26|
	v_max3_f32 v7, v7, |v27|, |v28|
	s_and_saveexec_b64 s[36:37], vcc
	s_cbranch_execz .LBB38_20
; %bb.22:                               ;   in Loop: Header=BB38_21 Depth=1
	v_mov_b32_e32 v25, s31
	v_add_co_u32_e32 v20, vcc, s30, v20
	v_addc_co_u32_e32 v21, vcc, v21, v25, vcc
	v_add_co_u32_e32 v22, vcc, s30, v22
	global_load_dwordx4 v[26:29], v[20:21], off
	v_addc_co_u32_e32 v23, vcc, v23, v25, vcc
	global_load_dwordx4 v[30:33], v[22:23], off
	v_mov_b32_e32 v25, s27
	v_add_co_u32_e32 v34, vcc, s26, v16
	v_addc_co_u32_e32 v35, vcc, v25, v17, vcc
	v_cmp_lt_i64_e32 vcc, v[34:35], v[12:13]
	s_mov_b64 s[40:41], -1
	s_waitcnt vmcnt(1)
	v_mul_f32_e32 v25, v2, v26
	v_mul_f32_e32 v26, v2, v27
	;; [unrolled: 1-line block ×4, first 2 shown]
	s_waitcnt vmcnt(0)
	v_mul_f32_e32 v25, v25, v30
	v_mul_f32_e32 v26, v26, v31
	;; [unrolled: 1-line block ×4, first 2 shown]
	v_max3_f32 v7, v7, |v25|, |v26|
	v_max3_f32 v7, v7, |v27|, |v28|
	s_and_saveexec_b64 s[38:39], vcc
	s_cbranch_execz .LBB38_19
; %bb.23:                               ;   in Loop: Header=BB38_21 Depth=1
	v_mov_b32_e32 v25, s31
	v_add_co_u32_e32 v20, vcc, s30, v20
	v_addc_co_u32_e32 v21, vcc, v21, v25, vcc
	v_add_co_u32_e32 v22, vcc, s30, v22
	global_load_dwordx4 v[26:29], v[20:21], off
	v_addc_co_u32_e32 v23, vcc, v23, v25, vcc
	global_load_dwordx4 v[30:33], v[22:23], off
	v_mov_b32_e32 v25, s3
	v_add_co_u32_e32 v16, vcc, s13, v16
	v_addc_co_u32_e32 v17, vcc, v25, v17, vcc
	v_cmp_lt_i64_e32 vcc, v[16:17], v[12:13]
	s_mov_b64 s[42:43], -1
	s_waitcnt vmcnt(1)
	v_mul_f32_e32 v16, v2, v26
	v_mul_f32_e32 v17, v2, v27
	;; [unrolled: 1-line block ×4, first 2 shown]
	s_waitcnt vmcnt(0)
	v_mul_f32_e32 v16, v16, v30
	v_mul_f32_e32 v17, v17, v31
	;; [unrolled: 1-line block ×4, first 2 shown]
	v_max3_f32 v7, v7, |v16|, |v17|
	v_max3_f32 v7, v7, |v25|, |v26|
                                        ; implicit-def: $vgpr16_vgpr17
	s_and_saveexec_b64 s[40:41], vcc
	s_xor_b64 s[40:41], exec, s[40:41]
	s_cbranch_execz .LBB38_18
; %bb.24:                               ;   in Loop: Header=BB38_21 Depth=1
	v_mov_b32_e32 v25, s31
	v_add_co_u32_e32 v16, vcc, s30, v20
	v_addc_co_u32_e32 v17, vcc, v21, v25, vcc
	global_load_dwordx4 v[26:29], v[16:17], off
	v_add_co_u32_e32 v16, vcc, s30, v22
	v_addc_co_u32_e32 v17, vcc, v23, v25, vcc
	global_load_dwordx4 v[20:23], v[16:17], off
	s_add_u32 s16, s18, s18
	s_addc_u32 s42, s19, s19
	v_mov_b32_e32 v16, s25
	v_add_co_u32_e32 v14, vcc, s24, v14
	s_add_u32 s16, s16, s18
	v_addc_co_u32_e32 v1, vcc, v1, v16, vcc
	s_addc_u32 s42, s42, s19
	v_mov_b32_e32 v17, s42
	v_add_co_u32_e32 v16, vcc, s16, v18
	v_addc_co_u32_e32 v17, vcc, v17, v19, vcc
	v_cmp_ge_i64_e32 vcc, v[16:17], v[12:13]
	s_orn2_b64 s[42:43], vcc, exec
	s_waitcnt vmcnt(1)
	v_mul_f32_e32 v18, v2, v26
	v_mul_f32_e32 v19, v2, v27
	;; [unrolled: 1-line block ×4, first 2 shown]
	s_waitcnt vmcnt(0)
	v_mul_f32_e32 v18, v18, v20
	v_mul_f32_e32 v19, v19, v21
	;; [unrolled: 1-line block ×4, first 2 shown]
	v_max3_f32 v7, v7, |v18|, |v19|
	v_max3_f32 v7, v7, |v20|, |v21|
	s_branch .LBB38_18
.LBB38_25:
	s_or_b64 exec, exec, s[28:29]
.LBB38_26:
	s_or_b64 exec, exec, s[22:23]
	s_lshr_b32 s13, s45, 6
	v_cvt_f32_u32_e32 v3, s13
	s_sub_i32 s22, 0, s13
	s_add_i32 s3, s2, s13
	s_add_i32 s3, s3, -1
	v_rcp_iflag_f32_e32 v3, v3
	s_ashr_i32 s16, s3, 31
	s_abs_i32 s3, s3
	v_lshlrev_b32_e32 v1, 2, v0
	v_mul_f32_e32 v3, 0x4f7ffffe, v3
	v_cvt_u32_f32_e32 v3, v3
	ds_write_b32 v1, v7
	s_waitcnt lgkmcnt(0)
	s_barrier
	v_readfirstlane_b32 s23, v3
	s_mul_i32 s22, s22, s23
	s_mul_hi_u32 s22, s23, s22
	s_add_i32 s23, s23, s22
	s_mul_hi_u32 s22, s3, s23
	s_mul_i32 s23, s22, s13
	s_sub_i32 s3, s3, s23
	s_add_i32 s23, s22, 1
	s_sub_i32 s24, s3, s13
	s_cmp_ge_u32 s3, s13
	s_cselect_b32 s22, s23, s22
	s_cselect_b32 s3, s24, s3
	s_add_i32 s23, s22, 1
	s_cmp_ge_u32 s3, s13
	s_cselect_b32 s3, s23, s22
	s_xor_b32 s3, s3, s16
	s_sub_i32 s22, s3, s16
	s_ashr_i32 s23, s22, 31
	v_cmp_lt_i64_e64 s[24:25], s[22:23], 1
	s_and_b64 vcc, exec, s[24:25]
	s_cbranch_vccnz .LBB38_48
; %bb.27:
	v_and_b32_e32 v14, 63, v0
	v_add_co_u32_e32 v16, vcc, 32, v14
	v_addc_co_u32_e64 v17, s[24:25], 0, 0, vcc
	v_add_co_u32_e32 v18, vcc, 16, v14
	v_addc_co_u32_e64 v19, s[24:25], 0, 0, vcc
	v_add_co_u32_e32 v20, vcc, 8, v14
	v_lshrrev_b32_e32 v12, 6, v0
	v_addc_co_u32_e64 v21, s[24:25], 0, 0, vcc
	v_add_co_u32_e32 v22, vcc, 4, v14
	v_addc_co_u32_e64 v23, s[24:25], 0, 0, vcc
	v_add_co_u32_e32 v24, vcc, 2, v14
	v_mul_lo_u32 v3, s18, v12
	v_addc_co_u32_e64 v25, s[24:25], 0, 0, vcc
	v_add_co_u32_e32 v26, vcc, 1, v14
	v_lshlrev_b32_e32 v3, 2, v3
	v_lshlrev_b32_e32 v7, 2, v14
	s_movk_i32 s16, 0x100
	v_mov_b32_e32 v13, 0
	v_addc_co_u32_e64 v27, s[24:25], 0, 0, vcc
	v_add3_u32 v3, v3, v7, s16
	s_mul_i32 s16, s18, s13
	s_ashr_i32 s3, s2, 31
	v_mov_b32_e32 v15, v13
	s_lshl_b32 s16, s16, 2
	s_mov_b64 s[24:25], 0
	v_mov_b32_e32 v7, s13
	s_mov_b64 s[26:27], src_shared_base
	s_branch .LBB38_30
.LBB38_28:                              ;   in Loop: Header=BB38_30 Depth=1
	s_or_b64 exec, exec, s[30:31]
	v_mov_b32_e32 v29, s27
	flat_load_dword v28, v[28:29] glc
	s_waitcnt vmcnt(0)
.LBB38_29:                              ;   in Loop: Header=BB38_30 Depth=1
	s_or_b64 exec, exec, s[28:29]
	s_add_u32 s24, s24, 1
	s_addc_u32 s25, s25, 0
	s_cmp_eq_u64 s[24:25], s[22:23]
	v_add_u32_e32 v3, s16, v3
	s_cbranch_scc1 .LBB38_48
.LBB38_30:                              ; =>This Loop Header: Depth=1
                                        ;     Child Loop BB38_33 Depth 2
	v_mad_u64_u32 v[32:33], s[28:29], s24, v7, v[12:13]
	s_mul_i32 s26, s25, s13
	v_add_u32_e32 v33, s26, v33
	v_cmp_gt_i64_e32 vcc, s[2:3], v[32:33]
	s_and_saveexec_b64 s[28:29], vcc
	s_cbranch_execz .LBB38_29
; %bb.31:                               ;   in Loop: Header=BB38_30 Depth=1
	v_pk_mov_b32 v[34:35], s[18:19], s[18:19] op_sel:[0,1]
	v_mul_lo_u32 v31, v33, s18
	v_mul_lo_u32 v38, v32, s19
	v_mad_u64_u32 v[34:35], s[30:31], v32, s18, v[34:35]
	v_add3_u32 v35, v31, v35, v38
	v_mov_b32_e32 v30, s21
	v_cmp_gt_i64_e32 vcc, s[20:21], v[34:35]
	s_waitcnt lgkmcnt(0)
	v_mad_u64_u32 v[28:29], s[30:31], v32, s18, v[14:15]
	v_cndmask_b32_e32 v35, v30, v35, vcc
	v_mov_b32_e32 v30, s17
	v_add3_u32 v29, v31, v29, v38
	v_cndmask_b32_e32 v34, v30, v34, vcc
	v_add_co_u32_e32 v36, vcc, 64, v28
	v_addc_co_u32_e32 v37, vcc, 0, v29, vcc
	v_cmp_lt_i64_e32 vcc, v[36:37], v[34:35]
	v_lshlrev_b32_e32 v30, 2, v28
	s_and_saveexec_b64 s[30:31], vcc
	s_cbranch_execz .LBB38_34
; %bb.32:                               ;   in Loop: Header=BB38_30 Depth=1
	ds_read_b32 v33, v30
	s_mov_b64 s[34:35], 0
	v_mov_b32_e32 v29, v3
.LBB38_33:                              ;   Parent Loop BB38_30 Depth=1
                                        ; =>  This Inner Loop Header: Depth=2
	ds_read_b32 v39, v29
	v_add_co_u32_e32 v36, vcc, 64, v36
	v_addc_co_u32_e32 v37, vcc, 0, v37, vcc
	s_waitcnt lgkmcnt(1)
	v_max_f32_e32 v33, v33, v33
	v_cmp_ge_i64_e32 vcc, v[36:37], v[34:35]
	s_waitcnt lgkmcnt(0)
	v_max_f32_e32 v39, v39, v39
	v_add_u32_e32 v29, 0x100, v29
	s_or_b64 s[34:35], vcc, s[34:35]
	v_max_f32_e32 v33, v33, v39
	ds_write_b32 v30, v33
	s_andn2_b64 exec, exec, s[34:35]
	s_cbranch_execnz .LBB38_33
.LBB38_34:                              ;   in Loop: Header=BB38_30 Depth=1
	s_or_b64 exec, exec, s[30:31]
	v_mad_u64_u32 v[32:33], s[30:31], v32, s18, 0
	v_add3_u32 v29, v33, v38, v31
	v_sub_co_u32_e32 v32, vcc, v34, v32
	v_subb_co_u32_e32 v33, vcc, v35, v29, vcc
	v_cmp_gt_i64_e32 vcc, 64, v[32:33]
	v_cndmask_b32_e32 v33, 0, v33, vcc
	v_cndmask_b32_e32 v32, 64, v32, vcc
	v_cmp_lt_i64_e32 vcc, v[16:17], v[32:33]
	s_and_saveexec_b64 s[30:31], vcc
	s_cbranch_execnz .LBB38_46
; %bb.35:                               ;   in Loop: Header=BB38_30 Depth=1
	s_or_b64 exec, exec, s[30:31]
	v_cmp_lt_i64_e32 vcc, v[18:19], v[32:33]
	s_and_saveexec_b64 s[30:31], vcc
	s_cbranch_execnz .LBB38_47
.LBB38_36:                              ;   in Loop: Header=BB38_30 Depth=1
	s_or_b64 exec, exec, s[30:31]
	v_cmp_lt_i64_e32 vcc, v[20:21], v[32:33]
	s_and_saveexec_b64 s[30:31], vcc
	s_cbranch_execz .LBB38_38
.LBB38_37:                              ;   in Loop: Header=BB38_30 Depth=1
	v_mov_b32_e32 v31, s27
	v_add_u32_e32 v34, 32, v30
	v_mov_b32_e32 v35, s27
	flat_load_dword v29, v[30:31] glc
	s_waitcnt vmcnt(0)
	flat_load_dword v36, v[34:35] glc
	s_waitcnt vmcnt(0) lgkmcnt(0)
	v_max_f32_e32 v29, v29, v29
	v_max_f32_e32 v34, v36, v36
	;; [unrolled: 1-line block ×3, first 2 shown]
	flat_store_dword v[30:31], v29
	s_waitcnt vmcnt(0)
.LBB38_38:                              ;   in Loop: Header=BB38_30 Depth=1
	s_or_b64 exec, exec, s[30:31]
	v_cmp_ge_i64_e32 vcc, v[22:23], v[32:33]
	s_and_saveexec_b64 s[30:31], vcc
	s_xor_b64 s[30:31], exec, s[30:31]
; %bb.39:                               ;   in Loop: Header=BB38_30 Depth=1
                                        ; implicit-def: $vgpr30
; %bb.40:                               ;   in Loop: Header=BB38_30 Depth=1
	s_andn2_saveexec_b64 s[30:31], s[30:31]
	s_cbranch_execz .LBB38_42
; %bb.41:                               ;   in Loop: Header=BB38_30 Depth=1
	v_mov_b32_e32 v31, s27
	v_add_u32_e32 v34, 16, v30
	v_mov_b32_e32 v35, s27
	flat_load_dword v29, v[30:31] glc
	s_waitcnt vmcnt(0)
	flat_load_dword v36, v[34:35] glc
	s_waitcnt vmcnt(0) lgkmcnt(0)
	v_max_f32_e32 v29, v29, v29
	v_max_f32_e32 v34, v36, v36
	;; [unrolled: 1-line block ×3, first 2 shown]
	flat_store_dword v[30:31], v29
	s_waitcnt vmcnt(0)
.LBB38_42:                              ;   in Loop: Header=BB38_30 Depth=1
	s_or_b64 exec, exec, s[30:31]
	v_cmp_lt_i64_e32 vcc, v[24:25], v[32:33]
	v_lshlrev_b32_e32 v28, 2, v28
	s_and_saveexec_b64 s[30:31], vcc
	s_cbranch_execz .LBB38_44
; %bb.43:                               ;   in Loop: Header=BB38_30 Depth=1
	v_mov_b32_e32 v29, s27
	v_add_u32_e32 v30, 8, v28
	v_mov_b32_e32 v31, s27
	flat_load_dword v34, v[28:29] glc
	s_waitcnt vmcnt(0)
	flat_load_dword v35, v[30:31] glc
	s_waitcnt vmcnt(0) lgkmcnt(0)
	v_max_f32_e32 v30, v34, v34
	v_max_f32_e32 v31, v35, v35
	v_max_f32_e32 v30, v30, v31
	flat_store_dword v[28:29], v30
	s_waitcnt vmcnt(0)
.LBB38_44:                              ;   in Loop: Header=BB38_30 Depth=1
	s_or_b64 exec, exec, s[30:31]
	v_cmp_lt_i64_e32 vcc, v[26:27], v[32:33]
	s_and_saveexec_b64 s[30:31], vcc
	s_cbranch_execz .LBB38_28
; %bb.45:                               ;   in Loop: Header=BB38_30 Depth=1
	v_mov_b32_e32 v29, s27
	v_add_u32_e32 v30, 4, v28
	v_mov_b32_e32 v31, s27
	flat_load_dword v32, v[28:29] glc
	s_waitcnt vmcnt(0)
	flat_load_dword v33, v[30:31] glc
	s_waitcnt vmcnt(0) lgkmcnt(0)
	v_max_f32_e32 v30, v32, v32
	v_max_f32_e32 v31, v33, v33
	;; [unrolled: 1-line block ×3, first 2 shown]
	flat_store_dword v[28:29], v30
	s_waitcnt vmcnt(0)
	s_branch .LBB38_28
.LBB38_46:                              ;   in Loop: Header=BB38_30 Depth=1
	v_mov_b32_e32 v31, s27
	v_add_u32_e32 v34, 0x80, v30
	v_mov_b32_e32 v35, s27
	flat_load_dword v29, v[30:31] glc
	s_waitcnt vmcnt(0)
	flat_load_dword v36, v[34:35] glc
	s_waitcnt vmcnt(0) lgkmcnt(0)
	v_max_f32_e32 v29, v29, v29
	v_max_f32_e32 v34, v36, v36
	;; [unrolled: 1-line block ×3, first 2 shown]
	flat_store_dword v[30:31], v29
	s_waitcnt vmcnt(0)
	s_or_b64 exec, exec, s[30:31]
	v_cmp_lt_i64_e32 vcc, v[18:19], v[32:33]
	s_and_saveexec_b64 s[30:31], vcc
	s_cbranch_execz .LBB38_36
.LBB38_47:                              ;   in Loop: Header=BB38_30 Depth=1
	v_mov_b32_e32 v31, s27
	v_add_u32_e32 v34, 64, v30
	v_mov_b32_e32 v35, s27
	flat_load_dword v29, v[30:31] glc
	s_waitcnt vmcnt(0)
	flat_load_dword v36, v[34:35] glc
	s_waitcnt vmcnt(0) lgkmcnt(0)
	v_max_f32_e32 v29, v29, v29
	v_max_f32_e32 v34, v36, v36
	;; [unrolled: 1-line block ×3, first 2 shown]
	flat_store_dword v[30:31], v29
	s_waitcnt vmcnt(0)
	s_or_b64 exec, exec, s[30:31]
	v_cmp_lt_i64_e32 vcc, v[20:21], v[32:33]
	s_and_saveexec_b64 s[30:31], vcc
	s_cbranch_execnz .LBB38_37
	s_branch .LBB38_38
.LBB38_48:
	s_load_dwordx2 s[18:19], s[4:5], 0x40
	v_cmp_eq_u32_e32 vcc, 0, v6
	v_cmp_lt_i64_e64 s[2:3], v[8:9], v[10:11]
	s_and_b64 s[2:3], vcc, s[2:3]
	s_waitcnt lgkmcnt(0)
	s_barrier
	s_and_saveexec_b64 s[22:23], s[2:3]
	s_cbranch_execz .LBB38_55
; %bb.49:
	s_load_dwordx2 s[2:3], s[4:5], 0x20
	ds_read_b32 v1, v1
	s_waitcnt lgkmcnt(0)
	s_cmp_eq_u64 s[2:3], 0
	s_cbranch_scc1 .LBB38_51
; %bb.50:
	s_load_dword s2, s[2:3], 0x0
	v_max_f32_e32 v1, v1, v1
	s_waitcnt lgkmcnt(0)
	v_max_f32_e64 v3, s2, s2
	v_min_f32_e32 v1, v1, v3
.LBB38_51:
	s_add_u32 s3, s18, s46
	s_addc_u32 s4, s19, 0
	s_add_u32 s24, s3, -1
	s_addc_u32 s25, s4, -1
	s_or_b64 s[4:5], s[24:25], s[18:19]
	s_mov_b32 s2, 0
	s_mov_b32 s3, s5
	s_cmp_lg_u64 s[2:3], 0
	s_mov_b64 s[26:27], -1
	s_cbranch_scc0 .LBB38_68
; %bb.52:
	s_ashr_i32 s2, s19, 31
	s_add_u32 s4, s18, s2
	s_mov_b32 s3, s2
	s_addc_u32 s5, s19, s2
	s_xor_b64 s[28:29], s[4:5], s[2:3]
	v_cvt_f32_u32_e32 v3, s28
	v_cvt_f32_u32_e32 v6, s29
	s_sub_u32 s2, 0, s28
	s_subb_u32 s3, 0, s29
	v_madmk_f32 v3, v6, 0x4f800000, v3
	v_rcp_f32_e32 v3, v3
	v_mul_f32_e32 v3, 0x5f7ffffc, v3
	v_mul_f32_e32 v6, 0x2f800000, v3
	v_trunc_f32_e32 v6, v6
	v_madmk_f32 v3, v6, 0xcf800000, v3
	v_cvt_u32_f32_e32 v6, v6
	v_cvt_u32_f32_e32 v3, v3
	v_readfirstlane_b32 s4, v6
	v_readfirstlane_b32 s5, v3
	s_mul_i32 s13, s2, s4
	s_mul_hi_u32 s20, s2, s5
	s_mul_i32 s16, s3, s5
	s_add_i32 s13, s20, s13
	s_add_i32 s13, s13, s16
	s_mul_i32 s30, s2, s5
	s_mul_hi_u32 s16, s5, s13
	s_mul_i32 s20, s5, s13
	s_mul_hi_u32 s5, s5, s30
	s_add_u32 s5, s5, s20
	s_addc_u32 s16, 0, s16
	s_mul_hi_u32 s31, s4, s30
	s_mul_i32 s30, s4, s30
	s_add_u32 s5, s5, s30
	s_mul_hi_u32 s20, s4, s13
	s_addc_u32 s5, s16, s31
	s_addc_u32 s16, s20, 0
	s_mul_i32 s13, s4, s13
	s_add_u32 s5, s5, s13
	s_addc_u32 s13, 0, s16
	v_add_co_u32_e32 v3, vcc, s5, v3
	s_cmp_lg_u64 vcc, 0
	s_addc_u32 s4, s4, s13
	v_readfirstlane_b32 s13, v3
	s_mul_i32 s5, s2, s4
	s_mul_hi_u32 s16, s2, s13
	s_add_i32 s5, s16, s5
	s_mul_i32 s3, s3, s13
	s_add_i32 s5, s5, s3
	s_mul_i32 s2, s2, s13
	s_mul_hi_u32 s16, s4, s2
	s_mul_i32 s20, s4, s2
	s_mul_i32 s31, s13, s5
	s_mul_hi_u32 s2, s13, s2
	s_mul_hi_u32 s30, s13, s5
	s_add_u32 s2, s2, s31
	s_addc_u32 s13, 0, s30
	s_add_u32 s2, s2, s20
	s_mul_hi_u32 s3, s4, s5
	s_addc_u32 s2, s13, s16
	s_addc_u32 s3, s3, 0
	s_mul_i32 s5, s4, s5
	s_add_u32 s2, s2, s5
	s_addc_u32 s3, 0, s3
	v_add_co_u32_e32 v3, vcc, s2, v3
	s_cmp_lg_u64 vcc, 0
	s_addc_u32 s4, s4, s3
	s_ashr_i32 s30, s25, 31
	s_add_u32 s2, s24, s30
	s_mov_b32 s31, s30
	s_addc_u32 s3, s25, s30
	s_xor_b64 s[34:35], s[2:3], s[30:31]
	v_readfirstlane_b32 s5, v3
	s_mul_i32 s3, s34, s4
	s_mul_hi_u32 s13, s34, s5
	s_mul_hi_u32 s2, s34, s4
	s_add_u32 s3, s13, s3
	s_addc_u32 s2, 0, s2
	s_mul_hi_u32 s16, s35, s5
	s_mul_i32 s5, s35, s5
	s_add_u32 s3, s3, s5
	s_mul_hi_u32 s13, s35, s4
	s_addc_u32 s2, s2, s16
	s_addc_u32 s3, s13, 0
	s_mul_i32 s4, s35, s4
	s_add_u32 s2, s2, s4
	s_addc_u32 s3, 0, s3
	s_mul_i32 s3, s28, s3
	s_mul_hi_u32 s4, s28, s2
	s_add_i32 s3, s4, s3
	s_mul_i32 s4, s29, s2
	s_mul_i32 s2, s28, s2
	s_add_i32 s13, s3, s4
	v_mov_b32_e32 v3, s2
	s_sub_i32 s3, s35, s13
	v_sub_co_u32_e32 v3, vcc, s34, v3
	s_cmp_lg_u64 vcc, 0
	s_subb_u32 s16, s3, s29
	v_subrev_co_u32_e64 v6, s[2:3], s28, v3
	s_cmp_lg_u64 s[2:3], 0
	s_subb_u32 s20, s16, 0
	s_cmp_ge_u32 s20, s29
	s_cselect_b32 s31, -1, 0
	v_cmp_le_u32_e64 s[4:5], s28, v6
	s_cmp_eq_u32 s20, s29
	v_cndmask_b32_e64 v7, 0, -1, s[4:5]
	v_mov_b32_e32 v8, s31
	s_cselect_b64 s[4:5], -1, 0
	s_cmp_lg_u64 s[2:3], 0
	v_cndmask_b32_e64 v7, v8, v7, s[4:5]
	s_subb_u32 s4, s16, s29
	v_subrev_co_u32_e64 v8, s[2:3], s28, v6
	s_cmp_lg_u64 s[2:3], 0
	s_subb_u32 s4, s4, 0
	v_cmp_ne_u32_e64 s[2:3], 0, v7
	v_cndmask_b32_e64 v6, v6, v8, s[2:3]
	v_mov_b32_e32 v7, s20
	v_mov_b32_e32 v8, s4
	s_cmp_lg_u64 vcc, 0
	v_cndmask_b32_e64 v7, v7, v8, s[2:3]
	s_subb_u32 s2, s35, s13
	s_cmp_ge_u32 s2, s29
	s_cselect_b32 s3, -1, 0
	v_cmp_le_u32_e32 vcc, s28, v3
	s_cmp_eq_u32 s2, s29
	v_cndmask_b32_e64 v8, 0, -1, vcc
	v_mov_b32_e32 v9, s3
	s_cselect_b64 vcc, -1, 0
	v_cndmask_b32_e32 v8, v9, v8, vcc
	v_cmp_ne_u32_e32 vcc, 0, v8
	v_mov_b32_e32 v9, s2
	v_cndmask_b32_e32 v3, v3, v6, vcc
	v_cndmask_b32_e32 v7, v9, v7, vcc
	v_xor_b32_e32 v3, s30, v3
	v_xor_b32_e32 v7, s30, v7
	v_mov_b32_e32 v8, s30
	v_subrev_co_u32_e32 v6, vcc, s30, v3
	v_subb_co_u32_e32 v7, vcc, v7, v8, vcc
	s_cbranch_execnz .LBB38_54
.LBB38_53:
	v_cvt_f32_u32_e32 v3, s18
	s_sub_i32 s2, 0, s18
	v_mov_b32_e32 v7, 0
	v_rcp_iflag_f32_e32 v3, v3
	v_mul_f32_e32 v3, 0x4f7ffffe, v3
	v_cvt_u32_f32_e32 v3, v3
	v_mul_lo_u32 v6, s2, v3
	v_mul_hi_u32 v6, v3, v6
	v_add_u32_e32 v3, v3, v6
	v_mul_hi_u32 v3, s24, v3
	v_mul_lo_u32 v3, v3, s18
	v_sub_u32_e32 v3, s24, v3
	v_subrev_u32_e32 v6, s18, v3
	v_cmp_le_u32_e32 vcc, s18, v3
	v_cndmask_b32_e32 v3, v3, v6, vcc
	v_subrev_u32_e32 v6, s18, v3
	v_cmp_le_u32_e32 vcc, s18, v3
	v_cndmask_b32_e32 v6, v3, v6, vcc
.LBB38_54:
	s_mov_b32 s4, 0x42fe0000
	v_div_scale_f32 v3, s[2:3], s4, s4, v1
	v_rcp_f32_e32 v8, v3
	v_div_scale_f32 v9, vcc, v1, s4, v1
	v_fma_f32 v10, -v3, v8, 1.0
	v_fmac_f32_e32 v8, v10, v8
	v_mul_f32_e32 v10, v9, v8
	v_fma_f32 v11, -v3, v10, v9
	v_fmac_f32_e32 v10, v11, v8
	v_fma_f32 v3, -v3, v10, v9
	v_div_fmas_f32 v3, v3, v8, v10
	v_div_fixup_f32 v1, v3, s4, v1
	v_mov_b32_e32 v3, s25
	v_sub_co_u32_e32 v6, vcc, s24, v6
	v_subb_co_u32_e32 v3, vcc, v3, v7, vcc
	v_mul_lo_u32 v3, v3, v4
	v_mul_lo_u32 v7, v6, v5
	v_mad_u64_u32 v[4:5], s[2:3], v6, v4, 0
	s_lshl_b64 s[2:3], s[6:7], 2
	v_add3_u32 v5, v5, v7, v3
	s_add_u32 s2, s2, s10
	v_lshlrev_b64 v[4:5], 2, v[4:5]
	s_addc_u32 s3, s3, s11
	v_mov_b32_e32 v3, s3
	v_add_co_u32_e32 v4, vcc, s2, v4
	v_max_f32_e32 v1, 0x34000000, v1
	v_addc_co_u32_e32 v5, vcc, v3, v5, vcc
	global_store_dword v[4:5], v1, off
.LBB38_55:
	s_or_b64 exec, exec, s[22:23]
	s_barrier
	s_and_saveexec_b64 s[2:3], s[0:1]
	s_cbranch_execz .LBB38_67
; %bb.56:
	s_add_u32 s1, s18, s46
	s_addc_u32 s2, s19, 0
	s_add_u32 s4, s1, -1
	s_addc_u32 s5, s2, -1
	s_or_b64 s[2:3], s[4:5], s[18:19]
	s_mov_b32 s0, 0
	s_mov_b32 s1, s3
	s_cmp_lg_u64 s[0:1], 0
	s_mov_b64 s[22:23], -1
	s_cbranch_scc0 .LBB38_69
; %bb.57:
	s_ashr_i32 s0, s19, 31
	s_add_u32 s2, s18, s0
	s_mov_b32 s1, s0
	s_addc_u32 s3, s19, s0
	s_xor_b64 s[24:25], s[2:3], s[0:1]
	v_cvt_f32_u32_e32 v1, s24
	v_cvt_f32_u32_e32 v3, s25
	s_sub_u32 s0, 0, s24
	s_subb_u32 s1, 0, s25
	v_madmk_f32 v1, v3, 0x4f800000, v1
	v_rcp_f32_e32 v1, v1
	v_mul_f32_e32 v1, 0x5f7ffffc, v1
	v_mul_f32_e32 v3, 0x2f800000, v1
	v_trunc_f32_e32 v3, v3
	v_madmk_f32 v1, v3, 0xcf800000, v1
	v_cvt_u32_f32_e32 v3, v3
	v_cvt_u32_f32_e32 v1, v1
	v_readfirstlane_b32 s2, v3
	v_readfirstlane_b32 s3, v1
	s_mul_i32 s13, s0, s2
	s_mul_hi_u32 s19, s0, s3
	s_mul_i32 s16, s1, s3
	s_add_i32 s13, s19, s13
	s_add_i32 s13, s13, s16
	s_mul_i32 s20, s0, s3
	s_mul_hi_u32 s16, s3, s13
	s_mul_i32 s19, s3, s13
	s_mul_hi_u32 s3, s3, s20
	s_add_u32 s3, s3, s19
	s_addc_u32 s16, 0, s16
	s_mul_hi_u32 s26, s2, s20
	s_mul_i32 s20, s2, s20
	s_add_u32 s3, s3, s20
	s_mul_hi_u32 s19, s2, s13
	s_addc_u32 s3, s16, s26
	s_addc_u32 s16, s19, 0
	s_mul_i32 s13, s2, s13
	s_add_u32 s3, s3, s13
	s_addc_u32 s13, 0, s16
	v_add_co_u32_e32 v1, vcc, s3, v1
	s_cmp_lg_u64 vcc, 0
	s_addc_u32 s2, s2, s13
	v_readfirstlane_b32 s13, v1
	s_mul_i32 s3, s0, s2
	s_mul_hi_u32 s16, s0, s13
	s_add_i32 s3, s16, s3
	s_mul_i32 s1, s1, s13
	s_add_i32 s3, s3, s1
	s_mul_i32 s0, s0, s13
	s_mul_hi_u32 s16, s2, s0
	s_mul_i32 s19, s2, s0
	s_mul_i32 s26, s13, s3
	s_mul_hi_u32 s0, s13, s0
	s_mul_hi_u32 s20, s13, s3
	s_add_u32 s0, s0, s26
	s_addc_u32 s13, 0, s20
	s_add_u32 s0, s0, s19
	s_mul_hi_u32 s1, s2, s3
	s_addc_u32 s0, s13, s16
	s_addc_u32 s1, s1, 0
	s_mul_i32 s3, s2, s3
	s_add_u32 s0, s0, s3
	s_addc_u32 s1, 0, s1
	v_add_co_u32_e32 v1, vcc, s0, v1
	s_cmp_lg_u64 vcc, 0
	s_addc_u32 s2, s2, s1
	s_ashr_i32 s26, s5, 31
	s_add_u32 s0, s4, s26
	s_mov_b32 s27, s26
	s_addc_u32 s1, s5, s26
	s_xor_b64 s[28:29], s[0:1], s[26:27]
	v_readfirstlane_b32 s3, v1
	s_mul_i32 s1, s28, s2
	s_mul_hi_u32 s13, s28, s3
	s_mul_hi_u32 s0, s28, s2
	s_add_u32 s1, s13, s1
	s_addc_u32 s0, 0, s0
	s_mul_hi_u32 s16, s29, s3
	s_mul_i32 s3, s29, s3
	s_add_u32 s1, s1, s3
	s_mul_hi_u32 s13, s29, s2
	s_addc_u32 s0, s0, s16
	s_addc_u32 s1, s13, 0
	s_mul_i32 s2, s29, s2
	s_add_u32 s0, s0, s2
	s_addc_u32 s1, 0, s1
	s_mul_i32 s1, s24, s1
	s_mul_hi_u32 s2, s24, s0
	s_add_i32 s1, s2, s1
	s_mul_i32 s2, s25, s0
	s_mul_i32 s0, s24, s0
	s_add_i32 s13, s1, s2
	v_mov_b32_e32 v1, s0
	s_sub_i32 s1, s29, s13
	v_sub_co_u32_e32 v1, vcc, s28, v1
	s_cmp_lg_u64 vcc, 0
	s_subb_u32 s16, s1, s25
	v_subrev_co_u32_e64 v3, s[0:1], s24, v1
	s_cmp_lg_u64 s[0:1], 0
	s_subb_u32 s19, s16, 0
	s_cmp_ge_u32 s19, s25
	s_cselect_b32 s20, -1, 0
	v_cmp_le_u32_e64 s[2:3], s24, v3
	s_cmp_eq_u32 s19, s25
	v_cndmask_b32_e64 v4, 0, -1, s[2:3]
	v_mov_b32_e32 v5, s20
	s_cselect_b64 s[2:3], -1, 0
	s_cmp_lg_u64 s[0:1], 0
	v_cndmask_b32_e64 v4, v5, v4, s[2:3]
	s_subb_u32 s2, s16, s25
	v_subrev_co_u32_e64 v5, s[0:1], s24, v3
	s_cmp_lg_u64 s[0:1], 0
	s_subb_u32 s2, s2, 0
	v_cmp_ne_u32_e64 s[0:1], 0, v4
	v_cndmask_b32_e64 v3, v3, v5, s[0:1]
	v_mov_b32_e32 v4, s19
	v_mov_b32_e32 v5, s2
	s_cmp_lg_u64 vcc, 0
	v_cndmask_b32_e64 v4, v4, v5, s[0:1]
	s_subb_u32 s0, s29, s13
	s_cmp_ge_u32 s0, s25
	s_cselect_b32 s1, -1, 0
	v_cmp_le_u32_e32 vcc, s24, v1
	s_cmp_eq_u32 s0, s25
	v_cndmask_b32_e64 v5, 0, -1, vcc
	v_mov_b32_e32 v6, s1
	s_cselect_b64 vcc, -1, 0
	v_cndmask_b32_e32 v5, v6, v5, vcc
	v_cmp_ne_u32_e32 vcc, 0, v5
	v_mov_b32_e32 v6, s0
	v_cndmask_b32_e32 v1, v1, v3, vcc
	v_cndmask_b32_e32 v4, v6, v4, vcc
	v_xor_b32_e32 v1, s26, v1
	v_xor_b32_e32 v3, s26, v4
	v_mov_b32_e32 v5, s26
	v_subrev_co_u32_e32 v4, vcc, s26, v1
	v_subb_co_u32_e32 v5, vcc, v3, v5, vcc
	s_cbranch_execnz .LBB38_59
.LBB38_58:
	v_cvt_f32_u32_e32 v1, s18
	s_sub_i32 s0, 0, s18
	v_mov_b32_e32 v5, 0
	v_rcp_iflag_f32_e32 v1, v1
	v_mul_f32_e32 v1, 0x4f7ffffe, v1
	v_cvt_u32_f32_e32 v1, v1
	v_mul_lo_u32 v3, s0, v1
	v_mul_hi_u32 v3, v1, v3
	v_add_u32_e32 v1, v1, v3
	v_mul_hi_u32 v1, s4, v1
	v_mul_lo_u32 v1, v1, s18
	v_sub_u32_e32 v1, s4, v1
	v_subrev_u32_e32 v3, s18, v1
	v_cmp_le_u32_e32 vcc, s18, v1
	v_cndmask_b32_e32 v1, v1, v3, vcc
	v_subrev_u32_e32 v3, s18, v1
	v_cmp_le_u32_e32 vcc, s18, v1
	v_cndmask_b32_e32 v4, v1, v3, vcc
.LBB38_59:
	s_mul_i32 s0, s21, s6
	s_mul_hi_u32 s1, s17, s6
	s_add_i32 s1, s1, s0
	s_mul_i32 s0, s17, s6
	s_add_u32 s13, s8, s0
	s_addc_u32 s18, s9, s1
	s_lshl_b64 s[0:1], s[6:7], 2
	s_add_u32 s19, s10, s0
	s_addc_u32 s20, s11, s1
	v_mov_b32_e32 v1, s5
	v_sub_co_u32_e32 v8, vcc, s4, v4
	v_subb_co_u32_e32 v9, vcc, v1, v5, vcc
	v_mov_b32_e32 v3, v2
	s_mul_i32 s21, s45, 3
	s_lshl_b32 s22, s45, 1
	s_mov_b64 s[2:3], 0
	v_mov_b32_e32 v1, 0
	v_mov_b32_e32 v10, s44
	v_mov_b32_e32 v11, s15
	v_mov_b32_e32 v12, s20
	s_mov_b32 s23, 0x42fe0000
	v_mov_b32_e32 v13, 0x42fe0000
	s_mov_b32 s24, 0xc3000000
	v_mov_b32_e32 v14, 0xc3000000
	v_mov_b32_e32 v15, s18
	;; [unrolled: 1-line block ×3, first 2 shown]
                                        ; implicit-def: $sgpr4_sgpr5
	s_branch .LBB38_63
.LBB38_60:                              ;   in Loop: Header=BB38_63 Depth=1
	s_or_b64 exec, exec, s[10:11]
	s_orn2_b64 s[10:11], s[16:17], exec
.LBB38_61:                              ;   in Loop: Header=BB38_63 Depth=1
	s_or_b64 exec, exec, s[8:9]
	s_andn2_b64 s[0:1], s[4:5], exec
	s_and_b64 s[4:5], s[10:11], exec
	s_or_b64 s[4:5], s[0:1], s[4:5]
.LBB38_62:                              ;   in Loop: Header=BB38_63 Depth=1
	s_or_b64 exec, exec, s[6:7]
	s_and_b64 s[0:1], exec, s[4:5]
	s_or_b64 s[2:3], s[0:1], s[2:3]
	s_andn2_b64 exec, exec, s[2:3]
	s_cbranch_execz .LBB38_67
.LBB38_63:                              ; =>This Inner Loop Header: Depth=1
	v_lshlrev_b64 v[4:5], 4, v[0:1]
	v_add_co_u32_e32 v6, vcc, s33, v4
	v_addc_co_u32_e32 v7, vcc, v10, v5, vcc
	v_add_co_u32_e32 v4, vcc, s14, v4
	global_load_dwordx4 v[18:21], v[6:7], off
	v_addc_co_u32_e32 v5, vcc, v11, v5, vcc
	v_bfe_u32 v7, v0, 4, 26
	global_load_dwordx4 v[22:25], v[4:5], off
	v_mad_u64_u32 v[4:5], s[0:1], v8, v7, 0
	v_mov_b32_e32 v6, v5
	v_mad_u64_u32 v[6:7], s[0:1], v9, v7, v[6:7]
	v_mov_b32_e32 v5, v6
	v_lshlrev_b64 v[4:5], 2, v[4:5]
	v_add_co_u32_e32 v4, vcc, s19, v4
	v_addc_co_u32_e32 v5, vcc, v12, v5, vcc
	global_load_dword v5, v[4:5], off
	v_lshlrev_b64 v[6:7], 2, v[0:1]
	v_add_co_u32_e32 v6, vcc, s13, v6
	v_addc_co_u32_e32 v7, vcc, v15, v7, vcc
	v_add_u32_e32 v4, s45, v0
	v_cmp_gt_u32_e64 s[0:1], s12, v4
	s_or_b64 s[4:5], s[4:5], exec
	s_waitcnt vmcnt(2)
	v_mul_f32_e32 v17, v2, v18
	v_mul_f32_e32 v26, v2, v19
	v_pk_mul_f32 v[18:19], v[2:3], v[20:21]
	s_waitcnt vmcnt(1)
	v_mul_f32_e32 v17, v17, v22
	v_pk_mul_f32 v[18:19], v[18:19], v[24:25]
	v_mul_f32_e32 v21, v26, v23
	s_waitcnt vmcnt(0)
	v_div_scale_f32 v20, s[6:7], v5, v5, 1.0
	v_rcp_f32_e32 v22, v20
	v_div_scale_f32 v23, vcc, 1.0, v5, 1.0
	v_fma_f32 v24, -v20, v22, 1.0
	v_fmac_f32_e32 v22, v24, v22
	v_mul_f32_e32 v24, v23, v22
	v_fma_f32 v25, -v20, v24, v23
	v_fmac_f32_e32 v24, v25, v22
	v_fma_f32 v20, -v20, v24, v23
	v_div_fmas_f32 v20, v20, v22, v24
	v_div_fixup_f32 v20, v20, v5, 1.0
	v_mul_f32_e32 v5, v17, v20
	v_mul_f32_e32 v17, v21, v20
	v_rndne_f32_e32 v5, v5
	v_pk_mul_f32 v[18:19], v[18:19], v[20:21] op_sel_hi:[1,0]
	v_rndne_f32_e32 v17, v17
	v_cmp_nlt_f32_e32 vcc, s23, v5
	v_rndne_f32_e32 v19, v19
	v_cndmask_b32_e32 v20, v13, v5, vcc
	v_cmp_nlt_f32_e32 vcc, s23, v17
	v_rndne_f32_e32 v18, v18
	v_cndmask_b32_e32 v21, v13, v17, vcc
	v_cmp_nlt_f32_e32 vcc, s23, v19
	v_cndmask_b32_e32 v22, v13, v19, vcc
	v_cmp_nlt_f32_e32 vcc, s23, v18
	v_cndmask_b32_e32 v23, v13, v18, vcc
	v_cmp_ngt_f32_e32 vcc, s24, v5
	v_cndmask_b32_e32 v5, v14, v20, vcc
	v_cmp_ngt_f32_e32 vcc, s24, v17
	;; [unrolled: 2-line block ×4, first 2 shown]
	v_cvt_i32_f32_e32 v18, v18
	v_cndmask_b32_e32 v19, v14, v22, vcc
	v_cvt_i32_f32_e32 v17, v17
	v_cvt_i32_f32_e32 v5, v5
	;; [unrolled: 1-line block ×3, first 2 shown]
	v_and_b32_e32 v18, 0xff, v18
	v_lshlrev_b32_e32 v18, 16, v18
	v_lshlrev_b32_sdwa v17, v16, v17 dst_sel:DWORD dst_unused:UNUSED_PAD src0_sel:DWORD src1_sel:BYTE_0
	v_and_b32_e32 v5, 0xff, v5
	v_lshl_or_b32 v18, v19, 24, v18
	v_or3_b32 v5, v18, v17, v5
	global_store_dword v[6:7], v5, off
	s_and_saveexec_b64 s[6:7], s[0:1]
	s_cbranch_execz .LBB38_62
; %bb.64:                               ;   in Loop: Header=BB38_63 Depth=1
	v_mov_b32_e32 v5, v1
	v_lshlrev_b64 v[6:7], 4, v[4:5]
	v_add_co_u32_e32 v18, vcc, s33, v6
	v_addc_co_u32_e32 v19, vcc, v10, v7, vcc
	v_add_co_u32_e32 v6, vcc, s14, v6
	v_addc_co_u32_e32 v7, vcc, v11, v7, vcc
	v_bfe_u32 v17, v4, 4, 26
	global_load_dwordx4 v[22:25], v[6:7], off
	v_mad_u64_u32 v[6:7], s[0:1], v8, v17, 0
	v_mov_b32_e32 v26, v7
	v_mad_u64_u32 v[26:27], s[0:1], v9, v17, v[26:27]
	v_mov_b32_e32 v7, v26
	v_lshlrev_b64 v[6:7], 2, v[6:7]
	v_add_co_u32_e32 v6, vcc, s19, v6
	v_addc_co_u32_e32 v7, vcc, v12, v7, vcc
	global_load_dwordx4 v[18:21], v[18:19], off
	v_lshlrev_b64 v[26:27], 2, v[4:5]
	global_load_dword v7, v[6:7], off
	v_add_co_u32_e32 v26, vcc, s13, v26
	v_addc_co_u32_e32 v27, vcc, v15, v27, vcc
	v_add_u32_e32 v6, s22, v0
	v_cmp_gt_u32_e64 s[0:1], s12, v6
	s_mov_b64 s[10:11], -1
	s_waitcnt vmcnt(1)
	v_mul_f32_e32 v5, v2, v18
	v_mul_f32_e32 v17, v2, v19
	v_pk_mul_f32 v[18:19], v[2:3], v[20:21]
	s_waitcnt vmcnt(0)
	v_div_scale_f32 v20, s[8:9], v7, v7, 1.0
	v_rcp_f32_e32 v21, v20
	v_mul_f32_e32 v17, v17, v23
	v_mul_f32_e32 v5, v5, v22
	v_div_scale_f32 v22, vcc, 1.0, v7, 1.0
	v_fma_f32 v23, -v20, v21, 1.0
	v_fmac_f32_e32 v21, v23, v21
	v_mul_f32_e32 v23, v22, v21
	v_pk_mul_f32 v[18:19], v[18:19], v[24:25]
	v_fma_f32 v24, -v20, v23, v22
	v_fmac_f32_e32 v23, v24, v21
	v_fma_f32 v20, -v20, v23, v22
	v_div_fmas_f32 v20, v20, v21, v23
	v_div_fixup_f32 v20, v20, v7, 1.0
	v_mul_f32_e32 v5, v5, v20
	v_mul_f32_e32 v7, v17, v20
	v_rndne_f32_e32 v5, v5
	v_pk_mul_f32 v[18:19], v[18:19], v[20:21] op_sel_hi:[1,0]
	v_rndne_f32_e32 v7, v7
	v_cmp_nlt_f32_e32 vcc, s23, v5
	v_rndne_f32_e32 v17, v18
	v_rndne_f32_e32 v18, v19
	v_cndmask_b32_e32 v19, v13, v5, vcc
	v_cmp_nlt_f32_e32 vcc, s23, v7
	v_cndmask_b32_e32 v20, v13, v7, vcc
	v_cmp_nlt_f32_e32 vcc, s23, v18
	;; [unrolled: 2-line block ×3, first 2 shown]
	v_cndmask_b32_e32 v22, v13, v17, vcc
	v_cmp_ngt_f32_e32 vcc, s24, v5
	v_cndmask_b32_e32 v5, v14, v19, vcc
	v_cmp_ngt_f32_e32 vcc, s24, v7
	;; [unrolled: 2-line block ×4, first 2 shown]
	v_cvt_i32_f32_e32 v17, v17
	v_cndmask_b32_e32 v18, v14, v21, vcc
	v_cvt_i32_f32_e32 v7, v7
	v_cvt_i32_f32_e32 v5, v5
	;; [unrolled: 1-line block ×3, first 2 shown]
	v_and_b32_e32 v17, 0xff, v17
	v_lshlrev_b32_e32 v17, 16, v17
	v_lshlrev_b32_sdwa v7, v16, v7 dst_sel:DWORD dst_unused:UNUSED_PAD src0_sel:DWORD src1_sel:BYTE_0
	v_and_b32_e32 v5, 0xff, v5
	v_lshl_or_b32 v17, v18, 24, v17
	v_or3_b32 v5, v17, v7, v5
	global_store_dword v[26:27], v5, off
	s_and_saveexec_b64 s[8:9], s[0:1]
	s_cbranch_execz .LBB38_61
; %bb.65:                               ;   in Loop: Header=BB38_63 Depth=1
	v_mov_b32_e32 v7, v1
	v_lshlrev_b64 v[22:23], 4, v[6:7]
	v_mov_b32_e32 v5, s44
	v_add_co_u32_e32 v18, vcc, s33, v22
	v_addc_co_u32_e32 v19, vcc, v5, v23, vcc
	v_mov_b32_e32 v5, s15
	v_add_co_u32_e32 v22, vcc, s14, v22
	v_addc_co_u32_e32 v23, vcc, v5, v23, vcc
	v_bfe_u32 v5, v6, 4, 26
	v_mad_u64_u32 v[26:27], s[0:1], v8, v5, 0
	v_mov_b32_e32 v28, v27
	v_mad_u64_u32 v[28:29], s[0:1], v9, v5, v[28:29]
	v_mov_b32_e32 v27, v28
	v_lshlrev_b64 v[26:27], 2, v[26:27]
	v_mov_b32_e32 v5, s20
	v_add_co_u32_e32 v26, vcc, s19, v26
	v_addc_co_u32_e32 v27, vcc, v5, v27, vcc
	global_load_dwordx4 v[18:21], v[18:19], off
	v_lshlrev_b64 v[6:7], 2, v[6:7]
	global_load_dword v5, v[26:27], off
	v_mov_b32_e32 v17, s18
	global_load_dwordx4 v[22:25], v[22:23], off
	v_add_co_u32_e32 v6, vcc, s13, v6
	v_addc_co_u32_e32 v7, vcc, v17, v7, vcc
	v_add_u32_e32 v0, s21, v0
	v_cmp_gt_u32_e64 s[0:1], s12, v0
	s_mov_b64 s[16:17], -1
	s_waitcnt vmcnt(2)
	v_mul_f32_e32 v17, v2, v18
	v_mul_f32_e32 v26, v2, v19
	v_pk_mul_f32 v[18:19], v[2:3], v[20:21]
	s_waitcnt vmcnt(1)
	v_div_scale_f32 v20, s[10:11], v5, v5, 1.0
	s_waitcnt vmcnt(0)
	v_mul_f32_e32 v17, v17, v22
	v_rcp_f32_e32 v22, v20
	v_pk_mul_f32 v[18:19], v[18:19], v[24:25]
	v_mul_f32_e32 v21, v26, v23
	v_div_scale_f32 v23, vcc, 1.0, v5, 1.0
	v_fma_f32 v24, -v20, v22, 1.0
	v_fmac_f32_e32 v22, v24, v22
	v_mul_f32_e32 v24, v23, v22
	v_fma_f32 v25, -v20, v24, v23
	v_fmac_f32_e32 v24, v25, v22
	v_fma_f32 v20, -v20, v24, v23
	v_div_fmas_f32 v20, v20, v22, v24
	v_div_fixup_f32 v20, v20, v5, 1.0
	v_mul_f32_e32 v5, v17, v20
	v_mul_f32_e32 v17, v21, v20
	v_rndne_f32_e32 v5, v5
	v_pk_mul_f32 v[18:19], v[18:19], v[20:21] op_sel_hi:[1,0]
	v_rndne_f32_e32 v17, v17
	v_cmp_nlt_f32_e32 vcc, s23, v5
	v_rndne_f32_e32 v19, v19
	v_cndmask_b32_e32 v20, v13, v5, vcc
	v_cmp_nlt_f32_e32 vcc, s23, v17
	v_rndne_f32_e32 v18, v18
	v_cndmask_b32_e32 v21, v13, v17, vcc
	v_cmp_nlt_f32_e32 vcc, s23, v19
	v_cndmask_b32_e32 v22, v13, v19, vcc
	v_cmp_nlt_f32_e32 vcc, s23, v18
	v_cndmask_b32_e32 v23, v13, v18, vcc
	v_cmp_ngt_f32_e32 vcc, s24, v5
	v_cndmask_b32_e32 v5, v14, v20, vcc
	v_cmp_ngt_f32_e32 vcc, s24, v17
	;; [unrolled: 2-line block ×4, first 2 shown]
	v_cvt_i32_f32_e32 v18, v18
	v_cndmask_b32_e32 v19, v14, v22, vcc
	v_cvt_i32_f32_e32 v17, v17
	v_cvt_i32_f32_e32 v5, v5
	;; [unrolled: 1-line block ×3, first 2 shown]
	v_and_b32_e32 v18, 0xff, v18
	v_lshlrev_b32_e32 v18, 16, v18
	v_lshlrev_b32_sdwa v17, v16, v17 dst_sel:DWORD dst_unused:UNUSED_PAD src0_sel:DWORD src1_sel:BYTE_0
	v_and_b32_e32 v5, 0xff, v5
	v_lshl_or_b32 v18, v19, 24, v18
	v_or3_b32 v5, v18, v17, v5
	global_store_dword v[6:7], v5, off
	s_and_saveexec_b64 s[10:11], s[0:1]
	s_cbranch_execz .LBB38_60
; %bb.66:                               ;   in Loop: Header=BB38_63 Depth=1
	v_lshlrev_b64 v[6:7], 4, v[0:1]
	v_mov_b32_e32 v5, s44
	v_add_co_u32_e32 v18, vcc, s33, v6
	v_addc_co_u32_e32 v19, vcc, v5, v7, vcc
	v_mov_b32_e32 v5, s15
	v_add_co_u32_e32 v6, vcc, s14, v6
	v_addc_co_u32_e32 v7, vcc, v5, v7, vcc
	v_bfe_u32 v5, v0, 4, 26
	global_load_dwordx4 v[22:25], v[6:7], off
	v_mad_u64_u32 v[6:7], s[0:1], v8, v5, 0
	v_mov_b32_e32 v26, v7
	v_mad_u64_u32 v[26:27], s[0:1], v9, v5, v[26:27]
	v_mov_b32_e32 v7, v26
	v_lshlrev_b64 v[6:7], 2, v[6:7]
	v_mov_b32_e32 v5, s20
	v_add_co_u32_e32 v6, vcc, s19, v6
	global_load_dwordx4 v[18:21], v[18:19], off
	v_addc_co_u32_e32 v7, vcc, v5, v7, vcc
	global_load_dword v17, v[6:7], off
	v_lshlrev_b64 v[6:7], 2, v[0:1]
	s_add_i32 s0, s45, s45
	v_mov_b32_e32 v0, s18
	v_add_co_u32_e32 v6, vcc, s13, v6
	s_add_i32 s0, s0, s45
	v_addc_co_u32_e32 v7, vcc, v0, v7, vcc
	v_add_u32_e32 v0, s0, v4
	v_cmp_le_u32_e64 s[0:1], s12, v0
	s_waitcnt vmcnt(1)
	v_mul_f32_e32 v18, v2, v18
	v_pk_mul_f32 v[4:5], v[2:3], v[20:21]
	v_mul_f32_e32 v20, v18, v22
	s_waitcnt vmcnt(0)
	v_div_scale_f32 v18, s[16:17], v17, v17, 1.0
	v_rcp_f32_e32 v21, v18
	v_mul_f32_e32 v19, v2, v19
	v_mul_f32_e32 v19, v19, v23
	v_div_scale_f32 v22, vcc, 1.0, v17, 1.0
	v_fma_f32 v23, -v18, v21, 1.0
	v_fmac_f32_e32 v21, v23, v21
	v_mul_f32_e32 v23, v22, v21
	v_pk_mul_f32 v[4:5], v[4:5], v[24:25]
	v_fma_f32 v24, -v18, v23, v22
	v_fmac_f32_e32 v23, v24, v21
	v_fma_f32 v18, -v18, v23, v22
	v_div_fmas_f32 v18, v18, v21, v23
	v_div_fixup_f32 v18, v18, v17, 1.0
	v_mul_f32_e32 v17, v20, v18
	v_mul_f32_e32 v19, v19, v18
	v_rndne_f32_e32 v17, v17
	v_pk_mul_f32 v[4:5], v[4:5], v[18:19] op_sel_hi:[1,0]
	v_rndne_f32_e32 v18, v19
	v_cmp_nlt_f32_e32 vcc, s23, v17
	v_rndne_f32_e32 v5, v5
	v_cndmask_b32_e32 v19, v13, v17, vcc
	v_cmp_nlt_f32_e32 vcc, s23, v18
	v_rndne_f32_e32 v4, v4
	v_cndmask_b32_e32 v20, v13, v18, vcc
	v_cmp_nlt_f32_e32 vcc, s23, v5
	v_cndmask_b32_e32 v21, v13, v5, vcc
	v_cmp_nlt_f32_e32 vcc, s23, v4
	v_cndmask_b32_e32 v22, v13, v4, vcc
	v_cmp_ngt_f32_e32 vcc, s24, v17
	v_cndmask_b32_e32 v17, v14, v19, vcc
	v_cmp_ngt_f32_e32 vcc, s24, v18
	;; [unrolled: 2-line block ×4, first 2 shown]
	v_cvt_i32_f32_e32 v4, v4
	v_cndmask_b32_e32 v5, v14, v21, vcc
	v_cvt_i32_f32_e32 v18, v18
	v_cvt_i32_f32_e32 v17, v17
	;; [unrolled: 1-line block ×3, first 2 shown]
	v_and_b32_e32 v4, 0xff, v4
	v_lshlrev_b32_e32 v4, 16, v4
	v_lshlrev_b32_sdwa v18, v16, v18 dst_sel:DWORD dst_unused:UNUSED_PAD src0_sel:DWORD src1_sel:BYTE_0
	v_and_b32_e32 v17, 0xff, v17
	v_lshl_or_b32 v4, v5, 24, v4
	v_or3_b32 v4, v4, v18, v17
	s_orn2_b64 s[16:17], s[0:1], exec
	global_store_dword v[6:7], v4, off
	s_branch .LBB38_60
.LBB38_67:
	s_endpgm
.LBB38_68:
                                        ; implicit-def: $vgpr6_vgpr7
	s_andn2_b64 vcc, exec, s[26:27]
	s_cbranch_vccz .LBB38_53
	s_branch .LBB38_54
.LBB38_69:
                                        ; implicit-def: $vgpr4_vgpr5
	s_andn2_b64 vcc, exec, s[22:23]
	s_cbranch_vccz .LBB38_58
	s_branch .LBB38_59
	.section	.rodata,"a",@progbits
	.p2align	6, 0x0
	.amdhsa_kernel _ZN4vllm31rms_norm_per_block_quant_kernelIfaLb0ELb1ELi64EEEvPT0_PfPKT_S6_PKffiiPS4_l
		.amdhsa_group_segment_fixed_size 4164
		.amdhsa_private_segment_fixed_size 0
		.amdhsa_kernarg_size 328
		.amdhsa_user_sgpr_count 6
		.amdhsa_user_sgpr_private_segment_buffer 1
		.amdhsa_user_sgpr_dispatch_ptr 0
		.amdhsa_user_sgpr_queue_ptr 0
		.amdhsa_user_sgpr_kernarg_segment_ptr 1
		.amdhsa_user_sgpr_dispatch_id 0
		.amdhsa_user_sgpr_flat_scratch_init 0
		.amdhsa_user_sgpr_kernarg_preload_length 0
		.amdhsa_user_sgpr_kernarg_preload_offset 0
		.amdhsa_user_sgpr_private_segment_size 0
		.amdhsa_uses_dynamic_stack 0
		.amdhsa_system_sgpr_private_segment_wavefront_offset 0
		.amdhsa_system_sgpr_workgroup_id_x 1
		.amdhsa_system_sgpr_workgroup_id_y 0
		.amdhsa_system_sgpr_workgroup_id_z 0
		.amdhsa_system_sgpr_workgroup_info 0
		.amdhsa_system_vgpr_workitem_id 0
		.amdhsa_next_free_vgpr 40
		.amdhsa_next_free_sgpr 47
		.amdhsa_accum_offset 40
		.amdhsa_reserve_vcc 1
		.amdhsa_reserve_flat_scratch 0
		.amdhsa_float_round_mode_32 0
		.amdhsa_float_round_mode_16_64 0
		.amdhsa_float_denorm_mode_32 3
		.amdhsa_float_denorm_mode_16_64 3
		.amdhsa_dx10_clamp 1
		.amdhsa_ieee_mode 1
		.amdhsa_fp16_overflow 0
		.amdhsa_tg_split 0
		.amdhsa_exception_fp_ieee_invalid_op 0
		.amdhsa_exception_fp_denorm_src 0
		.amdhsa_exception_fp_ieee_div_zero 0
		.amdhsa_exception_fp_ieee_overflow 0
		.amdhsa_exception_fp_ieee_underflow 0
		.amdhsa_exception_fp_ieee_inexact 0
		.amdhsa_exception_int_div_zero 0
	.end_amdhsa_kernel
	.section	.text._ZN4vllm31rms_norm_per_block_quant_kernelIfaLb0ELb1ELi64EEEvPT0_PfPKT_S6_PKffiiPS4_l,"axG",@progbits,_ZN4vllm31rms_norm_per_block_quant_kernelIfaLb0ELb1ELi64EEEvPT0_PfPKT_S6_PKffiiPS4_l,comdat
.Lfunc_end38:
	.size	_ZN4vllm31rms_norm_per_block_quant_kernelIfaLb0ELb1ELi64EEEvPT0_PfPKT_S6_PKffiiPS4_l, .Lfunc_end38-_ZN4vllm31rms_norm_per_block_quant_kernelIfaLb0ELb1ELi64EEEvPT0_PfPKT_S6_PKffiiPS4_l
                                        ; -- End function
	.section	.AMDGPU.csdata,"",@progbits
; Kernel info:
; codeLenInByte = 7076
; NumSgprs: 51
; NumVgprs: 40
; NumAgprs: 0
; TotalNumVgprs: 40
; ScratchSize: 0
; MemoryBound: 0
; FloatMode: 240
; IeeeMode: 1
; LDSByteSize: 4164 bytes/workgroup (compile time only)
; SGPRBlocks: 6
; VGPRBlocks: 4
; NumSGPRsForWavesPerEU: 51
; NumVGPRsForWavesPerEU: 40
; AccumOffset: 40
; Occupancy: 8
; WaveLimiterHint : 0
; COMPUTE_PGM_RSRC2:SCRATCH_EN: 0
; COMPUTE_PGM_RSRC2:USER_SGPR: 6
; COMPUTE_PGM_RSRC2:TRAP_HANDLER: 0
; COMPUTE_PGM_RSRC2:TGID_X_EN: 1
; COMPUTE_PGM_RSRC2:TGID_Y_EN: 0
; COMPUTE_PGM_RSRC2:TGID_Z_EN: 0
; COMPUTE_PGM_RSRC2:TIDIG_COMP_CNT: 0
; COMPUTE_PGM_RSRC3_GFX90A:ACCUM_OFFSET: 9
; COMPUTE_PGM_RSRC3_GFX90A:TG_SPLIT: 0
	.section	.text._ZN4vllm31rms_norm_per_block_quant_kernelIfN3c1013Float8_e4m3fnELb0ELb0ELi64EEEvPT0_PfPKT_S8_PKffiiPS6_l,"axG",@progbits,_ZN4vllm31rms_norm_per_block_quant_kernelIfN3c1013Float8_e4m3fnELb0ELb0ELi64EEEvPT0_PfPKT_S8_PKffiiPS6_l,comdat
	.protected	_ZN4vllm31rms_norm_per_block_quant_kernelIfN3c1013Float8_e4m3fnELb0ELb0ELi64EEEvPT0_PfPKT_S8_PKffiiPS6_l ; -- Begin function _ZN4vllm31rms_norm_per_block_quant_kernelIfN3c1013Float8_e4m3fnELb0ELb0ELi64EEEvPT0_PfPKT_S8_PKffiiPS6_l
	.globl	_ZN4vllm31rms_norm_per_block_quant_kernelIfN3c1013Float8_e4m3fnELb0ELb0ELi64EEEvPT0_PfPKT_S8_PKffiiPS6_l
	.p2align	8
	.type	_ZN4vllm31rms_norm_per_block_quant_kernelIfN3c1013Float8_e4m3fnELb0ELb0ELi64EEEvPT0_PfPKT_S8_PKffiiPS6_l,@function
_ZN4vllm31rms_norm_per_block_quant_kernelIfN3c1013Float8_e4m3fnELb0ELb0ELi64EEEvPT0_PfPKT_S8_PKffiiPS6_l: ; @_ZN4vllm31rms_norm_per_block_quant_kernelIfN3c1013Float8_e4m3fnELb0ELb0ELi64EEEvPT0_PfPKT_S8_PKffiiPS6_l
; %bb.0:
	s_load_dwordx4 s[16:19], s[4:5], 0x28
	s_load_dwordx8 s[8:15], s[4:5], 0x0
	v_mov_b32_e32 v1, 0
	s_waitcnt lgkmcnt(0)
	s_ashr_i32 s0, s18, 31
	s_mul_hi_u32 s1, s18, s6
	s_mul_i32 s0, s0, s6
	s_add_i32 s1, s1, s0
	s_mul_i32 s0, s18, s6
	s_lshl_b64 s[0:1], s[0:1], 2
	s_add_u32 s33, s12, s0
	s_addc_u32 s44, s13, s1
	s_ashr_i32 s12, s17, 2
	s_add_u32 s2, s4, 0x48
	s_mov_b32 s20, s17
	v_cmp_gt_u32_e64 s[0:1], s12, v0
	s_addc_u32 s3, s5, 0
	s_and_saveexec_b64 s[18:19], s[0:1]
	s_cbranch_execz .LBB39_10
; %bb.1:
	s_load_dword s7, s[2:3], 0x0
	v_mov_b32_e32 v3, 0
	v_mov_b32_e32 v9, s44
	;; [unrolled: 1-line block ×3, first 2 shown]
                                        ; implicit-def: $sgpr24_sgpr25
	s_waitcnt lgkmcnt(0)
	s_cmp_lt_u32 s6, s7
	s_cselect_b32 s7, 12, 18
	s_add_u32 s22, s2, s7
	s_addc_u32 s23, s3, 0
	global_load_ushort v8, v3, s[22:23]
	s_mov_b64 s[22:23], 0
	s_waitcnt vmcnt(0)
	v_add_u32_e32 v1, v8, v8
	v_mul_lo_u32 v10, v8, 3
	v_lshlrev_b32_e32 v11, 1, v8
	v_add_u32_e32 v12, v1, v8
	v_mov_b32_e32 v1, v3
	s_branch .LBB39_5
.LBB39_2:                               ;   in Loop: Header=BB39_5 Depth=1
	s_or_b64 exec, exec, s[30:31]
	s_orn2_b64 s[30:31], s[34:35], exec
.LBB39_3:                               ;   in Loop: Header=BB39_5 Depth=1
	s_or_b64 exec, exec, s[28:29]
	s_andn2_b64 s[24:25], s[24:25], exec
	s_and_b64 s[28:29], s[30:31], exec
	s_or_b64 s[24:25], s[24:25], s[28:29]
.LBB39_4:                               ;   in Loop: Header=BB39_5 Depth=1
	s_or_b64 exec, exec, s[26:27]
	s_and_b64 s[26:27], exec, s[24:25]
	s_or_b64 s[22:23], s[26:27], s[22:23]
	s_andn2_b64 exec, exec, s[22:23]
	s_cbranch_execz .LBB39_9
.LBB39_5:                               ; =>This Inner Loop Header: Depth=1
	v_lshlrev_b64 v[4:5], 4, v[2:3]
	v_add_co_u32_e32 v4, vcc, s33, v4
	v_addc_co_u32_e32 v5, vcc, v9, v5, vcc
	global_load_dwordx4 v[14:17], v[4:5], off
	v_add_u32_e32 v4, v2, v8
	v_cmp_gt_u32_e32 vcc, s12, v4
	s_or_b64 s[24:25], s[24:25], exec
	s_waitcnt vmcnt(0)
	v_fmac_f32_e32 v1, v14, v14
	v_fmac_f32_e32 v1, v15, v15
	;; [unrolled: 1-line block ×4, first 2 shown]
	s_and_saveexec_b64 s[26:27], vcc
	s_cbranch_execz .LBB39_4
; %bb.6:                                ;   in Loop: Header=BB39_5 Depth=1
	v_mov_b32_e32 v5, v3
	v_lshlrev_b64 v[6:7], 4, v[4:5]
	v_add_co_u32_e32 v6, vcc, s33, v6
	v_addc_co_u32_e32 v7, vcc, v9, v7, vcc
	global_load_dwordx4 v[14:17], v[6:7], off
	v_add_u32_e32 v6, v11, v2
	v_cmp_gt_u32_e32 vcc, s12, v6
	s_mov_b64 s[30:31], -1
	s_waitcnt vmcnt(0)
	v_fmac_f32_e32 v1, v14, v14
	v_fmac_f32_e32 v1, v15, v15
	;; [unrolled: 1-line block ×4, first 2 shown]
	s_and_saveexec_b64 s[28:29], vcc
	s_cbranch_execz .LBB39_3
; %bb.7:                                ;   in Loop: Header=BB39_5 Depth=1
	v_mov_b32_e32 v7, v3
	v_lshlrev_b64 v[6:7], 4, v[6:7]
	v_add_co_u32_e32 v6, vcc, s33, v6
	v_addc_co_u32_e32 v7, vcc, v9, v7, vcc
	global_load_dwordx4 v[14:17], v[6:7], off
	v_add_u32_e32 v2, v10, v2
	v_cmp_gt_u32_e32 vcc, s12, v2
	s_mov_b64 s[34:35], -1
	s_waitcnt vmcnt(0)
	v_fmac_f32_e32 v1, v14, v14
	v_fmac_f32_e32 v1, v15, v15
	;; [unrolled: 1-line block ×4, first 2 shown]
	s_and_saveexec_b64 s[30:31], vcc
	s_xor_b64 s[30:31], exec, s[30:31]
	s_cbranch_execz .LBB39_2
; %bb.8:                                ;   in Loop: Header=BB39_5 Depth=1
	v_lshlrev_b64 v[6:7], 4, v[2:3]
	v_add_co_u32_e32 v6, vcc, s33, v6
	v_addc_co_u32_e32 v7, vcc, v9, v7, vcc
	global_load_dwordx4 v[14:17], v[6:7], off
	v_add_u32_e32 v2, v12, v4
	v_cmp_le_u32_e32 vcc, s12, v2
	s_orn2_b64 s[34:35], vcc, exec
	s_waitcnt vmcnt(0)
	v_fmac_f32_e32 v1, v14, v14
	v_fmac_f32_e32 v1, v15, v15
	;; [unrolled: 1-line block ×4, first 2 shown]
	s_branch .LBB39_2
.LBB39_9:
	s_or_b64 exec, exec, s[22:23]
.LBB39_10:
	s_or_b64 exec, exec, s[18:19]
	v_mbcnt_lo_u32_b32 v2, -1, 0
	v_mbcnt_hi_u32_b32 v2, -1, v2
	v_and_b32_e32 v3, 63, v2
	v_cmp_ne_u32_e32 vcc, 63, v3
	s_load_dword s2, s[2:3], 0xc
	v_addc_co_u32_e32 v4, vcc, 0, v2, vcc
	v_lshlrev_b32_e32 v4, 2, v4
	ds_bpermute_b32 v4, v4, v1
	s_waitcnt lgkmcnt(0)
	s_and_b32 s45, s2, 0xffff
	v_and_b32_e32 v5, 0x3c0, v0
	v_sub_u32_e64 v5, s45, v5 clamp
	v_add_u32_e32 v6, 1, v2
	v_add_f32_e32 v4, v1, v4
	v_cmp_lt_u32_e32 vcc, v6, v5
	v_cndmask_b32_e32 v1, v1, v4, vcc
	v_cmp_gt_u32_e32 vcc, 62, v3
	v_cndmask_b32_e64 v4, 0, 1, vcc
	v_lshlrev_b32_e32 v4, 1, v4
	v_add_lshl_u32 v4, v4, v2, 2
	ds_bpermute_b32 v4, v4, v1
	v_add_u32_e32 v6, 2, v2
	v_cmp_lt_u32_e32 vcc, v6, v5
	v_add_u32_e32 v6, 4, v2
	s_waitcnt lgkmcnt(0)
	v_add_f32_e32 v4, v1, v4
	v_cndmask_b32_e32 v1, v1, v4, vcc
	v_cmp_gt_u32_e32 vcc, 60, v3
	v_cndmask_b32_e64 v4, 0, 1, vcc
	v_lshlrev_b32_e32 v4, 2, v4
	v_add_lshl_u32 v4, v4, v2, 2
	ds_bpermute_b32 v4, v4, v1
	v_cmp_lt_u32_e32 vcc, v6, v5
	v_add_u32_e32 v6, 8, v2
	s_waitcnt lgkmcnt(0)
	v_add_f32_e32 v4, v1, v4
	v_cndmask_b32_e32 v1, v1, v4, vcc
	v_cmp_gt_u32_e32 vcc, 56, v3
	v_cndmask_b32_e64 v4, 0, 1, vcc
	v_lshlrev_b32_e32 v4, 3, v4
	v_add_lshl_u32 v4, v4, v2, 2
	ds_bpermute_b32 v4, v4, v1
	;; [unrolled: 10-line block ×3, first 2 shown]
	v_cmp_lt_u32_e32 vcc, v6, v5
	s_waitcnt lgkmcnt(0)
	v_add_f32_e32 v4, v1, v4
	v_cndmask_b32_e32 v1, v1, v4, vcc
	v_cmp_gt_u32_e32 vcc, 32, v3
	v_cndmask_b32_e64 v3, 0, 1, vcc
	v_lshlrev_b32_e32 v3, 5, v3
	v_add_lshl_u32 v3, v3, v2, 2
	ds_bpermute_b32 v3, v3, v1
	v_add_u32_e32 v4, 32, v2
	v_cmp_lt_u32_e32 vcc, v4, v5
	s_waitcnt lgkmcnt(0)
	v_add_f32_e32 v3, v1, v3
	v_cndmask_b32_e32 v1, v1, v3, vcc
	v_cmp_eq_u32_e32 vcc, 0, v2
	s_and_saveexec_b64 s[2:3], vcc
	s_cbranch_execz .LBB39_12
; %bb.11:
	v_lshrrev_b32_e32 v3, 4, v0
	v_and_b32_e32 v3, 60, v3
	ds_write_b32 v3, v1 offset:4096
.LBB39_12:
	s_or_b64 exec, exec, s[2:3]
	v_cmp_gt_u32_e32 vcc, 16, v0
	s_waitcnt lgkmcnt(0)
	s_barrier
	s_and_saveexec_b64 s[18:19], vcc
	s_cbranch_execz .LBB39_14
; %bb.13:
	v_lshlrev_b32_e32 v1, 2, v2
	ds_read_b32 v1, v1 offset:4096
	v_and_b32_e32 v3, 15, v2
	v_cmp_ne_u32_e32 vcc, 15, v3
	v_addc_co_u32_e32 v4, vcc, 0, v2, vcc
	v_lshlrev_b32_e32 v4, 2, v4
	s_waitcnt lgkmcnt(0)
	ds_bpermute_b32 v4, v4, v1
	s_add_i32 s2, s45, 63
	s_lshr_b32 s7, s2, 6
	v_add_u32_e32 v5, 1, v3
	v_cmp_gt_u32_e64 s[2:3], 14, v3
	v_cmp_gt_u32_e32 vcc, s7, v5
	v_cndmask_b32_e64 v5, 0, 1, s[2:3]
	s_waitcnt lgkmcnt(0)
	v_add_f32_e32 v4, v1, v4
	v_lshlrev_b32_e32 v5, 1, v5
	v_cndmask_b32_e32 v4, v1, v4, vcc
	v_add_lshl_u32 v5, v5, v2, 2
	ds_bpermute_b32 v5, v5, v4
	v_add_u32_e32 v6, 2, v3
	v_cmp_gt_u32_e64 s[2:3], s7, v6
	v_add_u32_e32 v6, 4, v3
	s_waitcnt lgkmcnt(0)
	v_add_f32_e32 v5, v4, v5
	v_cndmask_b32_e64 v4, v4, v5, s[2:3]
	v_cmp_gt_u32_e64 s[2:3], 12, v3
	v_cndmask_b32_e64 v5, 0, 1, s[2:3]
	v_lshlrev_b32_e32 v5, 2, v5
	v_add_lshl_u32 v5, v5, v2, 2
	ds_bpermute_b32 v5, v5, v4
	v_cmp_gt_u32_e64 s[2:3], s7, v6
	s_waitcnt lgkmcnt(0)
	v_add_f32_e32 v5, v4, v5
	v_cndmask_b32_e64 v4, v4, v5, s[2:3]
	v_cmp_gt_u32_e64 s[2:3], 8, v3
	v_cndmask_b32_e64 v5, 0, 1, s[2:3]
	v_lshlrev_b32_e32 v5, 3, v5
	v_add_lshl_u32 v2, v5, v2, 2
	ds_bpermute_b32 v2, v2, v4
	v_add_u32_e32 v3, 8, v3
	v_cmp_gt_u32_e64 s[2:3], s7, v3
	s_waitcnt lgkmcnt(0)
	v_add_f32_e32 v2, v4, v2
	v_cndmask_b32_e64 v2, v4, v2, s[2:3]
	v_cndmask_b32_e32 v1, v1, v2, vcc
.LBB39_14:
	s_or_b64 exec, exec, s[18:19]
	v_cmp_eq_u32_e32 vcc, 0, v0
	s_and_saveexec_b64 s[2:3], vcc
	s_cbranch_execz .LBB39_16
; %bb.15:
	v_cvt_f32_i32_e32 v2, s17
	s_mov_b32 s7, 0x800000
	v_div_scale_f32 v3, s[18:19], v2, v2, v1
	v_rcp_f32_e32 v4, v3
	v_div_scale_f32 v5, vcc, v1, v2, v1
	v_fma_f32 v6, -v3, v4, 1.0
	v_fmac_f32_e32 v4, v6, v4
	v_mul_f32_e32 v6, v5, v4
	v_fma_f32 v7, -v3, v6, v5
	v_fmac_f32_e32 v6, v7, v4
	v_fma_f32 v3, -v3, v6, v5
	v_div_fmas_f32 v3, v3, v4, v6
	v_div_fixup_f32 v1, v3, v2, v1
	v_add_f32_e32 v1, s16, v1
	v_mul_f32_e32 v2, 0x4b800000, v1
	v_cmp_gt_f32_e32 vcc, s7, v1
	v_cndmask_b32_e32 v1, v1, v2, vcc
	v_rsq_f32_e32 v1, v1
	v_mul_f32_e32 v2, 0x45800000, v1
	v_cndmask_b32_e32 v1, v1, v2, vcc
	v_mov_b32_e32 v2, 0
	ds_write_b32 v2, v1 offset:4160
.LBB39_16:
	s_or_b64 exec, exec, s[2:3]
	s_ashr_i32 s21, s17, 31
	s_lshr_b32 s2, s21, 26
	s_add_i32 s2, s17, s2
	s_ashr_i32 s18, s2, 6
	s_abs_i32 s3, s18
	v_cvt_f32_u32_e32 v1, s3
	s_sub_i32 s7, 0, s3
	s_ashr_i32 s2, s2, 31
	v_mov_b32_e32 v5, 0
	v_rcp_iflag_f32_e32 v1, v1
	s_waitcnt lgkmcnt(0)
	s_barrier
	v_mul_f32_e32 v1, 0x4f7ffffe, v1
	v_cvt_u32_f32_e32 v1, v1
	ds_read_b32 v36, v5 offset:4160
	v_readfirstlane_b32 s13, v1
	s_mul_i32 s7, s7, s13
	s_mul_hi_u32 s7, s13, s7
	s_add_i32 s13, s13, s7
	s_mul_hi_u32 s7, s45, s13
	s_mul_i32 s13, s7, s3
	s_sub_i32 s13, s45, s13
	s_add_i32 s16, s7, 1
	s_sub_i32 s19, s13, s3
	s_cmp_ge_u32 s13, s3
	s_cselect_b32 s7, s16, s7
	s_cselect_b32 s13, s19, s13
	s_add_i32 s16, s7, 1
	s_cmp_ge_u32 s13, s3
	s_cselect_b32 s3, s16, s7
	s_xor_b32 s3, s3, s2
	s_sub_i32 s2, s3, s2
	s_abs_i32 s7, s2
	v_cvt_f32_u32_e32 v1, s7
	s_sub_i32 s13, 0, s7
	s_ashr_i32 s3, s2, 31
	v_rcp_iflag_f32_e32 v1, v1
	v_mul_f32_e32 v1, 0x4f7ffffe, v1
	v_cvt_u32_f32_e32 v1, v1
	v_mul_lo_u32 v2, s13, v1
	v_mul_hi_u32 v2, v1, v2
	v_add_u32_e32 v1, v1, v2
	v_mul_hi_u32 v1, v0, v1
	v_mul_lo_u32 v2, v1, s7
	v_sub_u32_e32 v2, v0, v2
	v_add_u32_e32 v3, 1, v1
	v_cmp_le_u32_e32 vcc, s7, v2
	v_cndmask_b32_e32 v1, v1, v3, vcc
	v_subrev_u32_e32 v3, s7, v2
	v_cndmask_b32_e32 v2, v2, v3, vcc
	v_add_u32_e32 v3, 1, v1
	v_cmp_le_u32_e32 vcc, s7, v2
	v_cndmask_b32_e32 v1, v1, v3, vcc
	v_xor_b32_e32 v1, s3, v1
	v_subrev_u32_e32 v2, s3, v1
	v_mul_lo_u32 v1, v2, s2
	v_ashrrev_i32_e32 v3, 31, v2
	v_sub_u32_e32 v4, v0, v1
	v_lshlrev_b64 v[8:9], 4, v[2:3]
	v_add_co_u32_e32 v6, vcc, v8, v4
	v_addc_co_u32_e32 v7, vcc, 0, v9, vcc
	v_add_co_u32_e32 v8, vcc, 16, v8
	v_addc_co_u32_e32 v9, vcc, 0, v9, vcc
	s_ashr_i32 s13, s12, 31
	v_mov_b32_e32 v1, s13
	v_cmp_gt_i64_e32 vcc, s[12:13], v[8:9]
	v_cndmask_b32_e32 v9, v1, v9, vcc
	v_mov_b32_e32 v1, s12
	v_cndmask_b32_e32 v8, v1, v8, vcc
	v_ashrrev_i32_e32 v11, 31, v8
	v_mov_b32_e32 v10, v8
	v_cmp_lt_i64_e32 vcc, v[6:7], v[10:11]
	s_and_saveexec_b64 s[22:23], vcc
	s_cbranch_execz .LBB39_26
; %bb.17:
	v_lshlrev_b64 v[12:13], 8, v[2:3]
	v_lshlrev_b64 v[14:15], 4, v[4:5]
	v_add_co_u32_e32 v12, vcc, v12, v14
	v_addc_co_u32_e32 v1, vcc, v13, v15, vcc
	s_lshl_b64 s[24:25], s[2:3], 6
	s_mul_hi_i32 s7, s2, 3
	s_mul_i32 s13, s2, 3
	s_lshl_b64 s[26:27], s[2:3], 1
	s_lshl_b64 s[30:31], s[2:3], 4
	s_mov_b64 s[28:29], 0
	v_mov_b32_e32 v5, 0
	v_mov_b32_e32 v13, s44
	;; [unrolled: 1-line block ×4, first 2 shown]
	v_pk_mov_b32 v[14:15], v[6:7], v[6:7] op_sel:[0,1]
                                        ; implicit-def: $sgpr34_sgpr35
	s_branch .LBB39_21
.LBB39_18:                              ;   in Loop: Header=BB39_21 Depth=1
	s_or_b64 exec, exec, s[40:41]
	s_orn2_b64 s[40:41], s[42:43], exec
.LBB39_19:                              ;   in Loop: Header=BB39_21 Depth=1
	s_or_b64 exec, exec, s[38:39]
	s_andn2_b64 s[34:35], s[34:35], exec
	s_and_b64 s[38:39], s[40:41], exec
	s_or_b64 s[34:35], s[34:35], s[38:39]
.LBB39_20:                              ;   in Loop: Header=BB39_21 Depth=1
	s_or_b64 exec, exec, s[36:37]
	s_and_b64 s[36:37], exec, s[34:35]
	s_or_b64 s[28:29], s[36:37], s[28:29]
	s_andn2_b64 exec, exec, s[28:29]
	s_cbranch_execz .LBB39_25
.LBB39_21:                              ; =>This Inner Loop Header: Depth=1
	v_add_co_u32_e32 v18, vcc, s33, v12
	v_addc_co_u32_e32 v19, vcc, v13, v1, vcc
	v_add_co_u32_e32 v20, vcc, s14, v12
	global_load_dwordx4 v[24:27], v[18:19], off
	v_addc_co_u32_e32 v21, vcc, v22, v1, vcc
	global_load_dwordx4 v[28:31], v[20:21], off
	v_add_co_u32_e32 v16, vcc, s2, v14
	v_addc_co_u32_e32 v17, vcc, v15, v23, vcc
	v_cmp_lt_i64_e32 vcc, v[16:17], v[10:11]
	s_or_b64 s[34:35], s[34:35], exec
	s_waitcnt vmcnt(1) lgkmcnt(0)
	v_mul_f32_e32 v24, v36, v24
	v_mul_f32_e32 v25, v36, v25
	;; [unrolled: 1-line block ×4, first 2 shown]
	s_waitcnt vmcnt(0)
	v_mul_f32_e32 v24, v24, v28
	v_mul_f32_e32 v25, v25, v29
	;; [unrolled: 1-line block ×4, first 2 shown]
	v_max3_f32 v5, v5, |v24|, |v25|
	v_max3_f32 v5, v5, |v26|, |v27|
	s_and_saveexec_b64 s[36:37], vcc
	s_cbranch_execz .LBB39_20
; %bb.22:                               ;   in Loop: Header=BB39_21 Depth=1
	v_mov_b32_e32 v28, s31
	v_add_co_u32_e32 v18, vcc, s30, v18
	v_addc_co_u32_e32 v19, vcc, v19, v28, vcc
	v_add_co_u32_e32 v20, vcc, s30, v20
	global_load_dwordx4 v[24:27], v[18:19], off
	v_addc_co_u32_e32 v21, vcc, v21, v28, vcc
	global_load_dwordx4 v[28:31], v[20:21], off
	v_mov_b32_e32 v33, s27
	v_add_co_u32_e32 v32, vcc, s26, v14
	v_addc_co_u32_e32 v33, vcc, v33, v15, vcc
	v_cmp_lt_i64_e32 vcc, v[32:33], v[10:11]
	s_mov_b64 s[40:41], -1
	s_waitcnt vmcnt(1)
	v_mul_f32_e32 v24, v36, v24
	v_mul_f32_e32 v25, v36, v25
	;; [unrolled: 1-line block ×4, first 2 shown]
	s_waitcnt vmcnt(0)
	v_mul_f32_e32 v24, v24, v28
	v_mul_f32_e32 v25, v25, v29
	v_mul_f32_e32 v26, v26, v30
	v_mul_f32_e32 v27, v27, v31
	v_max3_f32 v5, v5, |v24|, |v25|
	v_max3_f32 v5, v5, |v26|, |v27|
	s_and_saveexec_b64 s[38:39], vcc
	s_cbranch_execz .LBB39_19
; %bb.23:                               ;   in Loop: Header=BB39_21 Depth=1
	v_mov_b32_e32 v28, s31
	v_add_co_u32_e32 v18, vcc, s30, v18
	v_addc_co_u32_e32 v19, vcc, v19, v28, vcc
	v_add_co_u32_e32 v20, vcc, s30, v20
	global_load_dwordx4 v[24:27], v[18:19], off
	v_addc_co_u32_e32 v21, vcc, v21, v28, vcc
	global_load_dwordx4 v[28:31], v[20:21], off
	v_mov_b32_e32 v32, s7
	v_add_co_u32_e32 v14, vcc, s13, v14
	v_addc_co_u32_e32 v15, vcc, v32, v15, vcc
	v_cmp_lt_i64_e32 vcc, v[14:15], v[10:11]
	s_mov_b64 s[42:43], -1
	s_waitcnt vmcnt(1)
	v_mul_f32_e32 v14, v36, v24
	v_mul_f32_e32 v15, v36, v25
	;; [unrolled: 1-line block ×4, first 2 shown]
	s_waitcnt vmcnt(0)
	v_mul_f32_e32 v14, v14, v28
	v_mul_f32_e32 v15, v15, v29
	;; [unrolled: 1-line block ×4, first 2 shown]
	v_max3_f32 v5, v5, |v14|, |v15|
	v_max3_f32 v5, v5, |v24|, |v25|
                                        ; implicit-def: $vgpr14_vgpr15
	s_and_saveexec_b64 s[40:41], vcc
	s_xor_b64 s[40:41], exec, s[40:41]
	s_cbranch_execz .LBB39_18
; %bb.24:                               ;   in Loop: Header=BB39_21 Depth=1
	v_mov_b32_e32 v28, s31
	v_add_co_u32_e32 v14, vcc, s30, v18
	v_addc_co_u32_e32 v15, vcc, v19, v28, vcc
	global_load_dwordx4 v[24:27], v[14:15], off
	v_add_co_u32_e32 v14, vcc, s30, v20
	v_addc_co_u32_e32 v15, vcc, v21, v28, vcc
	global_load_dwordx4 v[18:21], v[14:15], off
	s_add_u32 s16, s2, s2
	s_addc_u32 s19, s3, s3
	v_mov_b32_e32 v14, s25
	v_add_co_u32_e32 v12, vcc, s24, v12
	s_add_u32 s16, s16, s2
	v_addc_co_u32_e32 v1, vcc, v1, v14, vcc
	s_addc_u32 s19, s19, s3
	v_mov_b32_e32 v15, s19
	v_add_co_u32_e32 v14, vcc, s16, v16
	v_addc_co_u32_e32 v15, vcc, v15, v17, vcc
	v_cmp_ge_i64_e32 vcc, v[14:15], v[10:11]
	s_orn2_b64 s[42:43], vcc, exec
	s_waitcnt vmcnt(1)
	v_mul_f32_e32 v16, v36, v24
	v_mul_f32_e32 v17, v36, v25
	;; [unrolled: 1-line block ×4, first 2 shown]
	s_waitcnt vmcnt(0)
	v_mul_f32_e32 v16, v16, v18
	v_mul_f32_e32 v17, v17, v19
	;; [unrolled: 1-line block ×4, first 2 shown]
	v_max3_f32 v5, v5, |v16|, |v17|
	v_max3_f32 v5, v5, |v18|, |v19|
	s_branch .LBB39_18
.LBB39_25:
	s_or_b64 exec, exec, s[28:29]
.LBB39_26:
	s_or_b64 exec, exec, s[22:23]
	s_lshr_b32 s7, s45, 6
	v_cvt_f32_u32_e32 v10, s7
	v_lshlrev_b32_e32 v1, 2, v0
	ds_write_b32 v1, v5
	s_sub_i32 s22, 0, s7
	v_rcp_iflag_f32_e32 v5, v10
	s_add_i32 s13, s18, s7
	s_add_i32 s13, s13, -1
	s_ashr_i32 s16, s13, 31
	v_mul_f32_e32 v5, 0x4f7ffffe, v5
	v_cvt_u32_f32_e32 v5, v5
	s_abs_i32 s13, s13
	s_ashr_i32 s19, s18, 31
	s_waitcnt lgkmcnt(0)
	v_readfirstlane_b32 s23, v5
	s_mul_i32 s22, s22, s23
	s_mul_hi_u32 s22, s23, s22
	s_add_i32 s23, s23, s22
	s_mul_hi_u32 s22, s13, s23
	s_mul_i32 s23, s22, s7
	s_sub_i32 s13, s13, s23
	s_add_i32 s23, s22, 1
	s_sub_i32 s24, s13, s7
	s_cmp_ge_u32 s13, s7
	s_cselect_b32 s22, s23, s22
	s_cselect_b32 s13, s24, s13
	s_add_i32 s23, s22, 1
	s_cmp_ge_u32 s13, s7
	s_cselect_b32 s13, s23, s22
	s_xor_b32 s13, s13, s16
	s_sub_i32 s22, s13, s16
	s_ashr_i32 s23, s22, 31
	v_cmp_lt_i64_e64 s[24:25], s[22:23], 1
	s_and_b64 vcc, exec, s[24:25]
	s_barrier
	s_cbranch_vccnz .LBB39_48
; %bb.27:
	v_and_b32_e32 v12, 63, v0
	v_add_co_u32_e32 v14, vcc, 32, v12
	v_addc_co_u32_e64 v15, s[24:25], 0, 0, vcc
	v_add_co_u32_e32 v16, vcc, 16, v12
	v_addc_co_u32_e64 v17, s[24:25], 0, 0, vcc
	v_add_co_u32_e32 v18, vcc, 8, v12
	v_lshrrev_b32_e32 v10, 6, v0
	v_addc_co_u32_e64 v19, s[24:25], 0, 0, vcc
	v_add_co_u32_e32 v20, vcc, 4, v12
	v_addc_co_u32_e64 v21, s[24:25], 0, 0, vcc
	v_add_co_u32_e32 v22, vcc, 2, v12
	v_mul_lo_u32 v5, s2, v10
	v_addc_co_u32_e64 v23, s[24:25], 0, 0, vcc
	v_add_co_u32_e32 v24, vcc, 1, v12
	v_lshlrev_b32_e32 v5, 2, v5
	v_lshlrev_b32_e32 v26, 2, v12
	s_movk_i32 s13, 0x100
	v_mov_b32_e32 v11, 0
	v_addc_co_u32_e64 v25, s[24:25], 0, 0, vcc
	v_add3_u32 v5, v5, v26, s13
	s_mul_i32 s13, s2, s7
	v_mov_b32_e32 v13, v11
	s_lshl_b32 s13, s13, 2
	s_mov_b64 s[24:25], 0
	v_mov_b32_e32 v37, s7
	s_mov_b64 s[26:27], src_shared_base
	s_branch .LBB39_30
.LBB39_28:                              ;   in Loop: Header=BB39_30 Depth=1
	s_or_b64 exec, exec, s[30:31]
	v_mov_b32_e32 v27, s27
	flat_load_dword v26, v[26:27] glc
	s_waitcnt vmcnt(0)
.LBB39_29:                              ;   in Loop: Header=BB39_30 Depth=1
	s_or_b64 exec, exec, s[28:29]
	s_add_u32 s24, s24, 1
	s_addc_u32 s25, s25, 0
	s_cmp_eq_u64 s[24:25], s[22:23]
	v_add_u32_e32 v5, s13, v5
	s_cbranch_scc1 .LBB39_48
.LBB39_30:                              ; =>This Loop Header: Depth=1
                                        ;     Child Loop BB39_33 Depth 2
	v_mad_u64_u32 v[30:31], s[28:29], s24, v37, v[10:11]
	s_mul_i32 s16, s25, s7
	v_add_u32_e32 v31, s16, v31
	v_cmp_gt_i64_e32 vcc, s[18:19], v[30:31]
	s_and_saveexec_b64 s[28:29], vcc
	s_cbranch_execz .LBB39_29
; %bb.31:                               ;   in Loop: Header=BB39_30 Depth=1
	v_pk_mov_b32 v[32:33], s[2:3], s[2:3] op_sel:[0,1]
	v_mul_lo_u32 v29, v31, s2
	v_mul_lo_u32 v38, v30, s3
	v_mad_u64_u32 v[32:33], s[30:31], v30, s2, v[32:33]
	v_add3_u32 v33, v29, v33, v38
	v_mov_b32_e32 v28, s21
	v_cmp_gt_i64_e32 vcc, s[20:21], v[32:33]
	s_waitcnt lgkmcnt(0)
	v_mad_u64_u32 v[26:27], s[30:31], v30, s2, v[12:13]
	v_cndmask_b32_e32 v33, v28, v33, vcc
	v_mov_b32_e32 v28, s17
	v_add3_u32 v27, v29, v27, v38
	v_cndmask_b32_e32 v32, v28, v32, vcc
	v_add_co_u32_e32 v34, vcc, 64, v26
	v_addc_co_u32_e32 v35, vcc, 0, v27, vcc
	v_cmp_lt_i64_e32 vcc, v[34:35], v[32:33]
	v_lshlrev_b32_e32 v28, 2, v26
	s_and_saveexec_b64 s[30:31], vcc
	s_cbranch_execz .LBB39_34
; %bb.32:                               ;   in Loop: Header=BB39_30 Depth=1
	ds_read_b32 v31, v28
	s_mov_b64 s[34:35], 0
	v_mov_b32_e32 v27, v5
.LBB39_33:                              ;   Parent Loop BB39_30 Depth=1
                                        ; =>  This Inner Loop Header: Depth=2
	ds_read_b32 v39, v27
	v_add_co_u32_e32 v34, vcc, 64, v34
	v_addc_co_u32_e32 v35, vcc, 0, v35, vcc
	s_waitcnt lgkmcnt(1)
	v_max_f32_e32 v31, v31, v31
	v_cmp_ge_i64_e32 vcc, v[34:35], v[32:33]
	s_waitcnt lgkmcnt(0)
	v_max_f32_e32 v39, v39, v39
	v_add_u32_e32 v27, 0x100, v27
	s_or_b64 s[34:35], vcc, s[34:35]
	v_max_f32_e32 v31, v31, v39
	ds_write_b32 v28, v31
	s_andn2_b64 exec, exec, s[34:35]
	s_cbranch_execnz .LBB39_33
.LBB39_34:                              ;   in Loop: Header=BB39_30 Depth=1
	s_or_b64 exec, exec, s[30:31]
	v_mad_u64_u32 v[30:31], s[30:31], v30, s2, 0
	v_add3_u32 v27, v31, v38, v29
	v_sub_co_u32_e32 v30, vcc, v32, v30
	v_subb_co_u32_e32 v31, vcc, v33, v27, vcc
	v_cmp_gt_i64_e32 vcc, 64, v[30:31]
	v_cndmask_b32_e32 v31, 0, v31, vcc
	v_cndmask_b32_e32 v30, 64, v30, vcc
	v_cmp_lt_i64_e32 vcc, v[14:15], v[30:31]
	s_and_saveexec_b64 s[30:31], vcc
	s_cbranch_execnz .LBB39_46
; %bb.35:                               ;   in Loop: Header=BB39_30 Depth=1
	s_or_b64 exec, exec, s[30:31]
	v_cmp_lt_i64_e32 vcc, v[16:17], v[30:31]
	s_and_saveexec_b64 s[30:31], vcc
	s_cbranch_execnz .LBB39_47
.LBB39_36:                              ;   in Loop: Header=BB39_30 Depth=1
	s_or_b64 exec, exec, s[30:31]
	v_cmp_lt_i64_e32 vcc, v[18:19], v[30:31]
	s_and_saveexec_b64 s[30:31], vcc
	s_cbranch_execz .LBB39_38
.LBB39_37:                              ;   in Loop: Header=BB39_30 Depth=1
	v_mov_b32_e32 v29, s27
	v_add_u32_e32 v32, 32, v28
	v_mov_b32_e32 v33, s27
	flat_load_dword v27, v[28:29] glc
	s_waitcnt vmcnt(0)
	flat_load_dword v34, v[32:33] glc
	s_waitcnt vmcnt(0) lgkmcnt(0)
	v_max_f32_e32 v27, v27, v27
	v_max_f32_e32 v32, v34, v34
	;; [unrolled: 1-line block ×3, first 2 shown]
	flat_store_dword v[28:29], v27
	s_waitcnt vmcnt(0)
.LBB39_38:                              ;   in Loop: Header=BB39_30 Depth=1
	s_or_b64 exec, exec, s[30:31]
	v_cmp_ge_i64_e32 vcc, v[20:21], v[30:31]
	s_and_saveexec_b64 s[30:31], vcc
	s_xor_b64 s[30:31], exec, s[30:31]
; %bb.39:                               ;   in Loop: Header=BB39_30 Depth=1
                                        ; implicit-def: $vgpr28
; %bb.40:                               ;   in Loop: Header=BB39_30 Depth=1
	s_andn2_saveexec_b64 s[30:31], s[30:31]
	s_cbranch_execz .LBB39_42
; %bb.41:                               ;   in Loop: Header=BB39_30 Depth=1
	v_mov_b32_e32 v29, s27
	v_add_u32_e32 v32, 16, v28
	v_mov_b32_e32 v33, s27
	flat_load_dword v27, v[28:29] glc
	s_waitcnt vmcnt(0)
	flat_load_dword v34, v[32:33] glc
	s_waitcnt vmcnt(0) lgkmcnt(0)
	v_max_f32_e32 v27, v27, v27
	v_max_f32_e32 v32, v34, v34
	;; [unrolled: 1-line block ×3, first 2 shown]
	flat_store_dword v[28:29], v27
	s_waitcnt vmcnt(0)
.LBB39_42:                              ;   in Loop: Header=BB39_30 Depth=1
	s_or_b64 exec, exec, s[30:31]
	v_cmp_lt_i64_e32 vcc, v[22:23], v[30:31]
	v_lshlrev_b32_e32 v26, 2, v26
	s_and_saveexec_b64 s[30:31], vcc
	s_cbranch_execz .LBB39_44
; %bb.43:                               ;   in Loop: Header=BB39_30 Depth=1
	v_mov_b32_e32 v27, s27
	v_add_u32_e32 v28, 8, v26
	v_mov_b32_e32 v29, s27
	flat_load_dword v32, v[26:27] glc
	s_waitcnt vmcnt(0)
	flat_load_dword v33, v[28:29] glc
	s_waitcnt vmcnt(0) lgkmcnt(0)
	v_max_f32_e32 v28, v32, v32
	v_max_f32_e32 v29, v33, v33
	;; [unrolled: 1-line block ×3, first 2 shown]
	flat_store_dword v[26:27], v28
	s_waitcnt vmcnt(0)
.LBB39_44:                              ;   in Loop: Header=BB39_30 Depth=1
	s_or_b64 exec, exec, s[30:31]
	v_cmp_lt_i64_e32 vcc, v[24:25], v[30:31]
	s_and_saveexec_b64 s[30:31], vcc
	s_cbranch_execz .LBB39_28
; %bb.45:                               ;   in Loop: Header=BB39_30 Depth=1
	v_mov_b32_e32 v27, s27
	v_add_u32_e32 v28, 4, v26
	v_mov_b32_e32 v29, s27
	flat_load_dword v30, v[26:27] glc
	s_waitcnt vmcnt(0)
	flat_load_dword v31, v[28:29] glc
	s_waitcnt vmcnt(0) lgkmcnt(0)
	v_max_f32_e32 v28, v30, v30
	v_max_f32_e32 v29, v31, v31
	;; [unrolled: 1-line block ×3, first 2 shown]
	flat_store_dword v[26:27], v28
	s_waitcnt vmcnt(0)
	s_branch .LBB39_28
.LBB39_46:                              ;   in Loop: Header=BB39_30 Depth=1
	v_mov_b32_e32 v29, s27
	v_add_u32_e32 v32, 0x80, v28
	v_mov_b32_e32 v33, s27
	flat_load_dword v27, v[28:29] glc
	s_waitcnt vmcnt(0)
	flat_load_dword v34, v[32:33] glc
	s_waitcnt vmcnt(0) lgkmcnt(0)
	v_max_f32_e32 v27, v27, v27
	v_max_f32_e32 v32, v34, v34
	v_max_f32_e32 v27, v27, v32
	flat_store_dword v[28:29], v27
	s_waitcnt vmcnt(0)
	s_or_b64 exec, exec, s[30:31]
	v_cmp_lt_i64_e32 vcc, v[16:17], v[30:31]
	s_and_saveexec_b64 s[30:31], vcc
	s_cbranch_execz .LBB39_36
.LBB39_47:                              ;   in Loop: Header=BB39_30 Depth=1
	v_mov_b32_e32 v29, s27
	v_add_u32_e32 v32, 64, v28
	v_mov_b32_e32 v33, s27
	flat_load_dword v27, v[28:29] glc
	s_waitcnt vmcnt(0)
	flat_load_dword v34, v[32:33] glc
	s_waitcnt vmcnt(0) lgkmcnt(0)
	v_max_f32_e32 v27, v27, v27
	v_max_f32_e32 v32, v34, v34
	;; [unrolled: 1-line block ×3, first 2 shown]
	flat_store_dword v[28:29], v27
	s_waitcnt vmcnt(0)
	s_or_b64 exec, exec, s[30:31]
	v_cmp_lt_i64_e32 vcc, v[18:19], v[30:31]
	s_and_saveexec_b64 s[30:31], vcc
	s_cbranch_execnz .LBB39_37
	s_branch .LBB39_38
.LBB39_48:
	v_cmp_eq_u32_e32 vcc, 0, v4
	v_cmp_lt_i64_e64 s[2:3], v[6:7], v[8:9]
	s_and_b64 s[22:23], vcc, s[2:3]
	s_mul_i32 s7, s19, s6
	s_mul_hi_u32 s16, s18, s6
	s_mul_i32 s2, s18, s6
	s_waitcnt lgkmcnt(0)
	s_barrier
	s_and_saveexec_b64 s[18:19], s[22:23]
	s_cbranch_execz .LBB39_52
; %bb.49:
	s_load_dwordx2 s[4:5], s[4:5], 0x20
	ds_read_b32 v1, v1
	s_waitcnt lgkmcnt(0)
	s_cmp_eq_u64 s[4:5], 0
	s_cbranch_scc1 .LBB39_51
; %bb.50:
	s_load_dword s3, s[4:5], 0x0
	v_max_f32_e32 v1, v1, v1
	s_waitcnt lgkmcnt(0)
	v_max_f32_e64 v4, s3, s3
	v_min_f32_e32 v1, v1, v4
.LBB39_51:
	s_mov_b32 s3, 0x43e00000
	v_div_scale_f32 v4, s[4:5], s3, s3, v1
	v_rcp_f32_e32 v5, v4
	v_div_scale_f32 v6, vcc, v1, s3, v1
	v_lshlrev_b64 v[2:3], 2, v[2:3]
	v_fma_f32 v7, -v4, v5, 1.0
	v_fmac_f32_e32 v5, v7, v5
	v_mul_f32_e32 v7, v6, v5
	v_fma_f32 v8, -v4, v7, v6
	v_fmac_f32_e32 v7, v8, v5
	v_fma_f32 v4, -v4, v7, v6
	v_div_fmas_f32 v4, v4, v5, v7
	v_div_fixup_f32 v1, v4, s3, v1
	s_add_i32 s3, s16, s7
	s_lshl_b64 s[4:5], s[2:3], 2
	s_add_u32 s3, s10, s4
	s_addc_u32 s4, s11, s5
	v_mov_b32_e32 v4, s4
	v_add_co_u32_e32 v2, vcc, s3, v2
	v_max_f32_e32 v1, 0x36924925, v1
	v_addc_co_u32_e32 v3, vcc, v4, v3, vcc
	global_store_dword v[2:3], v1, off
.LBB39_52:
	s_or_b64 exec, exec, s[18:19]
	s_barrier
	s_and_saveexec_b64 s[4:5], s[0:1]
	s_cbranch_execz .LBB39_157
; %bb.53:
	s_mul_i32 s0, s21, s6
	s_mul_hi_u32 s1, s17, s6
	s_add_i32 s1, s1, s0
	s_mul_i32 s0, s17, s6
	s_add_u32 s13, s8, s0
	s_addc_u32 s18, s9, s1
	s_add_i32 s3, s16, s7
	s_lshl_b64 s[0:1], s[2:3], 2
	s_add_u32 s0, s10, s0
	s_addc_u32 s1, s11, s1
	s_mul_i32 s19, s45, 3
	s_lshl_b32 s20, s45, 1
	s_mov_b64 s[2:3], 0
	v_mov_b32_e32 v1, 0
	v_mov_b32_e32 v14, s44
	;; [unrolled: 1-line block ×3, first 2 shown]
	s_mov_b32 s21, 0x43f00000
	s_mov_b32 s22, 0x3c7fffff
	;; [unrolled: 1-line block ×4, first 2 shown]
	s_movk_i32 s25, 0x80
	s_movk_i32 s26, 0xff
	s_branch .LBB39_59
.LBB39_54:                              ;   in Loop: Header=BB39_59 Depth=1
	s_or_b64 exec, exec, s[16:17]
.LBB39_55:                              ;   in Loop: Header=BB39_59 Depth=1
	s_or_b64 exec, exec, s[10:11]
	v_and_b32_sdwa v12, v8, s25 dst_sel:DWORD dst_unused:UNUSED_PAD src0_sel:BYTE_3 src1_sel:DWORD
	v_lshlrev_b64 v[8:9], 2, v[0:1]
	v_and_b32_sdwa v3, v3, s25 dst_sel:DWORD dst_unused:UNUSED_PAD src0_sel:BYTE_3 src1_sel:DWORD
	v_mov_b32_e32 v0, s18
	v_add_co_u32_e32 v8, vcc, s13, v8
	v_and_or_b32 v4, v4, s26, v12
	v_lshrrev_b32_e32 v11, 24, v11
	v_addc_co_u32_e32 v9, vcc, v0, v9, vcc
	v_lshlrev_b32_e32 v0, 24, v7
	v_and_b32_e32 v5, 0x80000000, v5
	v_lshlrev_b32_e32 v4, 16, v4
	v_and_or_b32 v2, v2, s26, v3
	v_and_b32_e32 v3, 0xff, v6
	v_or3_b32 v0, v5, v0, v4
	v_lshlrev_b32_e32 v2, 8, v2
	v_and_or_b32 v3, v11, s25, v3
	s_add_i32 s10, s45, s45
	v_or3_b32 v0, v0, v2, v3
	s_add_i32 s10, s10, s45
	global_store_dword v[8:9], v0, off
	v_add_u32_e32 v0, s10, v10
	v_cmp_le_u32_e32 vcc, s12, v0
	s_orn2_b64 s[10:11], vcc, exec
.LBB39_56:                              ;   in Loop: Header=BB39_59 Depth=1
	s_or_b64 exec, exec, s[8:9]
	s_orn2_b64 s[8:9], s[10:11], exec
.LBB39_57:                              ;   in Loop: Header=BB39_59 Depth=1
	s_or_b64 exec, exec, s[6:7]
	s_orn2_b64 s[6:7], s[8:9], exec
.LBB39_58:                              ;   in Loop: Header=BB39_59 Depth=1
	s_or_b64 exec, exec, s[4:5]
	s_and_b64 s[4:5], exec, s[6:7]
	s_or_b64 s[2:3], s[4:5], s[2:3]
	s_andn2_b64 exec, exec, s[2:3]
	s_cbranch_execz .LBB39_157
.LBB39_59:                              ; =>This Inner Loop Header: Depth=1
	v_lshlrev_b64 v[6:7], 4, v[0:1]
	v_add_co_u32_e32 v2, vcc, s33, v6
	v_addc_co_u32_e32 v3, vcc, v14, v7, vcc
	v_add_co_u32_e32 v6, vcc, s14, v6
	global_load_dwordx4 v[2:5], v[2:3], off
	v_addc_co_u32_e32 v7, vcc, v15, v7, vcc
	v_lshrrev_b32_e32 v10, 2, v0
	global_load_dwordx4 v[6:9], v[6:7], off
	v_and_b32_e32 v10, 0xffffffc, v10
	global_load_dword v11, v10, s[0:1]
	s_waitcnt vmcnt(2)
	v_mul_f32_e32 v2, v36, v2
	s_waitcnt vmcnt(1)
	v_mul_f32_e32 v6, v2, v6
	v_mov_b32_e32 v2, 0x7f
	s_waitcnt vmcnt(0)
	v_div_scale_f32 v10, s[4:5], v11, v11, v6
	v_rcp_f32_e32 v12, v10
	v_div_scale_f32 v13, vcc, v6, v11, v6
	v_fma_f32 v16, -v10, v12, 1.0
	v_fmac_f32_e32 v12, v16, v12
	v_mul_f32_e32 v16, v13, v12
	v_fma_f32 v17, -v10, v16, v13
	v_fmac_f32_e32 v16, v17, v12
	v_fma_f32 v10, -v10, v16, v13
	v_div_fmas_f32 v10, v10, v12, v16
	v_div_fixup_f32 v6, v10, v11, v6
	v_min_f32_e32 v6, 0x43e00000, v6
	v_max_f32_e32 v10, 0xc3e00000, v6
	v_and_b32_e32 v12, 0x7fffffff, v10
	v_cmp_gt_u32_e32 vcc, s21, v12
	v_mov_b32_e32 v6, 0x7f
	s_and_saveexec_b64 s[4:5], vcc
	s_cbranch_execz .LBB39_65
; %bb.60:                               ;   in Loop: Header=BB39_59 Depth=1
	v_cmp_lt_u32_e32 vcc, s22, v12
                                        ; implicit-def: $vgpr6
	s_and_saveexec_b64 s[6:7], vcc
	s_xor_b64 s[6:7], exec, s[6:7]
; %bb.61:                               ;   in Loop: Header=BB39_59 Depth=1
	v_bfe_u32 v6, v10, 20, 1
	v_add3_u32 v6, v10, v6, s23
	v_lshrrev_b32_e32 v6, 20, v6
; %bb.62:                               ;   in Loop: Header=BB39_59 Depth=1
	s_andn2_saveexec_b64 s[6:7], s[6:7]
; %bb.63:                               ;   in Loop: Header=BB39_59 Depth=1
	v_add_f32_e64 v6, |v10|, s24
; %bb.64:                               ;   in Loop: Header=BB39_59 Depth=1
	s_or_b64 exec, exec, s[6:7]
.LBB39_65:                              ;   in Loop: Header=BB39_59 Depth=1
	s_or_b64 exec, exec, s[4:5]
	v_mul_f32_e32 v3, v36, v3
	v_mul_f32_e32 v3, v3, v7
	v_div_scale_f32 v7, s[4:5], v11, v11, v3
	v_rcp_f32_e32 v12, v7
	v_div_scale_f32 v13, vcc, v3, v11, v3
	v_fma_f32 v16, -v7, v12, 1.0
	v_fmac_f32_e32 v12, v16, v12
	v_mul_f32_e32 v16, v13, v12
	v_fma_f32 v17, -v7, v16, v13
	v_fmac_f32_e32 v16, v17, v12
	v_fma_f32 v7, -v7, v16, v13
	v_div_fmas_f32 v7, v7, v12, v16
	v_div_fixup_f32 v3, v7, v11, v3
	v_min_f32_e32 v3, 0x43e00000, v3
	v_max_f32_e32 v3, 0xc3e00000, v3
	v_and_b32_e32 v7, 0x7fffffff, v3
	v_cmp_gt_u32_e32 vcc, s21, v7
	s_and_saveexec_b64 s[4:5], vcc
	s_cbranch_execz .LBB39_71
; %bb.66:                               ;   in Loop: Header=BB39_59 Depth=1
	v_cmp_lt_u32_e32 vcc, s22, v7
                                        ; implicit-def: $vgpr2
	s_and_saveexec_b64 s[6:7], vcc
	s_xor_b64 s[6:7], exec, s[6:7]
; %bb.67:                               ;   in Loop: Header=BB39_59 Depth=1
	v_bfe_u32 v2, v3, 20, 1
	v_add3_u32 v2, v3, v2, s23
	v_lshrrev_b32_e32 v2, 20, v2
; %bb.68:                               ;   in Loop: Header=BB39_59 Depth=1
	s_andn2_saveexec_b64 s[6:7], s[6:7]
; %bb.69:                               ;   in Loop: Header=BB39_59 Depth=1
	v_add_f32_e64 v2, |v3|, s24
; %bb.70:                               ;   in Loop: Header=BB39_59 Depth=1
	s_or_b64 exec, exec, s[6:7]
.LBB39_71:                              ;   in Loop: Header=BB39_59 Depth=1
	s_or_b64 exec, exec, s[4:5]
	v_mul_f32_e32 v4, v36, v4
	v_mul_f32_e32 v4, v4, v8
	v_div_scale_f32 v7, s[4:5], v11, v11, v4
	v_rcp_f32_e32 v8, v7
	v_div_scale_f32 v12, vcc, v4, v11, v4
	v_fma_f32 v13, -v7, v8, 1.0
	v_fmac_f32_e32 v8, v13, v8
	v_mul_f32_e32 v13, v12, v8
	v_fma_f32 v16, -v7, v13, v12
	v_fmac_f32_e32 v13, v16, v8
	v_fma_f32 v7, -v7, v13, v12
	v_div_fmas_f32 v7, v7, v8, v13
	v_div_fixup_f32 v4, v7, v11, v4
	v_min_f32_e32 v4, 0x43e00000, v4
	v_max_f32_e32 v8, 0xc3e00000, v4
	v_and_b32_e32 v12, 0x7fffffff, v8
	v_cmp_gt_u32_e32 vcc, s21, v12
	v_mov_b32_e32 v7, 0x7f
	v_mov_b32_e32 v4, 0x7f
	s_and_saveexec_b64 s[4:5], vcc
	s_cbranch_execz .LBB39_77
; %bb.72:                               ;   in Loop: Header=BB39_59 Depth=1
	v_cmp_lt_u32_e32 vcc, s22, v12
                                        ; implicit-def: $vgpr4
	s_and_saveexec_b64 s[6:7], vcc
	s_xor_b64 s[6:7], exec, s[6:7]
; %bb.73:                               ;   in Loop: Header=BB39_59 Depth=1
	v_bfe_u32 v4, v8, 20, 1
	v_add3_u32 v4, v8, v4, s23
	v_lshrrev_b32_e32 v4, 20, v4
; %bb.74:                               ;   in Loop: Header=BB39_59 Depth=1
	s_andn2_saveexec_b64 s[6:7], s[6:7]
; %bb.75:                               ;   in Loop: Header=BB39_59 Depth=1
	v_add_f32_e64 v4, |v8|, s24
; %bb.76:                               ;   in Loop: Header=BB39_59 Depth=1
	s_or_b64 exec, exec, s[6:7]
.LBB39_77:                              ;   in Loop: Header=BB39_59 Depth=1
	s_or_b64 exec, exec, s[4:5]
	v_mul_f32_e32 v5, v36, v5
	v_mul_f32_e32 v5, v5, v9
	v_div_scale_f32 v9, s[4:5], v11, v11, v5
	v_rcp_f32_e32 v12, v9
	v_div_scale_f32 v13, vcc, v5, v11, v5
	v_fma_f32 v16, -v9, v12, 1.0
	v_fmac_f32_e32 v12, v16, v12
	v_mul_f32_e32 v16, v13, v12
	v_fma_f32 v17, -v9, v16, v13
	v_fmac_f32_e32 v16, v17, v12
	v_fma_f32 v9, -v9, v16, v13
	v_div_fmas_f32 v9, v9, v12, v16
	v_div_fixup_f32 v5, v9, v11, v5
	v_min_f32_e32 v5, 0x43e00000, v5
	v_max_f32_e32 v5, 0xc3e00000, v5
	v_and_b32_e32 v9, 0x7fffffff, v5
	v_cmp_gt_u32_e32 vcc, s21, v9
	s_and_saveexec_b64 s[4:5], vcc
	s_cbranch_execz .LBB39_83
; %bb.78:                               ;   in Loop: Header=BB39_59 Depth=1
	v_cmp_lt_u32_e32 vcc, s22, v9
                                        ; implicit-def: $vgpr7
	s_and_saveexec_b64 s[6:7], vcc
	s_xor_b64 s[6:7], exec, s[6:7]
; %bb.79:                               ;   in Loop: Header=BB39_59 Depth=1
	v_bfe_u32 v7, v5, 20, 1
	v_add3_u32 v7, v5, v7, s23
	v_lshrrev_b32_e32 v7, 20, v7
; %bb.80:                               ;   in Loop: Header=BB39_59 Depth=1
	s_andn2_saveexec_b64 s[6:7], s[6:7]
; %bb.81:                               ;   in Loop: Header=BB39_59 Depth=1
	v_add_f32_e64 v7, |v5|, s24
; %bb.82:                               ;   in Loop: Header=BB39_59 Depth=1
	s_or_b64 exec, exec, s[6:7]
.LBB39_83:                              ;   in Loop: Header=BB39_59 Depth=1
	s_or_b64 exec, exec, s[4:5]
	v_and_b32_sdwa v11, v8, s25 dst_sel:DWORD dst_unused:UNUSED_PAD src0_sel:BYTE_3 src1_sel:DWORD
	v_and_b32_sdwa v3, v3, s25 dst_sel:DWORD dst_unused:UNUSED_PAD src0_sel:BYTE_3 src1_sel:DWORD
	v_lshlrev_b64 v[8:9], 2, v[0:1]
	v_and_or_b32 v4, v4, s26, v11
	v_lshrrev_b32_e32 v10, 24, v10
	v_mov_b32_e32 v12, s18
	v_add_co_u32_e32 v8, vcc, s13, v8
	v_lshlrev_b32_e32 v7, 24, v7
	v_and_b32_e32 v5, 0x80000000, v5
	v_lshlrev_b32_e32 v4, 16, v4
	v_and_or_b32 v2, v2, s26, v3
	v_and_b32_e32 v3, 0xff, v6
	v_addc_co_u32_e32 v9, vcc, v12, v9, vcc
	v_or3_b32 v4, v5, v7, v4
	v_lshlrev_b32_e32 v2, 8, v2
	v_and_or_b32 v3, v10, s25, v3
	v_add_u32_e32 v10, s45, v0
	v_or3_b32 v2, v4, v2, v3
	v_cmp_gt_u32_e32 vcc, s12, v10
	s_mov_b64 s[6:7], -1
	global_store_dword v[8:9], v2, off
	s_and_saveexec_b64 s[4:5], vcc
	s_cbranch_execz .LBB39_58
; %bb.84:                               ;   in Loop: Header=BB39_59 Depth=1
	v_mov_b32_e32 v11, v1
	v_lshlrev_b64 v[6:7], 4, v[10:11]
	v_mov_b32_e32 v3, s44
	v_add_co_u32_e32 v2, vcc, s33, v6
	v_addc_co_u32_e32 v3, vcc, v3, v7, vcc
	v_mov_b32_e32 v8, s15
	v_add_co_u32_e32 v6, vcc, s14, v6
	global_load_dwordx4 v[2:5], v[2:3], off
	v_addc_co_u32_e32 v7, vcc, v8, v7, vcc
	v_lshrrev_b32_e32 v12, 2, v10
	global_load_dwordx4 v[6:9], v[6:7], off
	v_and_b32_e32 v12, 0xffffffc, v12
	global_load_dword v13, v12, s[0:1]
	s_waitcnt vmcnt(2)
	v_mul_f32_e32 v2, v36, v2
	s_waitcnt vmcnt(1)
	v_mul_f32_e32 v6, v2, v6
	v_mov_b32_e32 v2, 0x7f
	s_waitcnt vmcnt(0)
	v_div_scale_f32 v12, s[6:7], v13, v13, v6
	v_rcp_f32_e32 v16, v12
	v_div_scale_f32 v17, vcc, v6, v13, v6
	v_fma_f32 v18, -v12, v16, 1.0
	v_fmac_f32_e32 v16, v18, v16
	v_mul_f32_e32 v18, v17, v16
	v_fma_f32 v19, -v12, v18, v17
	v_fmac_f32_e32 v18, v19, v16
	v_fma_f32 v12, -v12, v18, v17
	v_div_fmas_f32 v12, v12, v16, v18
	v_div_fixup_f32 v6, v12, v13, v6
	v_min_f32_e32 v6, 0x43e00000, v6
	v_max_f32_e32 v12, 0xc3e00000, v6
	v_and_b32_e32 v16, 0x7fffffff, v12
	v_cmp_gt_u32_e32 vcc, s21, v16
	v_mov_b32_e32 v6, 0x7f
	s_and_saveexec_b64 s[6:7], vcc
	s_cbranch_execz .LBB39_90
; %bb.85:                               ;   in Loop: Header=BB39_59 Depth=1
	v_cmp_lt_u32_e32 vcc, s22, v16
                                        ; implicit-def: $vgpr6
	s_and_saveexec_b64 s[8:9], vcc
	s_xor_b64 s[8:9], exec, s[8:9]
; %bb.86:                               ;   in Loop: Header=BB39_59 Depth=1
	v_bfe_u32 v6, v12, 20, 1
	v_add3_u32 v6, v12, v6, s23
	v_lshrrev_b32_e32 v6, 20, v6
; %bb.87:                               ;   in Loop: Header=BB39_59 Depth=1
	s_andn2_saveexec_b64 s[8:9], s[8:9]
; %bb.88:                               ;   in Loop: Header=BB39_59 Depth=1
	v_add_f32_e64 v6, |v12|, s24
; %bb.89:                               ;   in Loop: Header=BB39_59 Depth=1
	s_or_b64 exec, exec, s[8:9]
.LBB39_90:                              ;   in Loop: Header=BB39_59 Depth=1
	s_or_b64 exec, exec, s[6:7]
	v_mul_f32_e32 v3, v36, v3
	v_mul_f32_e32 v3, v3, v7
	v_div_scale_f32 v7, s[6:7], v13, v13, v3
	v_rcp_f32_e32 v16, v7
	v_div_scale_f32 v17, vcc, v3, v13, v3
	v_fma_f32 v18, -v7, v16, 1.0
	v_fmac_f32_e32 v16, v18, v16
	v_mul_f32_e32 v18, v17, v16
	v_fma_f32 v19, -v7, v18, v17
	v_fmac_f32_e32 v18, v19, v16
	v_fma_f32 v7, -v7, v18, v17
	v_div_fmas_f32 v7, v7, v16, v18
	v_div_fixup_f32 v3, v7, v13, v3
	v_min_f32_e32 v3, 0x43e00000, v3
	v_max_f32_e32 v3, 0xc3e00000, v3
	v_and_b32_e32 v7, 0x7fffffff, v3
	v_cmp_gt_u32_e32 vcc, s21, v7
	s_and_saveexec_b64 s[6:7], vcc
	s_cbranch_execz .LBB39_96
; %bb.91:                               ;   in Loop: Header=BB39_59 Depth=1
	v_cmp_lt_u32_e32 vcc, s22, v7
                                        ; implicit-def: $vgpr2
	s_and_saveexec_b64 s[8:9], vcc
	s_xor_b64 s[8:9], exec, s[8:9]
; %bb.92:                               ;   in Loop: Header=BB39_59 Depth=1
	v_bfe_u32 v2, v3, 20, 1
	v_add3_u32 v2, v3, v2, s23
	v_lshrrev_b32_e32 v2, 20, v2
; %bb.93:                               ;   in Loop: Header=BB39_59 Depth=1
	s_andn2_saveexec_b64 s[8:9], s[8:9]
; %bb.94:                               ;   in Loop: Header=BB39_59 Depth=1
	v_add_f32_e64 v2, |v3|, s24
; %bb.95:                               ;   in Loop: Header=BB39_59 Depth=1
	s_or_b64 exec, exec, s[8:9]
.LBB39_96:                              ;   in Loop: Header=BB39_59 Depth=1
	s_or_b64 exec, exec, s[6:7]
	v_mul_f32_e32 v4, v36, v4
	v_mul_f32_e32 v4, v4, v8
	v_div_scale_f32 v7, s[6:7], v13, v13, v4
	v_rcp_f32_e32 v8, v7
	v_div_scale_f32 v16, vcc, v4, v13, v4
	v_fma_f32 v17, -v7, v8, 1.0
	v_fmac_f32_e32 v8, v17, v8
	v_mul_f32_e32 v17, v16, v8
	v_fma_f32 v18, -v7, v17, v16
	v_fmac_f32_e32 v17, v18, v8
	v_fma_f32 v7, -v7, v17, v16
	v_div_fmas_f32 v7, v7, v8, v17
	v_div_fixup_f32 v4, v7, v13, v4
	v_min_f32_e32 v4, 0x43e00000, v4
	v_max_f32_e32 v8, 0xc3e00000, v4
	v_and_b32_e32 v16, 0x7fffffff, v8
	v_cmp_gt_u32_e32 vcc, s21, v16
	v_mov_b32_e32 v7, 0x7f
	v_mov_b32_e32 v4, 0x7f
	s_and_saveexec_b64 s[6:7], vcc
	s_cbranch_execz .LBB39_102
; %bb.97:                               ;   in Loop: Header=BB39_59 Depth=1
	v_cmp_lt_u32_e32 vcc, s22, v16
                                        ; implicit-def: $vgpr4
	s_and_saveexec_b64 s[8:9], vcc
	s_xor_b64 s[8:9], exec, s[8:9]
; %bb.98:                               ;   in Loop: Header=BB39_59 Depth=1
	v_bfe_u32 v4, v8, 20, 1
	v_add3_u32 v4, v8, v4, s23
	v_lshrrev_b32_e32 v4, 20, v4
; %bb.99:                               ;   in Loop: Header=BB39_59 Depth=1
	s_andn2_saveexec_b64 s[8:9], s[8:9]
; %bb.100:                              ;   in Loop: Header=BB39_59 Depth=1
	v_add_f32_e64 v4, |v8|, s24
; %bb.101:                              ;   in Loop: Header=BB39_59 Depth=1
	s_or_b64 exec, exec, s[8:9]
.LBB39_102:                             ;   in Loop: Header=BB39_59 Depth=1
	s_or_b64 exec, exec, s[6:7]
	v_mul_f32_e32 v5, v36, v5
	v_mul_f32_e32 v5, v5, v9
	v_div_scale_f32 v9, s[6:7], v13, v13, v5
	v_rcp_f32_e32 v16, v9
	v_div_scale_f32 v17, vcc, v5, v13, v5
	v_fma_f32 v18, -v9, v16, 1.0
	v_fmac_f32_e32 v16, v18, v16
	v_mul_f32_e32 v18, v17, v16
	v_fma_f32 v19, -v9, v18, v17
	v_fmac_f32_e32 v18, v19, v16
	v_fma_f32 v9, -v9, v18, v17
	v_div_fmas_f32 v9, v9, v16, v18
	v_div_fixup_f32 v5, v9, v13, v5
	v_min_f32_e32 v5, 0x43e00000, v5
	v_max_f32_e32 v5, 0xc3e00000, v5
	v_and_b32_e32 v9, 0x7fffffff, v5
	v_cmp_gt_u32_e32 vcc, s21, v9
	s_and_saveexec_b64 s[6:7], vcc
	s_cbranch_execz .LBB39_108
; %bb.103:                              ;   in Loop: Header=BB39_59 Depth=1
	v_cmp_lt_u32_e32 vcc, s22, v9
                                        ; implicit-def: $vgpr7
	s_and_saveexec_b64 s[8:9], vcc
	s_xor_b64 s[8:9], exec, s[8:9]
; %bb.104:                              ;   in Loop: Header=BB39_59 Depth=1
	v_bfe_u32 v7, v5, 20, 1
	v_add3_u32 v7, v5, v7, s23
	v_lshrrev_b32_e32 v7, 20, v7
; %bb.105:                              ;   in Loop: Header=BB39_59 Depth=1
	s_andn2_saveexec_b64 s[8:9], s[8:9]
; %bb.106:                              ;   in Loop: Header=BB39_59 Depth=1
	v_add_f32_e64 v7, |v5|, s24
; %bb.107:                              ;   in Loop: Header=BB39_59 Depth=1
	s_or_b64 exec, exec, s[8:9]
.LBB39_108:                             ;   in Loop: Header=BB39_59 Depth=1
	s_or_b64 exec, exec, s[6:7]
	v_and_b32_sdwa v13, v8, s25 dst_sel:DWORD dst_unused:UNUSED_PAD src0_sel:BYTE_3 src1_sel:DWORD
	v_and_b32_sdwa v3, v3, s25 dst_sel:DWORD dst_unused:UNUSED_PAD src0_sel:BYTE_3 src1_sel:DWORD
	v_lshlrev_b64 v[8:9], 2, v[10:11]
	v_and_or_b32 v4, v4, s26, v13
	v_lshrrev_b32_e32 v12, 24, v12
	v_mov_b32_e32 v11, s18
	v_add_co_u32_e32 v8, vcc, s13, v8
	v_lshlrev_b32_e32 v7, 24, v7
	v_and_b32_e32 v5, 0x80000000, v5
	v_lshlrev_b32_e32 v4, 16, v4
	v_and_or_b32 v2, v2, s26, v3
	v_and_b32_e32 v3, 0xff, v6
	v_addc_co_u32_e32 v9, vcc, v11, v9, vcc
	v_or3_b32 v4, v5, v7, v4
	v_lshlrev_b32_e32 v2, 8, v2
	v_and_or_b32 v3, v12, s25, v3
	v_add_u32_e32 v12, s20, v0
	v_or3_b32 v2, v4, v2, v3
	v_cmp_gt_u32_e32 vcc, s12, v12
	s_mov_b64 s[8:9], -1
	global_store_dword v[8:9], v2, off
	s_and_saveexec_b64 s[6:7], vcc
	s_cbranch_execz .LBB39_57
; %bb.109:                              ;   in Loop: Header=BB39_59 Depth=1
	v_mov_b32_e32 v13, v1
	v_lshlrev_b64 v[6:7], 4, v[12:13]
	v_mov_b32_e32 v3, s44
	v_add_co_u32_e32 v2, vcc, s33, v6
	v_addc_co_u32_e32 v3, vcc, v3, v7, vcc
	v_mov_b32_e32 v8, s15
	v_add_co_u32_e32 v6, vcc, s14, v6
	global_load_dwordx4 v[2:5], v[2:3], off
	v_addc_co_u32_e32 v7, vcc, v8, v7, vcc
	v_lshrrev_b32_e32 v11, 2, v12
	global_load_dwordx4 v[6:9], v[6:7], off
	v_and_b32_e32 v11, 0xffffffc, v11
	global_load_dword v16, v11, s[0:1]
	s_waitcnt vmcnt(2)
	v_mul_f32_e32 v2, v36, v2
	s_waitcnt vmcnt(1)
	v_mul_f32_e32 v6, v2, v6
	v_mov_b32_e32 v2, 0x7f
	s_waitcnt vmcnt(0)
	v_div_scale_f32 v11, s[8:9], v16, v16, v6
	v_rcp_f32_e32 v17, v11
	v_div_scale_f32 v18, vcc, v6, v16, v6
	v_fma_f32 v19, -v11, v17, 1.0
	v_fmac_f32_e32 v17, v19, v17
	v_mul_f32_e32 v19, v18, v17
	v_fma_f32 v20, -v11, v19, v18
	v_fmac_f32_e32 v19, v20, v17
	v_fma_f32 v11, -v11, v19, v18
	v_div_fmas_f32 v11, v11, v17, v19
	v_div_fixup_f32 v6, v11, v16, v6
	v_min_f32_e32 v6, 0x43e00000, v6
	v_max_f32_e32 v11, 0xc3e00000, v6
	v_and_b32_e32 v17, 0x7fffffff, v11
	v_cmp_gt_u32_e32 vcc, s21, v17
	v_mov_b32_e32 v6, 0x7f
	s_and_saveexec_b64 s[8:9], vcc
	s_cbranch_execz .LBB39_115
; %bb.110:                              ;   in Loop: Header=BB39_59 Depth=1
	v_cmp_lt_u32_e32 vcc, s22, v17
                                        ; implicit-def: $vgpr6
	s_and_saveexec_b64 s[10:11], vcc
	s_xor_b64 s[10:11], exec, s[10:11]
; %bb.111:                              ;   in Loop: Header=BB39_59 Depth=1
	v_bfe_u32 v6, v11, 20, 1
	v_add3_u32 v6, v11, v6, s23
	v_lshrrev_b32_e32 v6, 20, v6
; %bb.112:                              ;   in Loop: Header=BB39_59 Depth=1
	s_andn2_saveexec_b64 s[10:11], s[10:11]
; %bb.113:                              ;   in Loop: Header=BB39_59 Depth=1
	v_add_f32_e64 v6, |v11|, s24
; %bb.114:                              ;   in Loop: Header=BB39_59 Depth=1
	s_or_b64 exec, exec, s[10:11]
.LBB39_115:                             ;   in Loop: Header=BB39_59 Depth=1
	s_or_b64 exec, exec, s[8:9]
	v_mul_f32_e32 v3, v36, v3
	v_mul_f32_e32 v3, v3, v7
	v_div_scale_f32 v7, s[8:9], v16, v16, v3
	v_rcp_f32_e32 v17, v7
	v_div_scale_f32 v18, vcc, v3, v16, v3
	v_fma_f32 v19, -v7, v17, 1.0
	v_fmac_f32_e32 v17, v19, v17
	v_mul_f32_e32 v19, v18, v17
	v_fma_f32 v20, -v7, v19, v18
	v_fmac_f32_e32 v19, v20, v17
	v_fma_f32 v7, -v7, v19, v18
	v_div_fmas_f32 v7, v7, v17, v19
	v_div_fixup_f32 v3, v7, v16, v3
	v_min_f32_e32 v3, 0x43e00000, v3
	v_max_f32_e32 v3, 0xc3e00000, v3
	v_and_b32_e32 v7, 0x7fffffff, v3
	v_cmp_gt_u32_e32 vcc, s21, v7
	s_and_saveexec_b64 s[8:9], vcc
	s_cbranch_execz .LBB39_121
; %bb.116:                              ;   in Loop: Header=BB39_59 Depth=1
	v_cmp_lt_u32_e32 vcc, s22, v7
                                        ; implicit-def: $vgpr2
	s_and_saveexec_b64 s[10:11], vcc
	s_xor_b64 s[10:11], exec, s[10:11]
; %bb.117:                              ;   in Loop: Header=BB39_59 Depth=1
	v_bfe_u32 v2, v3, 20, 1
	v_add3_u32 v2, v3, v2, s23
	v_lshrrev_b32_e32 v2, 20, v2
; %bb.118:                              ;   in Loop: Header=BB39_59 Depth=1
	s_andn2_saveexec_b64 s[10:11], s[10:11]
; %bb.119:                              ;   in Loop: Header=BB39_59 Depth=1
	v_add_f32_e64 v2, |v3|, s24
; %bb.120:                              ;   in Loop: Header=BB39_59 Depth=1
	s_or_b64 exec, exec, s[10:11]
.LBB39_121:                             ;   in Loop: Header=BB39_59 Depth=1
	s_or_b64 exec, exec, s[8:9]
	v_mul_f32_e32 v4, v36, v4
	v_mul_f32_e32 v4, v4, v8
	v_div_scale_f32 v7, s[8:9], v16, v16, v4
	v_rcp_f32_e32 v8, v7
	v_div_scale_f32 v17, vcc, v4, v16, v4
	v_fma_f32 v18, -v7, v8, 1.0
	v_fmac_f32_e32 v8, v18, v8
	v_mul_f32_e32 v18, v17, v8
	v_fma_f32 v19, -v7, v18, v17
	v_fmac_f32_e32 v18, v19, v8
	v_fma_f32 v7, -v7, v18, v17
	v_div_fmas_f32 v7, v7, v8, v18
	v_div_fixup_f32 v4, v7, v16, v4
	v_min_f32_e32 v4, 0x43e00000, v4
	v_max_f32_e32 v8, 0xc3e00000, v4
	v_and_b32_e32 v17, 0x7fffffff, v8
	v_cmp_gt_u32_e32 vcc, s21, v17
	v_mov_b32_e32 v7, 0x7f
	v_mov_b32_e32 v4, 0x7f
	s_and_saveexec_b64 s[8:9], vcc
	s_cbranch_execz .LBB39_127
; %bb.122:                              ;   in Loop: Header=BB39_59 Depth=1
	v_cmp_lt_u32_e32 vcc, s22, v17
                                        ; implicit-def: $vgpr4
	s_and_saveexec_b64 s[10:11], vcc
	s_xor_b64 s[10:11], exec, s[10:11]
; %bb.123:                              ;   in Loop: Header=BB39_59 Depth=1
	v_bfe_u32 v4, v8, 20, 1
	v_add3_u32 v4, v8, v4, s23
	v_lshrrev_b32_e32 v4, 20, v4
; %bb.124:                              ;   in Loop: Header=BB39_59 Depth=1
	s_andn2_saveexec_b64 s[10:11], s[10:11]
; %bb.125:                              ;   in Loop: Header=BB39_59 Depth=1
	v_add_f32_e64 v4, |v8|, s24
; %bb.126:                              ;   in Loop: Header=BB39_59 Depth=1
	s_or_b64 exec, exec, s[10:11]
.LBB39_127:                             ;   in Loop: Header=BB39_59 Depth=1
	s_or_b64 exec, exec, s[8:9]
	v_mul_f32_e32 v5, v36, v5
	v_mul_f32_e32 v5, v5, v9
	v_div_scale_f32 v9, s[8:9], v16, v16, v5
	v_rcp_f32_e32 v17, v9
	v_div_scale_f32 v18, vcc, v5, v16, v5
	v_fma_f32 v19, -v9, v17, 1.0
	v_fmac_f32_e32 v17, v19, v17
	v_mul_f32_e32 v19, v18, v17
	v_fma_f32 v20, -v9, v19, v18
	v_fmac_f32_e32 v19, v20, v17
	v_fma_f32 v9, -v9, v19, v18
	v_div_fmas_f32 v9, v9, v17, v19
	v_div_fixup_f32 v5, v9, v16, v5
	v_min_f32_e32 v5, 0x43e00000, v5
	v_max_f32_e32 v5, 0xc3e00000, v5
	v_and_b32_e32 v9, 0x7fffffff, v5
	v_cmp_gt_u32_e32 vcc, s21, v9
	s_and_saveexec_b64 s[8:9], vcc
	s_cbranch_execz .LBB39_133
; %bb.128:                              ;   in Loop: Header=BB39_59 Depth=1
	v_cmp_lt_u32_e32 vcc, s22, v9
                                        ; implicit-def: $vgpr7
	s_and_saveexec_b64 s[10:11], vcc
	s_xor_b64 s[10:11], exec, s[10:11]
; %bb.129:                              ;   in Loop: Header=BB39_59 Depth=1
	v_bfe_u32 v7, v5, 20, 1
	v_add3_u32 v7, v5, v7, s23
	v_lshrrev_b32_e32 v7, 20, v7
; %bb.130:                              ;   in Loop: Header=BB39_59 Depth=1
	s_andn2_saveexec_b64 s[10:11], s[10:11]
; %bb.131:                              ;   in Loop: Header=BB39_59 Depth=1
	v_add_f32_e64 v7, |v5|, s24
; %bb.132:                              ;   in Loop: Header=BB39_59 Depth=1
	s_or_b64 exec, exec, s[10:11]
.LBB39_133:                             ;   in Loop: Header=BB39_59 Depth=1
	s_or_b64 exec, exec, s[8:9]
	v_and_b32_sdwa v16, v8, s25 dst_sel:DWORD dst_unused:UNUSED_PAD src0_sel:BYTE_3 src1_sel:DWORD
	v_and_b32_sdwa v3, v3, s25 dst_sel:DWORD dst_unused:UNUSED_PAD src0_sel:BYTE_3 src1_sel:DWORD
	v_lshlrev_b64 v[8:9], 2, v[12:13]
	v_and_or_b32 v4, v4, s26, v16
	v_lshrrev_b32_e32 v11, 24, v11
	v_mov_b32_e32 v12, s18
	v_add_co_u32_e32 v8, vcc, s13, v8
	v_lshlrev_b32_e32 v7, 24, v7
	v_and_b32_e32 v5, 0x80000000, v5
	v_lshlrev_b32_e32 v4, 16, v4
	v_and_or_b32 v2, v2, s26, v3
	v_and_b32_e32 v3, 0xff, v6
	v_addc_co_u32_e32 v9, vcc, v12, v9, vcc
	v_or3_b32 v4, v5, v7, v4
	v_lshlrev_b32_e32 v2, 8, v2
	v_and_or_b32 v3, v11, s25, v3
	v_add_u32_e32 v0, s19, v0
	v_or3_b32 v2, v4, v2, v3
	v_cmp_gt_u32_e32 vcc, s12, v0
	s_mov_b64 s[10:11], -1
	global_store_dword v[8:9], v2, off
	s_and_saveexec_b64 s[8:9], vcc
	s_cbranch_execz .LBB39_56
; %bb.134:                              ;   in Loop: Header=BB39_59 Depth=1
	v_lshlrev_b64 v[6:7], 4, v[0:1]
	v_mov_b32_e32 v3, s44
	v_add_co_u32_e32 v2, vcc, s33, v6
	v_addc_co_u32_e32 v3, vcc, v3, v7, vcc
	v_mov_b32_e32 v8, s15
	v_add_co_u32_e32 v6, vcc, s14, v6
	global_load_dwordx4 v[2:5], v[2:3], off
	v_addc_co_u32_e32 v7, vcc, v8, v7, vcc
	v_lshrrev_b32_e32 v11, 2, v0
	global_load_dwordx4 v[6:9], v[6:7], off
	v_and_b32_e32 v11, 0xffffffc, v11
	global_load_dword v12, v11, s[0:1]
	s_waitcnt vmcnt(2)
	v_mul_f32_e32 v2, v36, v2
	s_waitcnt vmcnt(1)
	v_mul_f32_e32 v6, v2, v6
	v_mov_b32_e32 v2, 0x7f
	s_waitcnt vmcnt(0)
	v_div_scale_f32 v11, s[10:11], v12, v12, v6
	v_rcp_f32_e32 v13, v11
	v_div_scale_f32 v16, vcc, v6, v12, v6
	v_fma_f32 v17, -v11, v13, 1.0
	v_fmac_f32_e32 v13, v17, v13
	v_mul_f32_e32 v17, v16, v13
	v_fma_f32 v18, -v11, v17, v16
	v_fmac_f32_e32 v17, v18, v13
	v_fma_f32 v11, -v11, v17, v16
	v_div_fmas_f32 v11, v11, v13, v17
	v_div_fixup_f32 v6, v11, v12, v6
	v_min_f32_e32 v6, 0x43e00000, v6
	v_max_f32_e32 v11, 0xc3e00000, v6
	v_and_b32_e32 v13, 0x7fffffff, v11
	v_cmp_gt_u32_e32 vcc, s21, v13
	v_mov_b32_e32 v6, 0x7f
	s_and_saveexec_b64 s[10:11], vcc
	s_cbranch_execz .LBB39_140
; %bb.135:                              ;   in Loop: Header=BB39_59 Depth=1
	v_cmp_lt_u32_e32 vcc, s22, v13
                                        ; implicit-def: $vgpr6
	s_and_saveexec_b64 s[16:17], vcc
	s_xor_b64 s[16:17], exec, s[16:17]
; %bb.136:                              ;   in Loop: Header=BB39_59 Depth=1
	v_bfe_u32 v6, v11, 20, 1
	v_add3_u32 v6, v11, v6, s23
	v_lshrrev_b32_e32 v6, 20, v6
; %bb.137:                              ;   in Loop: Header=BB39_59 Depth=1
	s_andn2_saveexec_b64 s[16:17], s[16:17]
; %bb.138:                              ;   in Loop: Header=BB39_59 Depth=1
	v_add_f32_e64 v6, |v11|, s24
; %bb.139:                              ;   in Loop: Header=BB39_59 Depth=1
	s_or_b64 exec, exec, s[16:17]
.LBB39_140:                             ;   in Loop: Header=BB39_59 Depth=1
	s_or_b64 exec, exec, s[10:11]
	v_mul_f32_e32 v3, v36, v3
	v_mul_f32_e32 v3, v3, v7
	v_div_scale_f32 v7, s[10:11], v12, v12, v3
	v_rcp_f32_e32 v13, v7
	v_div_scale_f32 v16, vcc, v3, v12, v3
	v_fma_f32 v17, -v7, v13, 1.0
	v_fmac_f32_e32 v13, v17, v13
	v_mul_f32_e32 v17, v16, v13
	v_fma_f32 v18, -v7, v17, v16
	v_fmac_f32_e32 v17, v18, v13
	v_fma_f32 v7, -v7, v17, v16
	v_div_fmas_f32 v7, v7, v13, v17
	v_div_fixup_f32 v3, v7, v12, v3
	v_min_f32_e32 v3, 0x43e00000, v3
	v_max_f32_e32 v3, 0xc3e00000, v3
	v_and_b32_e32 v7, 0x7fffffff, v3
	v_cmp_gt_u32_e32 vcc, s21, v7
	s_and_saveexec_b64 s[10:11], vcc
	s_cbranch_execz .LBB39_146
; %bb.141:                              ;   in Loop: Header=BB39_59 Depth=1
	v_cmp_lt_u32_e32 vcc, s22, v7
                                        ; implicit-def: $vgpr2
	s_and_saveexec_b64 s[16:17], vcc
	s_xor_b64 s[16:17], exec, s[16:17]
; %bb.142:                              ;   in Loop: Header=BB39_59 Depth=1
	v_bfe_u32 v2, v3, 20, 1
	v_add3_u32 v2, v3, v2, s23
	v_lshrrev_b32_e32 v2, 20, v2
; %bb.143:                              ;   in Loop: Header=BB39_59 Depth=1
	s_andn2_saveexec_b64 s[16:17], s[16:17]
; %bb.144:                              ;   in Loop: Header=BB39_59 Depth=1
	v_add_f32_e64 v2, |v3|, s24
; %bb.145:                              ;   in Loop: Header=BB39_59 Depth=1
	s_or_b64 exec, exec, s[16:17]
.LBB39_146:                             ;   in Loop: Header=BB39_59 Depth=1
	s_or_b64 exec, exec, s[10:11]
	v_mul_f32_e32 v4, v36, v4
	v_mul_f32_e32 v4, v4, v8
	v_div_scale_f32 v7, s[10:11], v12, v12, v4
	v_rcp_f32_e32 v8, v7
	v_div_scale_f32 v13, vcc, v4, v12, v4
	v_fma_f32 v16, -v7, v8, 1.0
	v_fmac_f32_e32 v8, v16, v8
	v_mul_f32_e32 v16, v13, v8
	v_fma_f32 v17, -v7, v16, v13
	v_fmac_f32_e32 v16, v17, v8
	v_fma_f32 v7, -v7, v16, v13
	v_div_fmas_f32 v7, v7, v8, v16
	v_div_fixup_f32 v4, v7, v12, v4
	v_min_f32_e32 v4, 0x43e00000, v4
	v_max_f32_e32 v8, 0xc3e00000, v4
	v_and_b32_e32 v13, 0x7fffffff, v8
	v_cmp_gt_u32_e32 vcc, s21, v13
	v_mov_b32_e32 v7, 0x7f
	v_mov_b32_e32 v4, 0x7f
	s_and_saveexec_b64 s[10:11], vcc
	s_cbranch_execz .LBB39_152
; %bb.147:                              ;   in Loop: Header=BB39_59 Depth=1
	v_cmp_lt_u32_e32 vcc, s22, v13
                                        ; implicit-def: $vgpr4
	s_and_saveexec_b64 s[16:17], vcc
	s_xor_b64 s[16:17], exec, s[16:17]
; %bb.148:                              ;   in Loop: Header=BB39_59 Depth=1
	v_bfe_u32 v4, v8, 20, 1
	v_add3_u32 v4, v8, v4, s23
	v_lshrrev_b32_e32 v4, 20, v4
; %bb.149:                              ;   in Loop: Header=BB39_59 Depth=1
	s_andn2_saveexec_b64 s[16:17], s[16:17]
; %bb.150:                              ;   in Loop: Header=BB39_59 Depth=1
	v_add_f32_e64 v4, |v8|, s24
; %bb.151:                              ;   in Loop: Header=BB39_59 Depth=1
	s_or_b64 exec, exec, s[16:17]
.LBB39_152:                             ;   in Loop: Header=BB39_59 Depth=1
	s_or_b64 exec, exec, s[10:11]
	v_mul_f32_e32 v5, v36, v5
	v_mul_f32_e32 v5, v5, v9
	v_div_scale_f32 v9, s[10:11], v12, v12, v5
	v_rcp_f32_e32 v13, v9
	v_div_scale_f32 v16, vcc, v5, v12, v5
	v_fma_f32 v17, -v9, v13, 1.0
	v_fmac_f32_e32 v13, v17, v13
	v_mul_f32_e32 v17, v16, v13
	v_fma_f32 v18, -v9, v17, v16
	v_fmac_f32_e32 v17, v18, v13
	v_fma_f32 v9, -v9, v17, v16
	v_div_fmas_f32 v9, v9, v13, v17
	v_div_fixup_f32 v5, v9, v12, v5
	v_min_f32_e32 v5, 0x43e00000, v5
	v_max_f32_e32 v5, 0xc3e00000, v5
	v_and_b32_e32 v9, 0x7fffffff, v5
	v_cmp_gt_u32_e32 vcc, s21, v9
	s_and_saveexec_b64 s[10:11], vcc
	s_cbranch_execz .LBB39_55
; %bb.153:                              ;   in Loop: Header=BB39_59 Depth=1
	v_cmp_lt_u32_e32 vcc, s22, v9
                                        ; implicit-def: $vgpr7
	s_and_saveexec_b64 s[16:17], vcc
	s_xor_b64 s[16:17], exec, s[16:17]
; %bb.154:                              ;   in Loop: Header=BB39_59 Depth=1
	v_bfe_u32 v7, v5, 20, 1
	v_add3_u32 v7, v5, v7, s23
	v_lshrrev_b32_e32 v7, 20, v7
; %bb.155:                              ;   in Loop: Header=BB39_59 Depth=1
	s_andn2_saveexec_b64 s[16:17], s[16:17]
	s_cbranch_execz .LBB39_54
; %bb.156:                              ;   in Loop: Header=BB39_59 Depth=1
	v_add_f32_e64 v7, |v5|, s24
	s_branch .LBB39_54
.LBB39_157:
	s_endpgm
	.section	.rodata,"a",@progbits
	.p2align	6, 0x0
	.amdhsa_kernel _ZN4vllm31rms_norm_per_block_quant_kernelIfN3c1013Float8_e4m3fnELb0ELb0ELi64EEEvPT0_PfPKT_S8_PKffiiPS6_l
		.amdhsa_group_segment_fixed_size 4164
		.amdhsa_private_segment_fixed_size 0
		.amdhsa_kernarg_size 328
		.amdhsa_user_sgpr_count 6
		.amdhsa_user_sgpr_private_segment_buffer 1
		.amdhsa_user_sgpr_dispatch_ptr 0
		.amdhsa_user_sgpr_queue_ptr 0
		.amdhsa_user_sgpr_kernarg_segment_ptr 1
		.amdhsa_user_sgpr_dispatch_id 0
		.amdhsa_user_sgpr_flat_scratch_init 0
		.amdhsa_user_sgpr_kernarg_preload_length 0
		.amdhsa_user_sgpr_kernarg_preload_offset 0
		.amdhsa_user_sgpr_private_segment_size 0
		.amdhsa_uses_dynamic_stack 0
		.amdhsa_system_sgpr_private_segment_wavefront_offset 0
		.amdhsa_system_sgpr_workgroup_id_x 1
		.amdhsa_system_sgpr_workgroup_id_y 0
		.amdhsa_system_sgpr_workgroup_id_z 0
		.amdhsa_system_sgpr_workgroup_info 0
		.amdhsa_system_vgpr_workitem_id 0
		.amdhsa_next_free_vgpr 40
		.amdhsa_next_free_sgpr 46
		.amdhsa_accum_offset 40
		.amdhsa_reserve_vcc 1
		.amdhsa_reserve_flat_scratch 0
		.amdhsa_float_round_mode_32 0
		.amdhsa_float_round_mode_16_64 0
		.amdhsa_float_denorm_mode_32 3
		.amdhsa_float_denorm_mode_16_64 3
		.amdhsa_dx10_clamp 1
		.amdhsa_ieee_mode 1
		.amdhsa_fp16_overflow 0
		.amdhsa_tg_split 0
		.amdhsa_exception_fp_ieee_invalid_op 0
		.amdhsa_exception_fp_denorm_src 0
		.amdhsa_exception_fp_ieee_div_zero 0
		.amdhsa_exception_fp_ieee_overflow 0
		.amdhsa_exception_fp_ieee_underflow 0
		.amdhsa_exception_fp_ieee_inexact 0
		.amdhsa_exception_int_div_zero 0
	.end_amdhsa_kernel
	.section	.text._ZN4vllm31rms_norm_per_block_quant_kernelIfN3c1013Float8_e4m3fnELb0ELb0ELi64EEEvPT0_PfPKT_S8_PKffiiPS6_l,"axG",@progbits,_ZN4vllm31rms_norm_per_block_quant_kernelIfN3c1013Float8_e4m3fnELb0ELb0ELi64EEEvPT0_PfPKT_S8_PKffiiPS6_l,comdat
.Lfunc_end39:
	.size	_ZN4vllm31rms_norm_per_block_quant_kernelIfN3c1013Float8_e4m3fnELb0ELb0ELi64EEEvPT0_PfPKT_S8_PKffiiPS6_l, .Lfunc_end39-_ZN4vllm31rms_norm_per_block_quant_kernelIfN3c1013Float8_e4m3fnELb0ELb0ELi64EEEvPT0_PfPKT_S8_PKffiiPS6_l
                                        ; -- End function
	.section	.AMDGPU.csdata,"",@progbits
; Kernel info:
; codeLenInByte = 7460
; NumSgprs: 50
; NumVgprs: 40
; NumAgprs: 0
; TotalNumVgprs: 40
; ScratchSize: 0
; MemoryBound: 0
; FloatMode: 240
; IeeeMode: 1
; LDSByteSize: 4164 bytes/workgroup (compile time only)
; SGPRBlocks: 6
; VGPRBlocks: 4
; NumSGPRsForWavesPerEU: 50
; NumVGPRsForWavesPerEU: 40
; AccumOffset: 40
; Occupancy: 8
; WaveLimiterHint : 0
; COMPUTE_PGM_RSRC2:SCRATCH_EN: 0
; COMPUTE_PGM_RSRC2:USER_SGPR: 6
; COMPUTE_PGM_RSRC2:TRAP_HANDLER: 0
; COMPUTE_PGM_RSRC2:TGID_X_EN: 1
; COMPUTE_PGM_RSRC2:TGID_Y_EN: 0
; COMPUTE_PGM_RSRC2:TGID_Z_EN: 0
; COMPUTE_PGM_RSRC2:TIDIG_COMP_CNT: 0
; COMPUTE_PGM_RSRC3_GFX90A:ACCUM_OFFSET: 9
; COMPUTE_PGM_RSRC3_GFX90A:TG_SPLIT: 0
	.section	.text._ZN4vllm31rms_norm_per_block_quant_kernelIfN3c1015Float8_e4m3fnuzELb0ELb0ELi64EEEvPT0_PfPKT_S8_PKffiiPS6_l,"axG",@progbits,_ZN4vllm31rms_norm_per_block_quant_kernelIfN3c1015Float8_e4m3fnuzELb0ELb0ELi64EEEvPT0_PfPKT_S8_PKffiiPS6_l,comdat
	.protected	_ZN4vllm31rms_norm_per_block_quant_kernelIfN3c1015Float8_e4m3fnuzELb0ELb0ELi64EEEvPT0_PfPKT_S8_PKffiiPS6_l ; -- Begin function _ZN4vllm31rms_norm_per_block_quant_kernelIfN3c1015Float8_e4m3fnuzELb0ELb0ELi64EEEvPT0_PfPKT_S8_PKffiiPS6_l
	.globl	_ZN4vllm31rms_norm_per_block_quant_kernelIfN3c1015Float8_e4m3fnuzELb0ELb0ELi64EEEvPT0_PfPKT_S8_PKffiiPS6_l
	.p2align	8
	.type	_ZN4vllm31rms_norm_per_block_quant_kernelIfN3c1015Float8_e4m3fnuzELb0ELb0ELi64EEEvPT0_PfPKT_S8_PKffiiPS6_l,@function
_ZN4vllm31rms_norm_per_block_quant_kernelIfN3c1015Float8_e4m3fnuzELb0ELb0ELi64EEEvPT0_PfPKT_S8_PKffiiPS6_l: ; @_ZN4vllm31rms_norm_per_block_quant_kernelIfN3c1015Float8_e4m3fnuzELb0ELb0ELi64EEEvPT0_PfPKT_S8_PKffiiPS6_l
; %bb.0:
	s_load_dwordx4 s[16:19], s[4:5], 0x28
	s_load_dwordx8 s[8:15], s[4:5], 0x0
	v_mov_b32_e32 v1, 0
	s_waitcnt lgkmcnt(0)
	s_ashr_i32 s0, s18, 31
	s_mul_hi_u32 s1, s18, s6
	s_mul_i32 s0, s0, s6
	s_add_i32 s1, s1, s0
	s_mul_i32 s0, s18, s6
	s_lshl_b64 s[0:1], s[0:1], 2
	s_add_u32 s33, s12, s0
	s_addc_u32 s44, s13, s1
	s_ashr_i32 s12, s17, 2
	s_add_u32 s2, s4, 0x48
	s_mov_b32 s20, s17
	v_cmp_gt_u32_e64 s[0:1], s12, v0
	s_addc_u32 s3, s5, 0
	s_and_saveexec_b64 s[18:19], s[0:1]
	s_cbranch_execz .LBB40_10
; %bb.1:
	s_load_dword s7, s[2:3], 0x0
	v_mov_b32_e32 v3, 0
	v_mov_b32_e32 v9, s44
	v_mov_b32_e32 v2, v0
                                        ; implicit-def: $sgpr24_sgpr25
	s_waitcnt lgkmcnt(0)
	s_cmp_lt_u32 s6, s7
	s_cselect_b32 s7, 12, 18
	s_add_u32 s22, s2, s7
	s_addc_u32 s23, s3, 0
	global_load_ushort v8, v3, s[22:23]
	s_mov_b64 s[22:23], 0
	s_waitcnt vmcnt(0)
	v_add_u32_e32 v1, v8, v8
	v_mul_lo_u32 v10, v8, 3
	v_lshlrev_b32_e32 v11, 1, v8
	v_add_u32_e32 v12, v1, v8
	v_mov_b32_e32 v1, v3
	s_branch .LBB40_5
.LBB40_2:                               ;   in Loop: Header=BB40_5 Depth=1
	s_or_b64 exec, exec, s[30:31]
	s_orn2_b64 s[30:31], s[34:35], exec
.LBB40_3:                               ;   in Loop: Header=BB40_5 Depth=1
	s_or_b64 exec, exec, s[28:29]
	s_andn2_b64 s[24:25], s[24:25], exec
	s_and_b64 s[28:29], s[30:31], exec
	s_or_b64 s[24:25], s[24:25], s[28:29]
.LBB40_4:                               ;   in Loop: Header=BB40_5 Depth=1
	s_or_b64 exec, exec, s[26:27]
	s_and_b64 s[26:27], exec, s[24:25]
	s_or_b64 s[22:23], s[26:27], s[22:23]
	s_andn2_b64 exec, exec, s[22:23]
	s_cbranch_execz .LBB40_9
.LBB40_5:                               ; =>This Inner Loop Header: Depth=1
	v_lshlrev_b64 v[4:5], 4, v[2:3]
	v_add_co_u32_e32 v4, vcc, s33, v4
	v_addc_co_u32_e32 v5, vcc, v9, v5, vcc
	global_load_dwordx4 v[14:17], v[4:5], off
	v_add_u32_e32 v4, v2, v8
	v_cmp_gt_u32_e32 vcc, s12, v4
	s_or_b64 s[24:25], s[24:25], exec
	s_waitcnt vmcnt(0)
	v_fmac_f32_e32 v1, v14, v14
	v_fmac_f32_e32 v1, v15, v15
	;; [unrolled: 1-line block ×4, first 2 shown]
	s_and_saveexec_b64 s[26:27], vcc
	s_cbranch_execz .LBB40_4
; %bb.6:                                ;   in Loop: Header=BB40_5 Depth=1
	v_mov_b32_e32 v5, v3
	v_lshlrev_b64 v[6:7], 4, v[4:5]
	v_add_co_u32_e32 v6, vcc, s33, v6
	v_addc_co_u32_e32 v7, vcc, v9, v7, vcc
	global_load_dwordx4 v[14:17], v[6:7], off
	v_add_u32_e32 v6, v11, v2
	v_cmp_gt_u32_e32 vcc, s12, v6
	s_mov_b64 s[30:31], -1
	s_waitcnt vmcnt(0)
	v_fmac_f32_e32 v1, v14, v14
	v_fmac_f32_e32 v1, v15, v15
	;; [unrolled: 1-line block ×4, first 2 shown]
	s_and_saveexec_b64 s[28:29], vcc
	s_cbranch_execz .LBB40_3
; %bb.7:                                ;   in Loop: Header=BB40_5 Depth=1
	v_mov_b32_e32 v7, v3
	v_lshlrev_b64 v[6:7], 4, v[6:7]
	v_add_co_u32_e32 v6, vcc, s33, v6
	v_addc_co_u32_e32 v7, vcc, v9, v7, vcc
	global_load_dwordx4 v[14:17], v[6:7], off
	v_add_u32_e32 v2, v10, v2
	v_cmp_gt_u32_e32 vcc, s12, v2
	s_mov_b64 s[34:35], -1
	s_waitcnt vmcnt(0)
	v_fmac_f32_e32 v1, v14, v14
	v_fmac_f32_e32 v1, v15, v15
	v_fmac_f32_e32 v1, v16, v16
	v_fmac_f32_e32 v1, v17, v17
	s_and_saveexec_b64 s[30:31], vcc
	s_xor_b64 s[30:31], exec, s[30:31]
	s_cbranch_execz .LBB40_2
; %bb.8:                                ;   in Loop: Header=BB40_5 Depth=1
	v_lshlrev_b64 v[6:7], 4, v[2:3]
	v_add_co_u32_e32 v6, vcc, s33, v6
	v_addc_co_u32_e32 v7, vcc, v9, v7, vcc
	global_load_dwordx4 v[14:17], v[6:7], off
	v_add_u32_e32 v2, v12, v4
	v_cmp_le_u32_e32 vcc, s12, v2
	s_orn2_b64 s[34:35], vcc, exec
	s_waitcnt vmcnt(0)
	v_fmac_f32_e32 v1, v14, v14
	v_fmac_f32_e32 v1, v15, v15
	;; [unrolled: 1-line block ×4, first 2 shown]
	s_branch .LBB40_2
.LBB40_9:
	s_or_b64 exec, exec, s[22:23]
.LBB40_10:
	s_or_b64 exec, exec, s[18:19]
	v_mbcnt_lo_u32_b32 v2, -1, 0
	v_mbcnt_hi_u32_b32 v2, -1, v2
	v_and_b32_e32 v3, 63, v2
	v_cmp_ne_u32_e32 vcc, 63, v3
	s_load_dword s2, s[2:3], 0xc
	v_addc_co_u32_e32 v4, vcc, 0, v2, vcc
	v_lshlrev_b32_e32 v4, 2, v4
	ds_bpermute_b32 v4, v4, v1
	s_waitcnt lgkmcnt(0)
	s_and_b32 s45, s2, 0xffff
	v_and_b32_e32 v5, 0x3c0, v0
	v_sub_u32_e64 v5, s45, v5 clamp
	v_add_u32_e32 v6, 1, v2
	v_add_f32_e32 v4, v1, v4
	v_cmp_lt_u32_e32 vcc, v6, v5
	v_cndmask_b32_e32 v1, v1, v4, vcc
	v_cmp_gt_u32_e32 vcc, 62, v3
	v_cndmask_b32_e64 v4, 0, 1, vcc
	v_lshlrev_b32_e32 v4, 1, v4
	v_add_lshl_u32 v4, v4, v2, 2
	ds_bpermute_b32 v4, v4, v1
	v_add_u32_e32 v6, 2, v2
	v_cmp_lt_u32_e32 vcc, v6, v5
	v_add_u32_e32 v6, 4, v2
	s_waitcnt lgkmcnt(0)
	v_add_f32_e32 v4, v1, v4
	v_cndmask_b32_e32 v1, v1, v4, vcc
	v_cmp_gt_u32_e32 vcc, 60, v3
	v_cndmask_b32_e64 v4, 0, 1, vcc
	v_lshlrev_b32_e32 v4, 2, v4
	v_add_lshl_u32 v4, v4, v2, 2
	ds_bpermute_b32 v4, v4, v1
	v_cmp_lt_u32_e32 vcc, v6, v5
	v_add_u32_e32 v6, 8, v2
	s_waitcnt lgkmcnt(0)
	v_add_f32_e32 v4, v1, v4
	v_cndmask_b32_e32 v1, v1, v4, vcc
	v_cmp_gt_u32_e32 vcc, 56, v3
	v_cndmask_b32_e64 v4, 0, 1, vcc
	v_lshlrev_b32_e32 v4, 3, v4
	v_add_lshl_u32 v4, v4, v2, 2
	ds_bpermute_b32 v4, v4, v1
	;; [unrolled: 10-line block ×3, first 2 shown]
	v_cmp_lt_u32_e32 vcc, v6, v5
	s_waitcnt lgkmcnt(0)
	v_add_f32_e32 v4, v1, v4
	v_cndmask_b32_e32 v1, v1, v4, vcc
	v_cmp_gt_u32_e32 vcc, 32, v3
	v_cndmask_b32_e64 v3, 0, 1, vcc
	v_lshlrev_b32_e32 v3, 5, v3
	v_add_lshl_u32 v3, v3, v2, 2
	ds_bpermute_b32 v3, v3, v1
	v_add_u32_e32 v4, 32, v2
	v_cmp_lt_u32_e32 vcc, v4, v5
	s_waitcnt lgkmcnt(0)
	v_add_f32_e32 v3, v1, v3
	v_cndmask_b32_e32 v1, v1, v3, vcc
	v_cmp_eq_u32_e32 vcc, 0, v2
	s_and_saveexec_b64 s[2:3], vcc
	s_cbranch_execz .LBB40_12
; %bb.11:
	v_lshrrev_b32_e32 v3, 4, v0
	v_and_b32_e32 v3, 60, v3
	ds_write_b32 v3, v1 offset:4096
.LBB40_12:
	s_or_b64 exec, exec, s[2:3]
	v_cmp_gt_u32_e32 vcc, 16, v0
	s_waitcnt lgkmcnt(0)
	s_barrier
	s_and_saveexec_b64 s[18:19], vcc
	s_cbranch_execz .LBB40_14
; %bb.13:
	v_lshlrev_b32_e32 v1, 2, v2
	ds_read_b32 v1, v1 offset:4096
	v_and_b32_e32 v3, 15, v2
	v_cmp_ne_u32_e32 vcc, 15, v3
	v_addc_co_u32_e32 v4, vcc, 0, v2, vcc
	v_lshlrev_b32_e32 v4, 2, v4
	s_waitcnt lgkmcnt(0)
	ds_bpermute_b32 v4, v4, v1
	s_add_i32 s2, s45, 63
	s_lshr_b32 s7, s2, 6
	v_add_u32_e32 v5, 1, v3
	v_cmp_gt_u32_e64 s[2:3], 14, v3
	v_cmp_gt_u32_e32 vcc, s7, v5
	v_cndmask_b32_e64 v5, 0, 1, s[2:3]
	s_waitcnt lgkmcnt(0)
	v_add_f32_e32 v4, v1, v4
	v_lshlrev_b32_e32 v5, 1, v5
	v_cndmask_b32_e32 v4, v1, v4, vcc
	v_add_lshl_u32 v5, v5, v2, 2
	ds_bpermute_b32 v5, v5, v4
	v_add_u32_e32 v6, 2, v3
	v_cmp_gt_u32_e64 s[2:3], s7, v6
	v_add_u32_e32 v6, 4, v3
	s_waitcnt lgkmcnt(0)
	v_add_f32_e32 v5, v4, v5
	v_cndmask_b32_e64 v4, v4, v5, s[2:3]
	v_cmp_gt_u32_e64 s[2:3], 12, v3
	v_cndmask_b32_e64 v5, 0, 1, s[2:3]
	v_lshlrev_b32_e32 v5, 2, v5
	v_add_lshl_u32 v5, v5, v2, 2
	ds_bpermute_b32 v5, v5, v4
	v_cmp_gt_u32_e64 s[2:3], s7, v6
	s_waitcnt lgkmcnt(0)
	v_add_f32_e32 v5, v4, v5
	v_cndmask_b32_e64 v4, v4, v5, s[2:3]
	v_cmp_gt_u32_e64 s[2:3], 8, v3
	v_cndmask_b32_e64 v5, 0, 1, s[2:3]
	v_lshlrev_b32_e32 v5, 3, v5
	v_add_lshl_u32 v2, v5, v2, 2
	ds_bpermute_b32 v2, v2, v4
	v_add_u32_e32 v3, 8, v3
	v_cmp_gt_u32_e64 s[2:3], s7, v3
	s_waitcnt lgkmcnt(0)
	v_add_f32_e32 v2, v4, v2
	v_cndmask_b32_e64 v2, v4, v2, s[2:3]
	v_cndmask_b32_e32 v1, v1, v2, vcc
.LBB40_14:
	s_or_b64 exec, exec, s[18:19]
	v_cmp_eq_u32_e32 vcc, 0, v0
	s_and_saveexec_b64 s[2:3], vcc
	s_cbranch_execz .LBB40_16
; %bb.15:
	v_cvt_f32_i32_e32 v2, s17
	s_mov_b32 s7, 0x800000
	v_div_scale_f32 v3, s[18:19], v2, v2, v1
	v_rcp_f32_e32 v4, v3
	v_div_scale_f32 v5, vcc, v1, v2, v1
	v_fma_f32 v6, -v3, v4, 1.0
	v_fmac_f32_e32 v4, v6, v4
	v_mul_f32_e32 v6, v5, v4
	v_fma_f32 v7, -v3, v6, v5
	v_fmac_f32_e32 v6, v7, v4
	v_fma_f32 v3, -v3, v6, v5
	v_div_fmas_f32 v3, v3, v4, v6
	v_div_fixup_f32 v1, v3, v2, v1
	v_add_f32_e32 v1, s16, v1
	v_mul_f32_e32 v2, 0x4b800000, v1
	v_cmp_gt_f32_e32 vcc, s7, v1
	v_cndmask_b32_e32 v1, v1, v2, vcc
	v_rsq_f32_e32 v1, v1
	v_mul_f32_e32 v2, 0x45800000, v1
	v_cndmask_b32_e32 v1, v1, v2, vcc
	v_mov_b32_e32 v2, 0
	ds_write_b32 v2, v1 offset:4160
.LBB40_16:
	s_or_b64 exec, exec, s[2:3]
	s_ashr_i32 s21, s17, 31
	s_lshr_b32 s2, s21, 26
	s_add_i32 s2, s17, s2
	s_ashr_i32 s18, s2, 6
	s_abs_i32 s3, s18
	v_cvt_f32_u32_e32 v1, s3
	s_sub_i32 s7, 0, s3
	s_ashr_i32 s2, s2, 31
	v_mov_b32_e32 v5, 0
	v_rcp_iflag_f32_e32 v1, v1
	s_waitcnt lgkmcnt(0)
	s_barrier
	v_mul_f32_e32 v1, 0x4f7ffffe, v1
	v_cvt_u32_f32_e32 v1, v1
	ds_read_b32 v36, v5 offset:4160
	v_readfirstlane_b32 s13, v1
	s_mul_i32 s7, s7, s13
	s_mul_hi_u32 s7, s13, s7
	s_add_i32 s13, s13, s7
	s_mul_hi_u32 s7, s45, s13
	s_mul_i32 s13, s7, s3
	s_sub_i32 s13, s45, s13
	s_add_i32 s16, s7, 1
	s_sub_i32 s19, s13, s3
	s_cmp_ge_u32 s13, s3
	s_cselect_b32 s7, s16, s7
	s_cselect_b32 s13, s19, s13
	s_add_i32 s16, s7, 1
	s_cmp_ge_u32 s13, s3
	s_cselect_b32 s3, s16, s7
	s_xor_b32 s3, s3, s2
	s_sub_i32 s2, s3, s2
	s_abs_i32 s7, s2
	v_cvt_f32_u32_e32 v1, s7
	s_sub_i32 s13, 0, s7
	s_ashr_i32 s3, s2, 31
	v_rcp_iflag_f32_e32 v1, v1
	v_mul_f32_e32 v1, 0x4f7ffffe, v1
	v_cvt_u32_f32_e32 v1, v1
	v_mul_lo_u32 v2, s13, v1
	v_mul_hi_u32 v2, v1, v2
	v_add_u32_e32 v1, v1, v2
	v_mul_hi_u32 v1, v0, v1
	v_mul_lo_u32 v2, v1, s7
	v_sub_u32_e32 v2, v0, v2
	v_add_u32_e32 v3, 1, v1
	v_cmp_le_u32_e32 vcc, s7, v2
	v_cndmask_b32_e32 v1, v1, v3, vcc
	v_subrev_u32_e32 v3, s7, v2
	v_cndmask_b32_e32 v2, v2, v3, vcc
	v_add_u32_e32 v3, 1, v1
	v_cmp_le_u32_e32 vcc, s7, v2
	v_cndmask_b32_e32 v1, v1, v3, vcc
	v_xor_b32_e32 v1, s3, v1
	v_subrev_u32_e32 v2, s3, v1
	v_mul_lo_u32 v1, v2, s2
	v_ashrrev_i32_e32 v3, 31, v2
	v_sub_u32_e32 v4, v0, v1
	v_lshlrev_b64 v[8:9], 4, v[2:3]
	v_add_co_u32_e32 v6, vcc, v8, v4
	v_addc_co_u32_e32 v7, vcc, 0, v9, vcc
	v_add_co_u32_e32 v8, vcc, 16, v8
	v_addc_co_u32_e32 v9, vcc, 0, v9, vcc
	s_ashr_i32 s13, s12, 31
	v_mov_b32_e32 v1, s13
	v_cmp_gt_i64_e32 vcc, s[12:13], v[8:9]
	v_cndmask_b32_e32 v9, v1, v9, vcc
	v_mov_b32_e32 v1, s12
	v_cndmask_b32_e32 v8, v1, v8, vcc
	v_ashrrev_i32_e32 v11, 31, v8
	v_mov_b32_e32 v10, v8
	v_cmp_lt_i64_e32 vcc, v[6:7], v[10:11]
	s_and_saveexec_b64 s[22:23], vcc
	s_cbranch_execz .LBB40_26
; %bb.17:
	v_lshlrev_b64 v[12:13], 8, v[2:3]
	v_lshlrev_b64 v[14:15], 4, v[4:5]
	v_add_co_u32_e32 v12, vcc, v12, v14
	v_addc_co_u32_e32 v1, vcc, v13, v15, vcc
	s_lshl_b64 s[24:25], s[2:3], 6
	s_mul_hi_i32 s7, s2, 3
	s_mul_i32 s13, s2, 3
	s_lshl_b64 s[26:27], s[2:3], 1
	s_lshl_b64 s[30:31], s[2:3], 4
	s_mov_b64 s[28:29], 0
	v_mov_b32_e32 v5, 0
	v_mov_b32_e32 v13, s44
	;; [unrolled: 1-line block ×4, first 2 shown]
	v_pk_mov_b32 v[14:15], v[6:7], v[6:7] op_sel:[0,1]
                                        ; implicit-def: $sgpr34_sgpr35
	s_branch .LBB40_21
.LBB40_18:                              ;   in Loop: Header=BB40_21 Depth=1
	s_or_b64 exec, exec, s[40:41]
	s_orn2_b64 s[40:41], s[42:43], exec
.LBB40_19:                              ;   in Loop: Header=BB40_21 Depth=1
	s_or_b64 exec, exec, s[38:39]
	s_andn2_b64 s[34:35], s[34:35], exec
	s_and_b64 s[38:39], s[40:41], exec
	s_or_b64 s[34:35], s[34:35], s[38:39]
.LBB40_20:                              ;   in Loop: Header=BB40_21 Depth=1
	s_or_b64 exec, exec, s[36:37]
	s_and_b64 s[36:37], exec, s[34:35]
	s_or_b64 s[28:29], s[36:37], s[28:29]
	s_andn2_b64 exec, exec, s[28:29]
	s_cbranch_execz .LBB40_25
.LBB40_21:                              ; =>This Inner Loop Header: Depth=1
	v_add_co_u32_e32 v18, vcc, s33, v12
	v_addc_co_u32_e32 v19, vcc, v13, v1, vcc
	v_add_co_u32_e32 v20, vcc, s14, v12
	global_load_dwordx4 v[24:27], v[18:19], off
	v_addc_co_u32_e32 v21, vcc, v22, v1, vcc
	global_load_dwordx4 v[28:31], v[20:21], off
	v_add_co_u32_e32 v16, vcc, s2, v14
	v_addc_co_u32_e32 v17, vcc, v15, v23, vcc
	v_cmp_lt_i64_e32 vcc, v[16:17], v[10:11]
	s_or_b64 s[34:35], s[34:35], exec
	s_waitcnt vmcnt(1) lgkmcnt(0)
	v_mul_f32_e32 v24, v36, v24
	v_mul_f32_e32 v25, v36, v25
	;; [unrolled: 1-line block ×4, first 2 shown]
	s_waitcnt vmcnt(0)
	v_mul_f32_e32 v24, v24, v28
	v_mul_f32_e32 v25, v25, v29
	;; [unrolled: 1-line block ×4, first 2 shown]
	v_max3_f32 v5, v5, |v24|, |v25|
	v_max3_f32 v5, v5, |v26|, |v27|
	s_and_saveexec_b64 s[36:37], vcc
	s_cbranch_execz .LBB40_20
; %bb.22:                               ;   in Loop: Header=BB40_21 Depth=1
	v_mov_b32_e32 v28, s31
	v_add_co_u32_e32 v18, vcc, s30, v18
	v_addc_co_u32_e32 v19, vcc, v19, v28, vcc
	v_add_co_u32_e32 v20, vcc, s30, v20
	global_load_dwordx4 v[24:27], v[18:19], off
	v_addc_co_u32_e32 v21, vcc, v21, v28, vcc
	global_load_dwordx4 v[28:31], v[20:21], off
	v_mov_b32_e32 v33, s27
	v_add_co_u32_e32 v32, vcc, s26, v14
	v_addc_co_u32_e32 v33, vcc, v33, v15, vcc
	v_cmp_lt_i64_e32 vcc, v[32:33], v[10:11]
	s_mov_b64 s[40:41], -1
	s_waitcnt vmcnt(1)
	v_mul_f32_e32 v24, v36, v24
	v_mul_f32_e32 v25, v36, v25
	;; [unrolled: 1-line block ×4, first 2 shown]
	s_waitcnt vmcnt(0)
	v_mul_f32_e32 v24, v24, v28
	v_mul_f32_e32 v25, v25, v29
	;; [unrolled: 1-line block ×4, first 2 shown]
	v_max3_f32 v5, v5, |v24|, |v25|
	v_max3_f32 v5, v5, |v26|, |v27|
	s_and_saveexec_b64 s[38:39], vcc
	s_cbranch_execz .LBB40_19
; %bb.23:                               ;   in Loop: Header=BB40_21 Depth=1
	v_mov_b32_e32 v28, s31
	v_add_co_u32_e32 v18, vcc, s30, v18
	v_addc_co_u32_e32 v19, vcc, v19, v28, vcc
	v_add_co_u32_e32 v20, vcc, s30, v20
	global_load_dwordx4 v[24:27], v[18:19], off
	v_addc_co_u32_e32 v21, vcc, v21, v28, vcc
	global_load_dwordx4 v[28:31], v[20:21], off
	v_mov_b32_e32 v32, s7
	v_add_co_u32_e32 v14, vcc, s13, v14
	v_addc_co_u32_e32 v15, vcc, v32, v15, vcc
	v_cmp_lt_i64_e32 vcc, v[14:15], v[10:11]
	s_mov_b64 s[42:43], -1
	s_waitcnt vmcnt(1)
	v_mul_f32_e32 v14, v36, v24
	v_mul_f32_e32 v15, v36, v25
	;; [unrolled: 1-line block ×4, first 2 shown]
	s_waitcnt vmcnt(0)
	v_mul_f32_e32 v14, v14, v28
	v_mul_f32_e32 v15, v15, v29
	;; [unrolled: 1-line block ×4, first 2 shown]
	v_max3_f32 v5, v5, |v14|, |v15|
	v_max3_f32 v5, v5, |v24|, |v25|
                                        ; implicit-def: $vgpr14_vgpr15
	s_and_saveexec_b64 s[40:41], vcc
	s_xor_b64 s[40:41], exec, s[40:41]
	s_cbranch_execz .LBB40_18
; %bb.24:                               ;   in Loop: Header=BB40_21 Depth=1
	v_mov_b32_e32 v28, s31
	v_add_co_u32_e32 v14, vcc, s30, v18
	v_addc_co_u32_e32 v15, vcc, v19, v28, vcc
	global_load_dwordx4 v[24:27], v[14:15], off
	v_add_co_u32_e32 v14, vcc, s30, v20
	v_addc_co_u32_e32 v15, vcc, v21, v28, vcc
	global_load_dwordx4 v[18:21], v[14:15], off
	s_add_u32 s16, s2, s2
	s_addc_u32 s19, s3, s3
	v_mov_b32_e32 v14, s25
	v_add_co_u32_e32 v12, vcc, s24, v12
	s_add_u32 s16, s16, s2
	v_addc_co_u32_e32 v1, vcc, v1, v14, vcc
	s_addc_u32 s19, s19, s3
	v_mov_b32_e32 v15, s19
	v_add_co_u32_e32 v14, vcc, s16, v16
	v_addc_co_u32_e32 v15, vcc, v15, v17, vcc
	v_cmp_ge_i64_e32 vcc, v[14:15], v[10:11]
	s_orn2_b64 s[42:43], vcc, exec
	s_waitcnt vmcnt(1)
	v_mul_f32_e32 v16, v36, v24
	v_mul_f32_e32 v17, v36, v25
	;; [unrolled: 1-line block ×4, first 2 shown]
	s_waitcnt vmcnt(0)
	v_mul_f32_e32 v16, v16, v18
	v_mul_f32_e32 v17, v17, v19
	v_mul_f32_e32 v18, v24, v20
	v_mul_f32_e32 v19, v25, v21
	v_max3_f32 v5, v5, |v16|, |v17|
	v_max3_f32 v5, v5, |v18|, |v19|
	s_branch .LBB40_18
.LBB40_25:
	s_or_b64 exec, exec, s[28:29]
.LBB40_26:
	s_or_b64 exec, exec, s[22:23]
	s_lshr_b32 s7, s45, 6
	v_cvt_f32_u32_e32 v10, s7
	v_lshlrev_b32_e32 v1, 2, v0
	ds_write_b32 v1, v5
	s_sub_i32 s22, 0, s7
	v_rcp_iflag_f32_e32 v5, v10
	s_add_i32 s13, s18, s7
	s_add_i32 s13, s13, -1
	s_ashr_i32 s16, s13, 31
	v_mul_f32_e32 v5, 0x4f7ffffe, v5
	v_cvt_u32_f32_e32 v5, v5
	s_abs_i32 s13, s13
	s_ashr_i32 s19, s18, 31
	s_waitcnt lgkmcnt(0)
	v_readfirstlane_b32 s23, v5
	s_mul_i32 s22, s22, s23
	s_mul_hi_u32 s22, s23, s22
	s_add_i32 s23, s23, s22
	s_mul_hi_u32 s22, s13, s23
	s_mul_i32 s23, s22, s7
	s_sub_i32 s13, s13, s23
	s_add_i32 s23, s22, 1
	s_sub_i32 s24, s13, s7
	s_cmp_ge_u32 s13, s7
	s_cselect_b32 s22, s23, s22
	s_cselect_b32 s13, s24, s13
	s_add_i32 s23, s22, 1
	s_cmp_ge_u32 s13, s7
	s_cselect_b32 s13, s23, s22
	s_xor_b32 s13, s13, s16
	s_sub_i32 s22, s13, s16
	s_ashr_i32 s23, s22, 31
	v_cmp_lt_i64_e64 s[24:25], s[22:23], 1
	s_and_b64 vcc, exec, s[24:25]
	s_barrier
	s_cbranch_vccnz .LBB40_48
; %bb.27:
	v_and_b32_e32 v12, 63, v0
	v_add_co_u32_e32 v14, vcc, 32, v12
	v_addc_co_u32_e64 v15, s[24:25], 0, 0, vcc
	v_add_co_u32_e32 v16, vcc, 16, v12
	v_addc_co_u32_e64 v17, s[24:25], 0, 0, vcc
	v_add_co_u32_e32 v18, vcc, 8, v12
	v_lshrrev_b32_e32 v10, 6, v0
	v_addc_co_u32_e64 v19, s[24:25], 0, 0, vcc
	v_add_co_u32_e32 v20, vcc, 4, v12
	v_addc_co_u32_e64 v21, s[24:25], 0, 0, vcc
	v_add_co_u32_e32 v22, vcc, 2, v12
	v_mul_lo_u32 v5, s2, v10
	v_addc_co_u32_e64 v23, s[24:25], 0, 0, vcc
	v_add_co_u32_e32 v24, vcc, 1, v12
	v_lshlrev_b32_e32 v5, 2, v5
	v_lshlrev_b32_e32 v26, 2, v12
	s_movk_i32 s13, 0x100
	v_mov_b32_e32 v11, 0
	v_addc_co_u32_e64 v25, s[24:25], 0, 0, vcc
	v_add3_u32 v5, v5, v26, s13
	s_mul_i32 s13, s2, s7
	v_mov_b32_e32 v13, v11
	s_lshl_b32 s13, s13, 2
	s_mov_b64 s[24:25], 0
	v_mov_b32_e32 v37, s7
	s_mov_b64 s[26:27], src_shared_base
	s_branch .LBB40_30
.LBB40_28:                              ;   in Loop: Header=BB40_30 Depth=1
	s_or_b64 exec, exec, s[30:31]
	v_mov_b32_e32 v27, s27
	flat_load_dword v26, v[26:27] glc
	s_waitcnt vmcnt(0)
.LBB40_29:                              ;   in Loop: Header=BB40_30 Depth=1
	s_or_b64 exec, exec, s[28:29]
	s_add_u32 s24, s24, 1
	s_addc_u32 s25, s25, 0
	s_cmp_eq_u64 s[24:25], s[22:23]
	v_add_u32_e32 v5, s13, v5
	s_cbranch_scc1 .LBB40_48
.LBB40_30:                              ; =>This Loop Header: Depth=1
                                        ;     Child Loop BB40_33 Depth 2
	v_mad_u64_u32 v[30:31], s[28:29], s24, v37, v[10:11]
	s_mul_i32 s16, s25, s7
	v_add_u32_e32 v31, s16, v31
	v_cmp_gt_i64_e32 vcc, s[18:19], v[30:31]
	s_and_saveexec_b64 s[28:29], vcc
	s_cbranch_execz .LBB40_29
; %bb.31:                               ;   in Loop: Header=BB40_30 Depth=1
	v_pk_mov_b32 v[32:33], s[2:3], s[2:3] op_sel:[0,1]
	v_mul_lo_u32 v29, v31, s2
	v_mul_lo_u32 v38, v30, s3
	v_mad_u64_u32 v[32:33], s[30:31], v30, s2, v[32:33]
	v_add3_u32 v33, v29, v33, v38
	v_mov_b32_e32 v28, s21
	v_cmp_gt_i64_e32 vcc, s[20:21], v[32:33]
	s_waitcnt lgkmcnt(0)
	v_mad_u64_u32 v[26:27], s[30:31], v30, s2, v[12:13]
	v_cndmask_b32_e32 v33, v28, v33, vcc
	v_mov_b32_e32 v28, s17
	v_add3_u32 v27, v29, v27, v38
	v_cndmask_b32_e32 v32, v28, v32, vcc
	v_add_co_u32_e32 v34, vcc, 64, v26
	v_addc_co_u32_e32 v35, vcc, 0, v27, vcc
	v_cmp_lt_i64_e32 vcc, v[34:35], v[32:33]
	v_lshlrev_b32_e32 v28, 2, v26
	s_and_saveexec_b64 s[30:31], vcc
	s_cbranch_execz .LBB40_34
; %bb.32:                               ;   in Loop: Header=BB40_30 Depth=1
	ds_read_b32 v31, v28
	s_mov_b64 s[34:35], 0
	v_mov_b32_e32 v27, v5
.LBB40_33:                              ;   Parent Loop BB40_30 Depth=1
                                        ; =>  This Inner Loop Header: Depth=2
	ds_read_b32 v39, v27
	v_add_co_u32_e32 v34, vcc, 64, v34
	v_addc_co_u32_e32 v35, vcc, 0, v35, vcc
	s_waitcnt lgkmcnt(1)
	v_max_f32_e32 v31, v31, v31
	v_cmp_ge_i64_e32 vcc, v[34:35], v[32:33]
	s_waitcnt lgkmcnt(0)
	v_max_f32_e32 v39, v39, v39
	v_add_u32_e32 v27, 0x100, v27
	s_or_b64 s[34:35], vcc, s[34:35]
	v_max_f32_e32 v31, v31, v39
	ds_write_b32 v28, v31
	s_andn2_b64 exec, exec, s[34:35]
	s_cbranch_execnz .LBB40_33
.LBB40_34:                              ;   in Loop: Header=BB40_30 Depth=1
	s_or_b64 exec, exec, s[30:31]
	v_mad_u64_u32 v[30:31], s[30:31], v30, s2, 0
	v_add3_u32 v27, v31, v38, v29
	v_sub_co_u32_e32 v30, vcc, v32, v30
	v_subb_co_u32_e32 v31, vcc, v33, v27, vcc
	v_cmp_gt_i64_e32 vcc, 64, v[30:31]
	v_cndmask_b32_e32 v31, 0, v31, vcc
	v_cndmask_b32_e32 v30, 64, v30, vcc
	v_cmp_lt_i64_e32 vcc, v[14:15], v[30:31]
	s_and_saveexec_b64 s[30:31], vcc
	s_cbranch_execnz .LBB40_46
; %bb.35:                               ;   in Loop: Header=BB40_30 Depth=1
	s_or_b64 exec, exec, s[30:31]
	v_cmp_lt_i64_e32 vcc, v[16:17], v[30:31]
	s_and_saveexec_b64 s[30:31], vcc
	s_cbranch_execnz .LBB40_47
.LBB40_36:                              ;   in Loop: Header=BB40_30 Depth=1
	s_or_b64 exec, exec, s[30:31]
	v_cmp_lt_i64_e32 vcc, v[18:19], v[30:31]
	s_and_saveexec_b64 s[30:31], vcc
	s_cbranch_execz .LBB40_38
.LBB40_37:                              ;   in Loop: Header=BB40_30 Depth=1
	v_mov_b32_e32 v29, s27
	v_add_u32_e32 v32, 32, v28
	v_mov_b32_e32 v33, s27
	flat_load_dword v27, v[28:29] glc
	s_waitcnt vmcnt(0)
	flat_load_dword v34, v[32:33] glc
	s_waitcnt vmcnt(0) lgkmcnt(0)
	v_max_f32_e32 v27, v27, v27
	v_max_f32_e32 v32, v34, v34
	;; [unrolled: 1-line block ×3, first 2 shown]
	flat_store_dword v[28:29], v27
	s_waitcnt vmcnt(0)
.LBB40_38:                              ;   in Loop: Header=BB40_30 Depth=1
	s_or_b64 exec, exec, s[30:31]
	v_cmp_ge_i64_e32 vcc, v[20:21], v[30:31]
	s_and_saveexec_b64 s[30:31], vcc
	s_xor_b64 s[30:31], exec, s[30:31]
; %bb.39:                               ;   in Loop: Header=BB40_30 Depth=1
                                        ; implicit-def: $vgpr28
; %bb.40:                               ;   in Loop: Header=BB40_30 Depth=1
	s_andn2_saveexec_b64 s[30:31], s[30:31]
	s_cbranch_execz .LBB40_42
; %bb.41:                               ;   in Loop: Header=BB40_30 Depth=1
	v_mov_b32_e32 v29, s27
	v_add_u32_e32 v32, 16, v28
	v_mov_b32_e32 v33, s27
	flat_load_dword v27, v[28:29] glc
	s_waitcnt vmcnt(0)
	flat_load_dword v34, v[32:33] glc
	s_waitcnt vmcnt(0) lgkmcnt(0)
	v_max_f32_e32 v27, v27, v27
	v_max_f32_e32 v32, v34, v34
	;; [unrolled: 1-line block ×3, first 2 shown]
	flat_store_dword v[28:29], v27
	s_waitcnt vmcnt(0)
.LBB40_42:                              ;   in Loop: Header=BB40_30 Depth=1
	s_or_b64 exec, exec, s[30:31]
	v_cmp_lt_i64_e32 vcc, v[22:23], v[30:31]
	v_lshlrev_b32_e32 v26, 2, v26
	s_and_saveexec_b64 s[30:31], vcc
	s_cbranch_execz .LBB40_44
; %bb.43:                               ;   in Loop: Header=BB40_30 Depth=1
	v_mov_b32_e32 v27, s27
	v_add_u32_e32 v28, 8, v26
	v_mov_b32_e32 v29, s27
	flat_load_dword v32, v[26:27] glc
	s_waitcnt vmcnt(0)
	flat_load_dword v33, v[28:29] glc
	s_waitcnt vmcnt(0) lgkmcnt(0)
	v_max_f32_e32 v28, v32, v32
	v_max_f32_e32 v29, v33, v33
	;; [unrolled: 1-line block ×3, first 2 shown]
	flat_store_dword v[26:27], v28
	s_waitcnt vmcnt(0)
.LBB40_44:                              ;   in Loop: Header=BB40_30 Depth=1
	s_or_b64 exec, exec, s[30:31]
	v_cmp_lt_i64_e32 vcc, v[24:25], v[30:31]
	s_and_saveexec_b64 s[30:31], vcc
	s_cbranch_execz .LBB40_28
; %bb.45:                               ;   in Loop: Header=BB40_30 Depth=1
	v_mov_b32_e32 v27, s27
	v_add_u32_e32 v28, 4, v26
	v_mov_b32_e32 v29, s27
	flat_load_dword v30, v[26:27] glc
	s_waitcnt vmcnt(0)
	flat_load_dword v31, v[28:29] glc
	s_waitcnt vmcnt(0) lgkmcnt(0)
	v_max_f32_e32 v28, v30, v30
	v_max_f32_e32 v29, v31, v31
	;; [unrolled: 1-line block ×3, first 2 shown]
	flat_store_dword v[26:27], v28
	s_waitcnt vmcnt(0)
	s_branch .LBB40_28
.LBB40_46:                              ;   in Loop: Header=BB40_30 Depth=1
	v_mov_b32_e32 v29, s27
	v_add_u32_e32 v32, 0x80, v28
	v_mov_b32_e32 v33, s27
	flat_load_dword v27, v[28:29] glc
	s_waitcnt vmcnt(0)
	flat_load_dword v34, v[32:33] glc
	s_waitcnt vmcnt(0) lgkmcnt(0)
	v_max_f32_e32 v27, v27, v27
	v_max_f32_e32 v32, v34, v34
	;; [unrolled: 1-line block ×3, first 2 shown]
	flat_store_dword v[28:29], v27
	s_waitcnt vmcnt(0)
	s_or_b64 exec, exec, s[30:31]
	v_cmp_lt_i64_e32 vcc, v[16:17], v[30:31]
	s_and_saveexec_b64 s[30:31], vcc
	s_cbranch_execz .LBB40_36
.LBB40_47:                              ;   in Loop: Header=BB40_30 Depth=1
	v_mov_b32_e32 v29, s27
	v_add_u32_e32 v32, 64, v28
	v_mov_b32_e32 v33, s27
	flat_load_dword v27, v[28:29] glc
	s_waitcnt vmcnt(0)
	flat_load_dword v34, v[32:33] glc
	s_waitcnt vmcnt(0) lgkmcnt(0)
	v_max_f32_e32 v27, v27, v27
	v_max_f32_e32 v32, v34, v34
	;; [unrolled: 1-line block ×3, first 2 shown]
	flat_store_dword v[28:29], v27
	s_waitcnt vmcnt(0)
	s_or_b64 exec, exec, s[30:31]
	v_cmp_lt_i64_e32 vcc, v[18:19], v[30:31]
	s_and_saveexec_b64 s[30:31], vcc
	s_cbranch_execnz .LBB40_37
	s_branch .LBB40_38
.LBB40_48:
	v_cmp_eq_u32_e32 vcc, 0, v4
	v_cmp_lt_i64_e64 s[2:3], v[6:7], v[8:9]
	s_and_b64 s[22:23], vcc, s[2:3]
	s_mul_i32 s7, s19, s6
	s_mul_hi_u32 s16, s18, s6
	s_mul_i32 s2, s18, s6
	s_waitcnt lgkmcnt(0)
	s_barrier
	s_and_saveexec_b64 s[18:19], s[22:23]
	s_cbranch_execz .LBB40_52
; %bb.49:
	s_load_dwordx2 s[4:5], s[4:5], 0x20
	ds_read_b32 v1, v1
	s_waitcnt lgkmcnt(0)
	s_cmp_eq_u64 s[4:5], 0
	s_cbranch_scc1 .LBB40_51
; %bb.50:
	s_load_dword s3, s[4:5], 0x0
	v_max_f32_e32 v1, v1, v1
	s_waitcnt lgkmcnt(0)
	v_max_f32_e64 v4, s3, s3
	v_min_f32_e32 v1, v1, v4
.LBB40_51:
	s_mov_b32 s3, 0x43600000
	v_div_scale_f32 v4, s[4:5], s3, s3, v1
	v_rcp_f32_e32 v5, v4
	v_div_scale_f32 v6, vcc, v1, s3, v1
	v_lshlrev_b64 v[2:3], 2, v[2:3]
	v_fma_f32 v7, -v4, v5, 1.0
	v_fmac_f32_e32 v5, v7, v5
	v_mul_f32_e32 v7, v6, v5
	v_fma_f32 v8, -v4, v7, v6
	v_fmac_f32_e32 v7, v8, v5
	v_fma_f32 v4, -v4, v7, v6
	v_div_fmas_f32 v4, v4, v5, v7
	v_div_fixup_f32 v1, v4, s3, v1
	s_add_i32 s3, s16, s7
	s_lshl_b64 s[4:5], s[2:3], 2
	s_add_u32 s3, s10, s4
	s_addc_u32 s4, s11, s5
	v_mov_b32_e32 v4, s4
	v_add_co_u32_e32 v2, vcc, s3, v2
	v_max_f32_e32 v1, 0x37124925, v1
	v_addc_co_u32_e32 v3, vcc, v4, v3, vcc
	global_store_dword v[2:3], v1, off
.LBB40_52:
	s_or_b64 exec, exec, s[18:19]
	s_barrier
	s_and_saveexec_b64 s[4:5], s[0:1]
	s_cbranch_execz .LBB40_189
; %bb.53:
	s_mul_i32 s0, s21, s6
	s_mul_hi_u32 s1, s17, s6
	s_add_i32 s1, s1, s0
	s_mul_i32 s0, s17, s6
	s_add_u32 s13, s8, s0
	s_addc_u32 s20, s9, s1
	s_add_i32 s3, s16, s7
	s_lshl_b64 s[0:1], s[2:3], 2
	s_add_u32 s0, s10, s0
	s_addc_u32 s1, s11, s1
	s_mul_i32 s21, s45, 3
	s_lshl_b32 s22, s45, 1
	s_mov_b64 s[2:3], 0
	v_mov_b32_e32 v1, 0
	v_mov_b32_e32 v14, s44
	;; [unrolled: 1-line block ×3, first 2 shown]
	s_mov_b32 s23, 0x43800000
	s_mov_b32 s24, 0x3bffffff
	;; [unrolled: 1-line block ×4, first 2 shown]
	s_movk_i32 s27, 0x80
	s_mov_b32 s28, 0x4020c0c
	s_branch .LBB40_59
.LBB40_54:                              ;   in Loop: Header=BB40_59 Depth=1
	s_or_b64 exec, exec, s[18:19]
.LBB40_55:                              ;   in Loop: Header=BB40_59 Depth=1
	s_or_b64 exec, exec, s[10:11]
	v_lshlrev_b64 v[8:9], 2, v[0:1]
	v_mov_b32_e32 v0, s20
	v_add_co_u32_e32 v8, vcc, s13, v8
	v_addc_co_u32_e32 v9, vcc, v0, v9, vcc
	v_lshlrev_b32_e32 v0, 16, v4
	v_lshlrev_b32_e32 v2, 8, v2
	v_perm_b32 v0, v3, v0, s28
	v_and_b32_e32 v2, 0xff00, v2
	v_and_b32_e32 v3, 0xff, v6
	s_add_i32 s10, s45, s45
	v_or3_b32 v0, v0, v2, v3
	s_add_i32 s10, s10, s45
	global_store_dword v[8:9], v0, off
	v_add_u32_e32 v0, s10, v10
	v_cmp_le_u32_e32 vcc, s12, v0
	s_orn2_b64 s[10:11], vcc, exec
.LBB40_56:                              ;   in Loop: Header=BB40_59 Depth=1
	s_or_b64 exec, exec, s[8:9]
	s_orn2_b64 s[8:9], s[10:11], exec
.LBB40_57:                              ;   in Loop: Header=BB40_59 Depth=1
	s_or_b64 exec, exec, s[6:7]
	s_orn2_b64 s[6:7], s[8:9], exec
.LBB40_58:                              ;   in Loop: Header=BB40_59 Depth=1
	s_or_b64 exec, exec, s[4:5]
	s_and_b64 s[4:5], exec, s[6:7]
	s_or_b64 s[2:3], s[4:5], s[2:3]
	s_andn2_b64 exec, exec, s[2:3]
	s_cbranch_execz .LBB40_189
.LBB40_59:                              ; =>This Inner Loop Header: Depth=1
	v_lshlrev_b64 v[6:7], 4, v[0:1]
	v_add_co_u32_e32 v2, vcc, s33, v6
	v_addc_co_u32_e32 v3, vcc, v14, v7, vcc
	v_add_co_u32_e32 v6, vcc, s14, v6
	global_load_dwordx4 v[2:5], v[2:3], off
	v_addc_co_u32_e32 v7, vcc, v15, v7, vcc
	v_lshrrev_b32_e32 v10, 2, v0
	global_load_dwordx4 v[6:9], v[6:7], off
	v_and_b32_e32 v10, 0xffffffc, v10
	global_load_dword v10, v10, s[0:1]
	s_waitcnt vmcnt(2)
	v_mul_f32_e32 v2, v36, v2
	s_waitcnt vmcnt(1)
	v_mul_f32_e32 v6, v2, v6
	v_mov_b32_e32 v2, 0x80
	s_waitcnt vmcnt(0)
	v_div_scale_f32 v11, s[4:5], v10, v10, v6
	v_rcp_f32_e32 v12, v11
	v_div_scale_f32 v13, vcc, v6, v10, v6
	v_fma_f32 v16, -v11, v12, 1.0
	v_fmac_f32_e32 v12, v16, v12
	v_mul_f32_e32 v16, v13, v12
	v_fma_f32 v17, -v11, v16, v13
	v_fmac_f32_e32 v16, v17, v12
	v_fma_f32 v11, -v11, v16, v13
	v_div_fmas_f32 v11, v11, v12, v16
	v_div_fixup_f32 v6, v11, v10, v6
	v_min_f32_e32 v6, 0x43600000, v6
	v_max_f32_e32 v11, 0xc3600000, v6
	v_and_b32_e32 v12, 0x7fffffff, v11
	v_cmp_gt_u32_e32 vcc, s23, v12
	v_mov_b32_e32 v6, 0x80
	s_and_saveexec_b64 s[4:5], vcc
	s_cbranch_execz .LBB40_65
; %bb.60:                               ;   in Loop: Header=BB40_59 Depth=1
	v_cmp_lt_u32_e32 vcc, s24, v12
	s_mov_b64 s[6:7], 0
                                        ; implicit-def: $vgpr12
	s_and_saveexec_b64 s[8:9], vcc
	s_xor_b64 s[8:9], exec, s[8:9]
	s_cbranch_execnz .LBB40_156
; %bb.61:                               ;   in Loop: Header=BB40_59 Depth=1
	s_or_saveexec_b64 s[8:9], s[8:9]
                                        ; implicit-def: $sgpr10
	s_xor_b64 exec, exec, s[8:9]
	s_cbranch_execnz .LBB40_157
.LBB40_62:                              ;   in Loop: Header=BB40_59 Depth=1
	s_or_b64 exec, exec, s[8:9]
	v_mov_b32_e32 v6, s10
	s_and_saveexec_b64 s[8:9], s[6:7]
.LBB40_63:                              ;   in Loop: Header=BB40_59 Depth=1
	v_lshrrev_b32_e32 v6, 24, v11
	v_and_or_b32 v6, v6, s27, v12
.LBB40_64:                              ;   in Loop: Header=BB40_59 Depth=1
	s_or_b64 exec, exec, s[8:9]
.LBB40_65:                              ;   in Loop: Header=BB40_59 Depth=1
	s_or_b64 exec, exec, s[4:5]
	v_mul_f32_e32 v3, v36, v3
	v_mul_f32_e32 v3, v3, v7
	v_div_scale_f32 v7, s[4:5], v10, v10, v3
	v_rcp_f32_e32 v11, v7
	v_div_scale_f32 v12, vcc, v3, v10, v3
	v_fma_f32 v13, -v7, v11, 1.0
	v_fmac_f32_e32 v11, v13, v11
	v_mul_f32_e32 v13, v12, v11
	v_fma_f32 v16, -v7, v13, v12
	v_fmac_f32_e32 v13, v16, v11
	v_fma_f32 v7, -v7, v13, v12
	v_div_fmas_f32 v7, v7, v11, v13
	v_div_fixup_f32 v3, v7, v10, v3
	v_min_f32_e32 v3, 0x43600000, v3
	v_max_f32_e32 v3, 0xc3600000, v3
	v_and_b32_e32 v7, 0x7fffffff, v3
	v_cmp_gt_u32_e32 vcc, s23, v7
	s_and_saveexec_b64 s[4:5], vcc
	s_cbranch_execz .LBB40_71
; %bb.66:                               ;   in Loop: Header=BB40_59 Depth=1
	v_cmp_lt_u32_e32 vcc, s24, v7
	s_mov_b64 s[6:7], 0
                                        ; implicit-def: $vgpr7
	s_and_saveexec_b64 s[8:9], vcc
	s_xor_b64 s[8:9], exec, s[8:9]
	s_cbranch_execnz .LBB40_158
; %bb.67:                               ;   in Loop: Header=BB40_59 Depth=1
	s_or_saveexec_b64 s[8:9], s[8:9]
                                        ; implicit-def: $sgpr10
	s_xor_b64 exec, exec, s[8:9]
	s_cbranch_execnz .LBB40_159
.LBB40_68:                              ;   in Loop: Header=BB40_59 Depth=1
	s_or_b64 exec, exec, s[8:9]
	v_mov_b32_e32 v2, s10
	s_and_saveexec_b64 s[8:9], s[6:7]
.LBB40_69:                              ;   in Loop: Header=BB40_59 Depth=1
	v_lshrrev_b32_e32 v2, 24, v3
	v_and_or_b32 v2, v2, s27, v7
.LBB40_70:                              ;   in Loop: Header=BB40_59 Depth=1
	s_or_b64 exec, exec, s[8:9]
.LBB40_71:                              ;   in Loop: Header=BB40_59 Depth=1
	s_or_b64 exec, exec, s[4:5]
	v_mul_f32_e32 v3, v36, v4
	v_mul_f32_e32 v3, v3, v8
	v_div_scale_f32 v4, s[4:5], v10, v10, v3
	v_rcp_f32_e32 v7, v4
	v_div_scale_f32 v8, vcc, v3, v10, v3
	v_fma_f32 v11, -v4, v7, 1.0
	v_fmac_f32_e32 v7, v11, v7
	v_mul_f32_e32 v11, v8, v7
	v_fma_f32 v12, -v4, v11, v8
	v_fmac_f32_e32 v11, v12, v7
	v_fma_f32 v4, -v4, v11, v8
	v_div_fmas_f32 v4, v4, v7, v11
	v_div_fixup_f32 v3, v4, v10, v3
	v_min_f32_e32 v3, 0x43600000, v3
	v_max_f32_e32 v7, 0xc3600000, v3
	v_and_b32_e32 v8, 0x7fffffff, v7
	v_cmp_gt_u32_e32 vcc, s23, v8
	v_mov_b32_e32 v3, 0x80
	v_mov_b32_e32 v4, 0x80
	s_and_saveexec_b64 s[4:5], vcc
	s_cbranch_execz .LBB40_77
; %bb.72:                               ;   in Loop: Header=BB40_59 Depth=1
	v_cmp_lt_u32_e32 vcc, s24, v8
	s_mov_b64 s[6:7], 0
                                        ; implicit-def: $vgpr8
	s_and_saveexec_b64 s[8:9], vcc
	s_xor_b64 s[8:9], exec, s[8:9]
	s_cbranch_execnz .LBB40_160
; %bb.73:                               ;   in Loop: Header=BB40_59 Depth=1
	s_or_saveexec_b64 s[8:9], s[8:9]
                                        ; implicit-def: $sgpr10
	s_xor_b64 exec, exec, s[8:9]
	s_cbranch_execnz .LBB40_161
.LBB40_74:                              ;   in Loop: Header=BB40_59 Depth=1
	s_or_b64 exec, exec, s[8:9]
	v_mov_b32_e32 v4, s10
	s_and_saveexec_b64 s[8:9], s[6:7]
.LBB40_75:                              ;   in Loop: Header=BB40_59 Depth=1
	v_lshrrev_b32_e32 v4, 24, v7
	v_and_or_b32 v4, v4, s27, v8
.LBB40_76:                              ;   in Loop: Header=BB40_59 Depth=1
	s_or_b64 exec, exec, s[8:9]
.LBB40_77:                              ;   in Loop: Header=BB40_59 Depth=1
	s_or_b64 exec, exec, s[4:5]
	v_mul_f32_e32 v5, v36, v5
	v_mul_f32_e32 v5, v5, v9
	v_div_scale_f32 v7, s[4:5], v10, v10, v5
	v_rcp_f32_e32 v8, v7
	v_div_scale_f32 v9, vcc, v5, v10, v5
	v_fma_f32 v11, -v7, v8, 1.0
	v_fmac_f32_e32 v8, v11, v8
	v_mul_f32_e32 v11, v9, v8
	v_fma_f32 v12, -v7, v11, v9
	v_fmac_f32_e32 v11, v12, v8
	v_fma_f32 v7, -v7, v11, v9
	v_div_fmas_f32 v7, v7, v8, v11
	v_div_fixup_f32 v5, v7, v10, v5
	v_min_f32_e32 v5, 0x43600000, v5
	v_max_f32_e32 v5, 0xc3600000, v5
	v_and_b32_e32 v7, 0x7fffffff, v5
	v_cmp_gt_u32_e32 vcc, s23, v7
	s_and_saveexec_b64 s[4:5], vcc
	s_cbranch_execz .LBB40_83
; %bb.78:                               ;   in Loop: Header=BB40_59 Depth=1
	v_cmp_lt_u32_e32 vcc, s24, v7
	s_mov_b64 s[6:7], 0
                                        ; implicit-def: $vgpr7
	s_and_saveexec_b64 s[8:9], vcc
	s_xor_b64 s[8:9], exec, s[8:9]
	s_cbranch_execnz .LBB40_162
; %bb.79:                               ;   in Loop: Header=BB40_59 Depth=1
	s_or_saveexec_b64 s[8:9], s[8:9]
                                        ; implicit-def: $sgpr10
	s_xor_b64 exec, exec, s[8:9]
	s_cbranch_execnz .LBB40_163
.LBB40_80:                              ;   in Loop: Header=BB40_59 Depth=1
	s_or_b64 exec, exec, s[8:9]
	v_mov_b32_e32 v3, s10
	s_and_saveexec_b64 s[8:9], s[6:7]
.LBB40_81:                              ;   in Loop: Header=BB40_59 Depth=1
	v_lshrrev_b32_e32 v3, 24, v5
	v_and_or_b32 v3, v3, s27, v7
.LBB40_82:                              ;   in Loop: Header=BB40_59 Depth=1
	s_or_b64 exec, exec, s[8:9]
.LBB40_83:                              ;   in Loop: Header=BB40_59 Depth=1
	s_or_b64 exec, exec, s[4:5]
	v_lshlrev_b64 v[8:9], 2, v[0:1]
	v_mov_b32_e32 v5, s20
	v_add_co_u32_e32 v8, vcc, s13, v8
	v_lshlrev_b32_e32 v4, 16, v4
	v_lshlrev_b32_e32 v2, 8, v2
	v_addc_co_u32_e32 v9, vcc, v5, v9, vcc
	v_perm_b32 v3, v3, v4, s28
	v_and_b32_e32 v2, 0xff00, v2
	v_and_b32_e32 v4, 0xff, v6
	v_add_u32_e32 v10, s45, v0
	v_or3_b32 v2, v3, v2, v4
	v_cmp_gt_u32_e32 vcc, s12, v10
	s_mov_b64 s[6:7], -1
	global_store_dword v[8:9], v2, off
	s_and_saveexec_b64 s[4:5], vcc
	s_cbranch_execz .LBB40_58
; %bb.84:                               ;   in Loop: Header=BB40_59 Depth=1
	v_mov_b32_e32 v11, v1
	v_lshlrev_b64 v[6:7], 4, v[10:11]
	v_mov_b32_e32 v3, s44
	v_add_co_u32_e32 v2, vcc, s33, v6
	v_addc_co_u32_e32 v3, vcc, v3, v7, vcc
	v_mov_b32_e32 v8, s15
	v_add_co_u32_e32 v6, vcc, s14, v6
	global_load_dwordx4 v[2:5], v[2:3], off
	v_addc_co_u32_e32 v7, vcc, v8, v7, vcc
	v_lshrrev_b32_e32 v12, 2, v10
	global_load_dwordx4 v[6:9], v[6:7], off
	v_and_b32_e32 v12, 0xffffffc, v12
	global_load_dword v12, v12, s[0:1]
	s_waitcnt vmcnt(2)
	v_mul_f32_e32 v2, v36, v2
	s_waitcnt vmcnt(1)
	v_mul_f32_e32 v6, v2, v6
	v_mov_b32_e32 v2, 0x80
	s_waitcnt vmcnt(0)
	v_div_scale_f32 v13, s[6:7], v12, v12, v6
	v_rcp_f32_e32 v16, v13
	v_div_scale_f32 v17, vcc, v6, v12, v6
	v_fma_f32 v18, -v13, v16, 1.0
	v_fmac_f32_e32 v16, v18, v16
	v_mul_f32_e32 v18, v17, v16
	v_fma_f32 v19, -v13, v18, v17
	v_fmac_f32_e32 v18, v19, v16
	v_fma_f32 v13, -v13, v18, v17
	v_div_fmas_f32 v13, v13, v16, v18
	v_div_fixup_f32 v6, v13, v12, v6
	v_min_f32_e32 v6, 0x43600000, v6
	v_max_f32_e32 v13, 0xc3600000, v6
	v_and_b32_e32 v16, 0x7fffffff, v13
	v_cmp_gt_u32_e32 vcc, s23, v16
	v_mov_b32_e32 v6, 0x80
	s_and_saveexec_b64 s[6:7], vcc
	s_cbranch_execz .LBB40_90
; %bb.85:                               ;   in Loop: Header=BB40_59 Depth=1
	v_cmp_lt_u32_e32 vcc, s24, v16
	s_mov_b64 s[8:9], 0
                                        ; implicit-def: $vgpr16
	s_and_saveexec_b64 s[10:11], vcc
	s_xor_b64 s[10:11], exec, s[10:11]
	s_cbranch_execnz .LBB40_164
; %bb.86:                               ;   in Loop: Header=BB40_59 Depth=1
	s_or_saveexec_b64 s[10:11], s[10:11]
                                        ; implicit-def: $sgpr16
	s_xor_b64 exec, exec, s[10:11]
	s_cbranch_execnz .LBB40_165
.LBB40_87:                              ;   in Loop: Header=BB40_59 Depth=1
	s_or_b64 exec, exec, s[10:11]
	v_mov_b32_e32 v6, s16
	s_and_saveexec_b64 s[10:11], s[8:9]
.LBB40_88:                              ;   in Loop: Header=BB40_59 Depth=1
	v_lshrrev_b32_e32 v6, 24, v13
	v_and_or_b32 v6, v6, s27, v16
.LBB40_89:                              ;   in Loop: Header=BB40_59 Depth=1
	s_or_b64 exec, exec, s[10:11]
.LBB40_90:                              ;   in Loop: Header=BB40_59 Depth=1
	s_or_b64 exec, exec, s[6:7]
	v_mul_f32_e32 v3, v36, v3
	v_mul_f32_e32 v3, v3, v7
	v_div_scale_f32 v7, s[6:7], v12, v12, v3
	v_rcp_f32_e32 v13, v7
	v_div_scale_f32 v16, vcc, v3, v12, v3
	v_fma_f32 v17, -v7, v13, 1.0
	v_fmac_f32_e32 v13, v17, v13
	v_mul_f32_e32 v17, v16, v13
	v_fma_f32 v18, -v7, v17, v16
	v_fmac_f32_e32 v17, v18, v13
	v_fma_f32 v7, -v7, v17, v16
	v_div_fmas_f32 v7, v7, v13, v17
	v_div_fixup_f32 v3, v7, v12, v3
	v_min_f32_e32 v3, 0x43600000, v3
	v_max_f32_e32 v3, 0xc3600000, v3
	v_and_b32_e32 v7, 0x7fffffff, v3
	v_cmp_gt_u32_e32 vcc, s23, v7
	s_and_saveexec_b64 s[6:7], vcc
	s_cbranch_execz .LBB40_96
; %bb.91:                               ;   in Loop: Header=BB40_59 Depth=1
	v_cmp_lt_u32_e32 vcc, s24, v7
	s_mov_b64 s[8:9], 0
                                        ; implicit-def: $vgpr7
	s_and_saveexec_b64 s[10:11], vcc
	s_xor_b64 s[10:11], exec, s[10:11]
	s_cbranch_execnz .LBB40_166
; %bb.92:                               ;   in Loop: Header=BB40_59 Depth=1
	s_or_saveexec_b64 s[10:11], s[10:11]
                                        ; implicit-def: $sgpr16
	s_xor_b64 exec, exec, s[10:11]
	s_cbranch_execnz .LBB40_167
.LBB40_93:                              ;   in Loop: Header=BB40_59 Depth=1
	s_or_b64 exec, exec, s[10:11]
	v_mov_b32_e32 v2, s16
	s_and_saveexec_b64 s[10:11], s[8:9]
.LBB40_94:                              ;   in Loop: Header=BB40_59 Depth=1
	v_lshrrev_b32_e32 v2, 24, v3
	v_and_or_b32 v2, v2, s27, v7
.LBB40_95:                              ;   in Loop: Header=BB40_59 Depth=1
	s_or_b64 exec, exec, s[10:11]
.LBB40_96:                              ;   in Loop: Header=BB40_59 Depth=1
	s_or_b64 exec, exec, s[6:7]
	v_mul_f32_e32 v3, v36, v4
	v_mul_f32_e32 v3, v3, v8
	v_div_scale_f32 v4, s[6:7], v12, v12, v3
	v_rcp_f32_e32 v7, v4
	v_div_scale_f32 v8, vcc, v3, v12, v3
	v_fma_f32 v13, -v4, v7, 1.0
	v_fmac_f32_e32 v7, v13, v7
	v_mul_f32_e32 v13, v8, v7
	v_fma_f32 v16, -v4, v13, v8
	v_fmac_f32_e32 v13, v16, v7
	v_fma_f32 v4, -v4, v13, v8
	v_div_fmas_f32 v4, v4, v7, v13
	v_div_fixup_f32 v3, v4, v12, v3
	v_min_f32_e32 v3, 0x43600000, v3
	v_max_f32_e32 v7, 0xc3600000, v3
	v_and_b32_e32 v8, 0x7fffffff, v7
	v_cmp_gt_u32_e32 vcc, s23, v8
	v_mov_b32_e32 v3, 0x80
	v_mov_b32_e32 v4, 0x80
	s_and_saveexec_b64 s[6:7], vcc
	s_cbranch_execz .LBB40_102
; %bb.97:                               ;   in Loop: Header=BB40_59 Depth=1
	v_cmp_lt_u32_e32 vcc, s24, v8
	s_mov_b64 s[8:9], 0
                                        ; implicit-def: $vgpr8
	s_and_saveexec_b64 s[10:11], vcc
	s_xor_b64 s[10:11], exec, s[10:11]
	s_cbranch_execnz .LBB40_168
; %bb.98:                               ;   in Loop: Header=BB40_59 Depth=1
	s_or_saveexec_b64 s[10:11], s[10:11]
                                        ; implicit-def: $sgpr16
	s_xor_b64 exec, exec, s[10:11]
	s_cbranch_execnz .LBB40_169
.LBB40_99:                              ;   in Loop: Header=BB40_59 Depth=1
	s_or_b64 exec, exec, s[10:11]
	v_mov_b32_e32 v4, s16
	s_and_saveexec_b64 s[10:11], s[8:9]
.LBB40_100:                             ;   in Loop: Header=BB40_59 Depth=1
	v_lshrrev_b32_e32 v4, 24, v7
	v_and_or_b32 v4, v4, s27, v8
.LBB40_101:                             ;   in Loop: Header=BB40_59 Depth=1
	s_or_b64 exec, exec, s[10:11]
.LBB40_102:                             ;   in Loop: Header=BB40_59 Depth=1
	s_or_b64 exec, exec, s[6:7]
	v_mul_f32_e32 v5, v36, v5
	v_mul_f32_e32 v5, v5, v9
	v_div_scale_f32 v7, s[6:7], v12, v12, v5
	v_rcp_f32_e32 v8, v7
	v_div_scale_f32 v9, vcc, v5, v12, v5
	v_fma_f32 v13, -v7, v8, 1.0
	v_fmac_f32_e32 v8, v13, v8
	v_mul_f32_e32 v13, v9, v8
	v_fma_f32 v16, -v7, v13, v9
	v_fmac_f32_e32 v13, v16, v8
	v_fma_f32 v7, -v7, v13, v9
	v_div_fmas_f32 v7, v7, v8, v13
	v_div_fixup_f32 v5, v7, v12, v5
	v_min_f32_e32 v5, 0x43600000, v5
	v_max_f32_e32 v5, 0xc3600000, v5
	v_and_b32_e32 v7, 0x7fffffff, v5
	v_cmp_gt_u32_e32 vcc, s23, v7
	s_and_saveexec_b64 s[6:7], vcc
	s_cbranch_execz .LBB40_108
; %bb.103:                              ;   in Loop: Header=BB40_59 Depth=1
	v_cmp_lt_u32_e32 vcc, s24, v7
	s_mov_b64 s[8:9], 0
                                        ; implicit-def: $vgpr7
	s_and_saveexec_b64 s[10:11], vcc
	s_xor_b64 s[10:11], exec, s[10:11]
	s_cbranch_execnz .LBB40_170
; %bb.104:                              ;   in Loop: Header=BB40_59 Depth=1
	s_or_saveexec_b64 s[10:11], s[10:11]
                                        ; implicit-def: $sgpr16
	s_xor_b64 exec, exec, s[10:11]
	s_cbranch_execnz .LBB40_171
.LBB40_105:                             ;   in Loop: Header=BB40_59 Depth=1
	s_or_b64 exec, exec, s[10:11]
	v_mov_b32_e32 v3, s16
	s_and_saveexec_b64 s[10:11], s[8:9]
.LBB40_106:                             ;   in Loop: Header=BB40_59 Depth=1
	v_lshrrev_b32_e32 v3, 24, v5
	v_and_or_b32 v3, v3, s27, v7
.LBB40_107:                             ;   in Loop: Header=BB40_59 Depth=1
	s_or_b64 exec, exec, s[10:11]
.LBB40_108:                             ;   in Loop: Header=BB40_59 Depth=1
	s_or_b64 exec, exec, s[6:7]
	v_lshlrev_b64 v[8:9], 2, v[10:11]
	v_mov_b32_e32 v5, s20
	v_add_co_u32_e32 v8, vcc, s13, v8
	v_lshlrev_b32_e32 v4, 16, v4
	v_lshlrev_b32_e32 v2, 8, v2
	v_addc_co_u32_e32 v9, vcc, v5, v9, vcc
	v_perm_b32 v3, v3, v4, s28
	v_and_b32_e32 v2, 0xff00, v2
	v_and_b32_e32 v4, 0xff, v6
	v_add_u32_e32 v12, s22, v0
	v_or3_b32 v2, v3, v2, v4
	v_cmp_gt_u32_e32 vcc, s12, v12
	s_mov_b64 s[8:9], -1
	global_store_dword v[8:9], v2, off
	s_and_saveexec_b64 s[6:7], vcc
	s_cbranch_execz .LBB40_57
; %bb.109:                              ;   in Loop: Header=BB40_59 Depth=1
	v_mov_b32_e32 v13, v1
	v_lshlrev_b64 v[6:7], 4, v[12:13]
	v_mov_b32_e32 v3, s44
	v_add_co_u32_e32 v2, vcc, s33, v6
	v_addc_co_u32_e32 v3, vcc, v3, v7, vcc
	v_mov_b32_e32 v8, s15
	v_add_co_u32_e32 v6, vcc, s14, v6
	global_load_dwordx4 v[2:5], v[2:3], off
	v_addc_co_u32_e32 v7, vcc, v8, v7, vcc
	v_lshrrev_b32_e32 v11, 2, v12
	global_load_dwordx4 v[6:9], v[6:7], off
	v_and_b32_e32 v11, 0xffffffc, v11
	global_load_dword v11, v11, s[0:1]
	s_waitcnt vmcnt(2)
	v_mul_f32_e32 v2, v36, v2
	s_waitcnt vmcnt(1)
	v_mul_f32_e32 v6, v2, v6
	v_mov_b32_e32 v2, 0x80
	s_waitcnt vmcnt(0)
	v_div_scale_f32 v16, s[8:9], v11, v11, v6
	v_rcp_f32_e32 v17, v16
	v_div_scale_f32 v18, vcc, v6, v11, v6
	v_fma_f32 v19, -v16, v17, 1.0
	v_fmac_f32_e32 v17, v19, v17
	v_mul_f32_e32 v19, v18, v17
	v_fma_f32 v20, -v16, v19, v18
	v_fmac_f32_e32 v19, v20, v17
	v_fma_f32 v16, -v16, v19, v18
	v_div_fmas_f32 v16, v16, v17, v19
	v_div_fixup_f32 v6, v16, v11, v6
	v_min_f32_e32 v6, 0x43600000, v6
	v_max_f32_e32 v16, 0xc3600000, v6
	v_and_b32_e32 v17, 0x7fffffff, v16
	v_cmp_gt_u32_e32 vcc, s23, v17
	v_mov_b32_e32 v6, 0x80
	s_and_saveexec_b64 s[8:9], vcc
	s_cbranch_execz .LBB40_115
; %bb.110:                              ;   in Loop: Header=BB40_59 Depth=1
	v_cmp_lt_u32_e32 vcc, s24, v17
	s_mov_b64 s[10:11], 0
                                        ; implicit-def: $vgpr17
	s_and_saveexec_b64 s[16:17], vcc
	s_xor_b64 s[16:17], exec, s[16:17]
	s_cbranch_execnz .LBB40_172
; %bb.111:                              ;   in Loop: Header=BB40_59 Depth=1
	s_or_saveexec_b64 s[16:17], s[16:17]
                                        ; implicit-def: $sgpr18
	s_xor_b64 exec, exec, s[16:17]
	s_cbranch_execnz .LBB40_173
.LBB40_112:                             ;   in Loop: Header=BB40_59 Depth=1
	s_or_b64 exec, exec, s[16:17]
	v_mov_b32_e32 v6, s18
	s_and_saveexec_b64 s[16:17], s[10:11]
.LBB40_113:                             ;   in Loop: Header=BB40_59 Depth=1
	v_lshrrev_b32_e32 v6, 24, v16
	v_and_or_b32 v6, v6, s27, v17
.LBB40_114:                             ;   in Loop: Header=BB40_59 Depth=1
	s_or_b64 exec, exec, s[16:17]
.LBB40_115:                             ;   in Loop: Header=BB40_59 Depth=1
	s_or_b64 exec, exec, s[8:9]
	v_mul_f32_e32 v3, v36, v3
	v_mul_f32_e32 v3, v3, v7
	v_div_scale_f32 v7, s[8:9], v11, v11, v3
	v_rcp_f32_e32 v16, v7
	v_div_scale_f32 v17, vcc, v3, v11, v3
	v_fma_f32 v18, -v7, v16, 1.0
	v_fmac_f32_e32 v16, v18, v16
	v_mul_f32_e32 v18, v17, v16
	v_fma_f32 v19, -v7, v18, v17
	v_fmac_f32_e32 v18, v19, v16
	v_fma_f32 v7, -v7, v18, v17
	v_div_fmas_f32 v7, v7, v16, v18
	v_div_fixup_f32 v3, v7, v11, v3
	v_min_f32_e32 v3, 0x43600000, v3
	v_max_f32_e32 v3, 0xc3600000, v3
	v_and_b32_e32 v7, 0x7fffffff, v3
	v_cmp_gt_u32_e32 vcc, s23, v7
	s_and_saveexec_b64 s[8:9], vcc
	s_cbranch_execz .LBB40_121
; %bb.116:                              ;   in Loop: Header=BB40_59 Depth=1
	v_cmp_lt_u32_e32 vcc, s24, v7
	s_mov_b64 s[10:11], 0
                                        ; implicit-def: $vgpr7
	s_and_saveexec_b64 s[16:17], vcc
	s_xor_b64 s[16:17], exec, s[16:17]
	s_cbranch_execnz .LBB40_174
; %bb.117:                              ;   in Loop: Header=BB40_59 Depth=1
	s_or_saveexec_b64 s[16:17], s[16:17]
                                        ; implicit-def: $sgpr18
	s_xor_b64 exec, exec, s[16:17]
	s_cbranch_execnz .LBB40_175
.LBB40_118:                             ;   in Loop: Header=BB40_59 Depth=1
	s_or_b64 exec, exec, s[16:17]
	v_mov_b32_e32 v2, s18
	s_and_saveexec_b64 s[16:17], s[10:11]
.LBB40_119:                             ;   in Loop: Header=BB40_59 Depth=1
	v_lshrrev_b32_e32 v2, 24, v3
	v_and_or_b32 v2, v2, s27, v7
.LBB40_120:                             ;   in Loop: Header=BB40_59 Depth=1
	s_or_b64 exec, exec, s[16:17]
.LBB40_121:                             ;   in Loop: Header=BB40_59 Depth=1
	s_or_b64 exec, exec, s[8:9]
	v_mul_f32_e32 v3, v36, v4
	v_mul_f32_e32 v3, v3, v8
	v_div_scale_f32 v4, s[8:9], v11, v11, v3
	v_rcp_f32_e32 v7, v4
	v_div_scale_f32 v8, vcc, v3, v11, v3
	v_fma_f32 v16, -v4, v7, 1.0
	v_fmac_f32_e32 v7, v16, v7
	v_mul_f32_e32 v16, v8, v7
	v_fma_f32 v17, -v4, v16, v8
	v_fmac_f32_e32 v16, v17, v7
	v_fma_f32 v4, -v4, v16, v8
	v_div_fmas_f32 v4, v4, v7, v16
	v_div_fixup_f32 v3, v4, v11, v3
	v_min_f32_e32 v3, 0x43600000, v3
	v_max_f32_e32 v7, 0xc3600000, v3
	v_and_b32_e32 v8, 0x7fffffff, v7
	v_cmp_gt_u32_e32 vcc, s23, v8
	v_mov_b32_e32 v3, 0x80
	v_mov_b32_e32 v4, 0x80
	s_and_saveexec_b64 s[8:9], vcc
	s_cbranch_execz .LBB40_127
; %bb.122:                              ;   in Loop: Header=BB40_59 Depth=1
	v_cmp_lt_u32_e32 vcc, s24, v8
	s_mov_b64 s[10:11], 0
                                        ; implicit-def: $vgpr8
	s_and_saveexec_b64 s[16:17], vcc
	s_xor_b64 s[16:17], exec, s[16:17]
	s_cbranch_execnz .LBB40_176
; %bb.123:                              ;   in Loop: Header=BB40_59 Depth=1
	s_or_saveexec_b64 s[16:17], s[16:17]
                                        ; implicit-def: $sgpr18
	s_xor_b64 exec, exec, s[16:17]
	s_cbranch_execnz .LBB40_177
.LBB40_124:                             ;   in Loop: Header=BB40_59 Depth=1
	s_or_b64 exec, exec, s[16:17]
	v_mov_b32_e32 v4, s18
	s_and_saveexec_b64 s[16:17], s[10:11]
.LBB40_125:                             ;   in Loop: Header=BB40_59 Depth=1
	v_lshrrev_b32_e32 v4, 24, v7
	v_and_or_b32 v4, v4, s27, v8
.LBB40_126:                             ;   in Loop: Header=BB40_59 Depth=1
	s_or_b64 exec, exec, s[16:17]
.LBB40_127:                             ;   in Loop: Header=BB40_59 Depth=1
	s_or_b64 exec, exec, s[8:9]
	v_mul_f32_e32 v5, v36, v5
	v_mul_f32_e32 v5, v5, v9
	v_div_scale_f32 v7, s[8:9], v11, v11, v5
	v_rcp_f32_e32 v8, v7
	v_div_scale_f32 v9, vcc, v5, v11, v5
	v_fma_f32 v16, -v7, v8, 1.0
	v_fmac_f32_e32 v8, v16, v8
	v_mul_f32_e32 v16, v9, v8
	v_fma_f32 v17, -v7, v16, v9
	v_fmac_f32_e32 v16, v17, v8
	v_fma_f32 v7, -v7, v16, v9
	v_div_fmas_f32 v7, v7, v8, v16
	v_div_fixup_f32 v5, v7, v11, v5
	v_min_f32_e32 v5, 0x43600000, v5
	v_max_f32_e32 v5, 0xc3600000, v5
	v_and_b32_e32 v7, 0x7fffffff, v5
	v_cmp_gt_u32_e32 vcc, s23, v7
	s_and_saveexec_b64 s[8:9], vcc
	s_cbranch_execz .LBB40_133
; %bb.128:                              ;   in Loop: Header=BB40_59 Depth=1
	v_cmp_lt_u32_e32 vcc, s24, v7
	s_mov_b64 s[10:11], 0
                                        ; implicit-def: $vgpr7
	s_and_saveexec_b64 s[16:17], vcc
	s_xor_b64 s[16:17], exec, s[16:17]
	s_cbranch_execnz .LBB40_178
; %bb.129:                              ;   in Loop: Header=BB40_59 Depth=1
	s_or_saveexec_b64 s[16:17], s[16:17]
                                        ; implicit-def: $sgpr18
	s_xor_b64 exec, exec, s[16:17]
	s_cbranch_execnz .LBB40_179
.LBB40_130:                             ;   in Loop: Header=BB40_59 Depth=1
	s_or_b64 exec, exec, s[16:17]
	v_mov_b32_e32 v3, s18
	s_and_saveexec_b64 s[16:17], s[10:11]
.LBB40_131:                             ;   in Loop: Header=BB40_59 Depth=1
	v_lshrrev_b32_e32 v3, 24, v5
	v_and_or_b32 v3, v3, s27, v7
.LBB40_132:                             ;   in Loop: Header=BB40_59 Depth=1
	s_or_b64 exec, exec, s[16:17]
.LBB40_133:                             ;   in Loop: Header=BB40_59 Depth=1
	s_or_b64 exec, exec, s[8:9]
	v_lshlrev_b64 v[8:9], 2, v[12:13]
	v_mov_b32_e32 v5, s20
	v_add_co_u32_e32 v8, vcc, s13, v8
	v_lshlrev_b32_e32 v4, 16, v4
	v_lshlrev_b32_e32 v2, 8, v2
	v_addc_co_u32_e32 v9, vcc, v5, v9, vcc
	v_perm_b32 v3, v3, v4, s28
	v_and_b32_e32 v2, 0xff00, v2
	v_and_b32_e32 v4, 0xff, v6
	v_add_u32_e32 v0, s21, v0
	v_or3_b32 v2, v3, v2, v4
	v_cmp_gt_u32_e32 vcc, s12, v0
	s_mov_b64 s[10:11], -1
	global_store_dword v[8:9], v2, off
	s_and_saveexec_b64 s[8:9], vcc
	s_cbranch_execz .LBB40_56
; %bb.134:                              ;   in Loop: Header=BB40_59 Depth=1
	v_lshlrev_b64 v[6:7], 4, v[0:1]
	v_mov_b32_e32 v3, s44
	v_add_co_u32_e32 v2, vcc, s33, v6
	v_addc_co_u32_e32 v3, vcc, v3, v7, vcc
	v_mov_b32_e32 v8, s15
	v_add_co_u32_e32 v6, vcc, s14, v6
	global_load_dwordx4 v[2:5], v[2:3], off
	v_addc_co_u32_e32 v7, vcc, v8, v7, vcc
	v_lshrrev_b32_e32 v11, 2, v0
	global_load_dwordx4 v[6:9], v[6:7], off
	v_and_b32_e32 v11, 0xffffffc, v11
	global_load_dword v11, v11, s[0:1]
	s_waitcnt vmcnt(2)
	v_mul_f32_e32 v2, v36, v2
	s_waitcnt vmcnt(1)
	v_mul_f32_e32 v6, v2, v6
	v_mov_b32_e32 v2, 0x80
	s_waitcnt vmcnt(0)
	v_div_scale_f32 v12, s[10:11], v11, v11, v6
	v_rcp_f32_e32 v13, v12
	v_div_scale_f32 v16, vcc, v6, v11, v6
	v_fma_f32 v17, -v12, v13, 1.0
	v_fmac_f32_e32 v13, v17, v13
	v_mul_f32_e32 v17, v16, v13
	v_fma_f32 v18, -v12, v17, v16
	v_fmac_f32_e32 v17, v18, v13
	v_fma_f32 v12, -v12, v17, v16
	v_div_fmas_f32 v12, v12, v13, v17
	v_div_fixup_f32 v6, v12, v11, v6
	v_min_f32_e32 v6, 0x43600000, v6
	v_max_f32_e32 v12, 0xc3600000, v6
	v_and_b32_e32 v13, 0x7fffffff, v12
	v_cmp_gt_u32_e32 vcc, s23, v13
	v_mov_b32_e32 v6, 0x80
	s_and_saveexec_b64 s[10:11], vcc
	s_cbranch_execz .LBB40_140
; %bb.135:                              ;   in Loop: Header=BB40_59 Depth=1
	v_cmp_lt_u32_e32 vcc, s24, v13
	s_mov_b64 s[16:17], 0
                                        ; implicit-def: $vgpr13
	s_and_saveexec_b64 s[18:19], vcc
	s_xor_b64 s[18:19], exec, s[18:19]
	s_cbranch_execnz .LBB40_180
; %bb.136:                              ;   in Loop: Header=BB40_59 Depth=1
	s_or_saveexec_b64 s[18:19], s[18:19]
                                        ; implicit-def: $sgpr29
	s_xor_b64 exec, exec, s[18:19]
	s_cbranch_execnz .LBB40_181
.LBB40_137:                             ;   in Loop: Header=BB40_59 Depth=1
	s_or_b64 exec, exec, s[18:19]
	v_mov_b32_e32 v6, s29
	s_and_saveexec_b64 s[18:19], s[16:17]
.LBB40_138:                             ;   in Loop: Header=BB40_59 Depth=1
	v_lshrrev_b32_e32 v6, 24, v12
	v_and_or_b32 v6, v6, s27, v13
.LBB40_139:                             ;   in Loop: Header=BB40_59 Depth=1
	s_or_b64 exec, exec, s[18:19]
.LBB40_140:                             ;   in Loop: Header=BB40_59 Depth=1
	s_or_b64 exec, exec, s[10:11]
	v_mul_f32_e32 v3, v36, v3
	v_mul_f32_e32 v3, v3, v7
	v_div_scale_f32 v7, s[10:11], v11, v11, v3
	v_rcp_f32_e32 v12, v7
	v_div_scale_f32 v13, vcc, v3, v11, v3
	v_fma_f32 v16, -v7, v12, 1.0
	v_fmac_f32_e32 v12, v16, v12
	v_mul_f32_e32 v16, v13, v12
	v_fma_f32 v17, -v7, v16, v13
	v_fmac_f32_e32 v16, v17, v12
	v_fma_f32 v7, -v7, v16, v13
	v_div_fmas_f32 v7, v7, v12, v16
	v_div_fixup_f32 v3, v7, v11, v3
	v_min_f32_e32 v3, 0x43600000, v3
	v_max_f32_e32 v3, 0xc3600000, v3
	v_and_b32_e32 v7, 0x7fffffff, v3
	v_cmp_gt_u32_e32 vcc, s23, v7
	s_and_saveexec_b64 s[10:11], vcc
	s_cbranch_execz .LBB40_146
; %bb.141:                              ;   in Loop: Header=BB40_59 Depth=1
	v_cmp_lt_u32_e32 vcc, s24, v7
	s_mov_b64 s[16:17], 0
                                        ; implicit-def: $vgpr7
	s_and_saveexec_b64 s[18:19], vcc
	s_xor_b64 s[18:19], exec, s[18:19]
	s_cbranch_execnz .LBB40_182
; %bb.142:                              ;   in Loop: Header=BB40_59 Depth=1
	s_or_saveexec_b64 s[18:19], s[18:19]
                                        ; implicit-def: $sgpr29
	s_xor_b64 exec, exec, s[18:19]
	s_cbranch_execnz .LBB40_183
.LBB40_143:                             ;   in Loop: Header=BB40_59 Depth=1
	s_or_b64 exec, exec, s[18:19]
	v_mov_b32_e32 v2, s29
	s_and_saveexec_b64 s[18:19], s[16:17]
.LBB40_144:                             ;   in Loop: Header=BB40_59 Depth=1
	v_lshrrev_b32_e32 v2, 24, v3
	v_and_or_b32 v2, v2, s27, v7
.LBB40_145:                             ;   in Loop: Header=BB40_59 Depth=1
	s_or_b64 exec, exec, s[18:19]
.LBB40_146:                             ;   in Loop: Header=BB40_59 Depth=1
	s_or_b64 exec, exec, s[10:11]
	v_mul_f32_e32 v3, v36, v4
	v_mul_f32_e32 v3, v3, v8
	v_div_scale_f32 v4, s[10:11], v11, v11, v3
	v_rcp_f32_e32 v7, v4
	v_div_scale_f32 v8, vcc, v3, v11, v3
	v_fma_f32 v12, -v4, v7, 1.0
	v_fmac_f32_e32 v7, v12, v7
	v_mul_f32_e32 v12, v8, v7
	v_fma_f32 v13, -v4, v12, v8
	v_fmac_f32_e32 v12, v13, v7
	v_fma_f32 v4, -v4, v12, v8
	v_div_fmas_f32 v4, v4, v7, v12
	v_div_fixup_f32 v3, v4, v11, v3
	v_min_f32_e32 v3, 0x43600000, v3
	v_max_f32_e32 v7, 0xc3600000, v3
	v_and_b32_e32 v8, 0x7fffffff, v7
	v_cmp_gt_u32_e32 vcc, s23, v8
	v_mov_b32_e32 v3, 0x80
	v_mov_b32_e32 v4, 0x80
	s_and_saveexec_b64 s[10:11], vcc
	s_cbranch_execz .LBB40_152
; %bb.147:                              ;   in Loop: Header=BB40_59 Depth=1
	v_cmp_lt_u32_e32 vcc, s24, v8
	s_mov_b64 s[16:17], 0
                                        ; implicit-def: $vgpr8
	s_and_saveexec_b64 s[18:19], vcc
	s_xor_b64 s[18:19], exec, s[18:19]
	s_cbranch_execnz .LBB40_184
; %bb.148:                              ;   in Loop: Header=BB40_59 Depth=1
	s_or_saveexec_b64 s[18:19], s[18:19]
                                        ; implicit-def: $sgpr29
	s_xor_b64 exec, exec, s[18:19]
	s_cbranch_execnz .LBB40_185
.LBB40_149:                             ;   in Loop: Header=BB40_59 Depth=1
	s_or_b64 exec, exec, s[18:19]
	v_mov_b32_e32 v4, s29
	s_and_saveexec_b64 s[18:19], s[16:17]
.LBB40_150:                             ;   in Loop: Header=BB40_59 Depth=1
	v_lshrrev_b32_e32 v4, 24, v7
	v_and_or_b32 v4, v4, s27, v8
.LBB40_151:                             ;   in Loop: Header=BB40_59 Depth=1
	s_or_b64 exec, exec, s[18:19]
.LBB40_152:                             ;   in Loop: Header=BB40_59 Depth=1
	s_or_b64 exec, exec, s[10:11]
	v_mul_f32_e32 v5, v36, v5
	v_mul_f32_e32 v5, v5, v9
	v_div_scale_f32 v7, s[10:11], v11, v11, v5
	v_rcp_f32_e32 v8, v7
	v_div_scale_f32 v9, vcc, v5, v11, v5
	v_fma_f32 v12, -v7, v8, 1.0
	v_fmac_f32_e32 v8, v12, v8
	v_mul_f32_e32 v12, v9, v8
	v_fma_f32 v13, -v7, v12, v9
	v_fmac_f32_e32 v12, v13, v8
	v_fma_f32 v7, -v7, v12, v9
	v_div_fmas_f32 v7, v7, v8, v12
	v_div_fixup_f32 v5, v7, v11, v5
	v_min_f32_e32 v5, 0x43600000, v5
	v_max_f32_e32 v5, 0xc3600000, v5
	v_and_b32_e32 v7, 0x7fffffff, v5
	v_cmp_gt_u32_e32 vcc, s23, v7
	s_and_saveexec_b64 s[10:11], vcc
	s_cbranch_execz .LBB40_55
; %bb.153:                              ;   in Loop: Header=BB40_59 Depth=1
	v_cmp_lt_u32_e32 vcc, s24, v7
	s_mov_b64 s[16:17], 0
                                        ; implicit-def: $vgpr7
	s_and_saveexec_b64 s[18:19], vcc
	s_xor_b64 s[18:19], exec, s[18:19]
	s_cbranch_execnz .LBB40_186
; %bb.154:                              ;   in Loop: Header=BB40_59 Depth=1
	s_or_saveexec_b64 s[18:19], s[18:19]
                                        ; implicit-def: $sgpr29
	s_xor_b64 exec, exec, s[18:19]
	s_cbranch_execnz .LBB40_187
.LBB40_155:                             ;   in Loop: Header=BB40_59 Depth=1
	s_or_b64 exec, exec, s[18:19]
	v_mov_b32_e32 v3, s29
	s_and_saveexec_b64 s[18:19], s[16:17]
	s_cbranch_execz .LBB40_54
	s_branch .LBB40_188
.LBB40_156:                             ;   in Loop: Header=BB40_59 Depth=1
	v_bfe_u32 v6, v11, 20, 1
	v_add3_u32 v6, v11, v6, s25
	s_mov_b64 s[6:7], exec
	v_lshrrev_b32_e32 v12, 20, v6
	s_or_saveexec_b64 s[8:9], s[8:9]
                                        ; implicit-def: $sgpr10
	s_xor_b64 exec, exec, s[8:9]
	s_cbranch_execz .LBB40_62
.LBB40_157:                             ;   in Loop: Header=BB40_59 Depth=1
	v_add_f32_e64 v6, |v11|, s26
	v_and_b32_e32 v12, 0xff, v6
	v_cmp_ne_u32_e32 vcc, 0, v12
	s_andn2_b64 s[6:7], s[6:7], exec
	s_and_b64 s[16:17], vcc, exec
	s_mov_b32 s10, 0
	s_or_b64 s[6:7], s[6:7], s[16:17]
	s_or_b64 exec, exec, s[8:9]
	v_mov_b32_e32 v6, s10
	s_and_saveexec_b64 s[8:9], s[6:7]
	s_cbranch_execnz .LBB40_63
	s_branch .LBB40_64
.LBB40_158:                             ;   in Loop: Header=BB40_59 Depth=1
	v_bfe_u32 v2, v3, 20, 1
	v_add3_u32 v2, v3, v2, s25
	s_mov_b64 s[6:7], exec
	v_lshrrev_b32_e32 v7, 20, v2
	s_or_saveexec_b64 s[8:9], s[8:9]
                                        ; implicit-def: $sgpr10
	s_xor_b64 exec, exec, s[8:9]
	s_cbranch_execz .LBB40_68
.LBB40_159:                             ;   in Loop: Header=BB40_59 Depth=1
	v_add_f32_e64 v2, |v3|, s26
	v_and_b32_e32 v7, 0xff, v2
	v_cmp_ne_u32_e32 vcc, 0, v7
	s_andn2_b64 s[6:7], s[6:7], exec
	s_and_b64 s[16:17], vcc, exec
	s_mov_b32 s10, 0
	s_or_b64 s[6:7], s[6:7], s[16:17]
	s_or_b64 exec, exec, s[8:9]
	v_mov_b32_e32 v2, s10
	s_and_saveexec_b64 s[8:9], s[6:7]
	s_cbranch_execnz .LBB40_69
	s_branch .LBB40_70
.LBB40_160:                             ;   in Loop: Header=BB40_59 Depth=1
	v_bfe_u32 v4, v7, 20, 1
	v_add3_u32 v4, v7, v4, s25
	s_mov_b64 s[6:7], exec
	v_lshrrev_b32_e32 v8, 20, v4
	s_or_saveexec_b64 s[8:9], s[8:9]
                                        ; implicit-def: $sgpr10
	s_xor_b64 exec, exec, s[8:9]
	s_cbranch_execz .LBB40_74
.LBB40_161:                             ;   in Loop: Header=BB40_59 Depth=1
	v_add_f32_e64 v4, |v7|, s26
	v_and_b32_e32 v8, 0xff, v4
	v_cmp_ne_u32_e32 vcc, 0, v8
	s_andn2_b64 s[6:7], s[6:7], exec
	s_and_b64 s[16:17], vcc, exec
	s_mov_b32 s10, 0
	s_or_b64 s[6:7], s[6:7], s[16:17]
	s_or_b64 exec, exec, s[8:9]
	v_mov_b32_e32 v4, s10
	s_and_saveexec_b64 s[8:9], s[6:7]
	s_cbranch_execnz .LBB40_75
	s_branch .LBB40_76
.LBB40_162:                             ;   in Loop: Header=BB40_59 Depth=1
	v_bfe_u32 v3, v5, 20, 1
	v_add3_u32 v3, v5, v3, s25
	s_mov_b64 s[6:7], exec
	v_lshrrev_b32_e32 v7, 20, v3
	s_or_saveexec_b64 s[8:9], s[8:9]
                                        ; implicit-def: $sgpr10
	s_xor_b64 exec, exec, s[8:9]
	s_cbranch_execz .LBB40_80
.LBB40_163:                             ;   in Loop: Header=BB40_59 Depth=1
	v_add_f32_e64 v3, |v5|, s26
	v_and_b32_e32 v7, 0xff, v3
	v_cmp_ne_u32_e32 vcc, 0, v7
	s_andn2_b64 s[6:7], s[6:7], exec
	s_and_b64 s[16:17], vcc, exec
	s_mov_b32 s10, 0
	s_or_b64 s[6:7], s[6:7], s[16:17]
	s_or_b64 exec, exec, s[8:9]
	v_mov_b32_e32 v3, s10
	s_and_saveexec_b64 s[8:9], s[6:7]
	s_cbranch_execnz .LBB40_81
	s_branch .LBB40_82
.LBB40_164:                             ;   in Loop: Header=BB40_59 Depth=1
	v_bfe_u32 v6, v13, 20, 1
	v_add3_u32 v6, v13, v6, s25
	s_mov_b64 s[8:9], exec
	v_lshrrev_b32_e32 v16, 20, v6
	s_or_saveexec_b64 s[10:11], s[10:11]
                                        ; implicit-def: $sgpr16
	s_xor_b64 exec, exec, s[10:11]
	s_cbranch_execz .LBB40_87
.LBB40_165:                             ;   in Loop: Header=BB40_59 Depth=1
	v_add_f32_e64 v6, |v13|, s26
	v_and_b32_e32 v16, 0xff, v6
	v_cmp_ne_u32_e32 vcc, 0, v16
	s_andn2_b64 s[8:9], s[8:9], exec
	s_and_b64 s[18:19], vcc, exec
	s_mov_b32 s16, 0
	s_or_b64 s[8:9], s[8:9], s[18:19]
	s_or_b64 exec, exec, s[10:11]
	v_mov_b32_e32 v6, s16
	s_and_saveexec_b64 s[10:11], s[8:9]
	s_cbranch_execnz .LBB40_88
	s_branch .LBB40_89
.LBB40_166:                             ;   in Loop: Header=BB40_59 Depth=1
	v_bfe_u32 v2, v3, 20, 1
	v_add3_u32 v2, v3, v2, s25
	s_mov_b64 s[8:9], exec
	v_lshrrev_b32_e32 v7, 20, v2
	s_or_saveexec_b64 s[10:11], s[10:11]
                                        ; implicit-def: $sgpr16
	s_xor_b64 exec, exec, s[10:11]
	s_cbranch_execz .LBB40_93
.LBB40_167:                             ;   in Loop: Header=BB40_59 Depth=1
	v_add_f32_e64 v2, |v3|, s26
	v_and_b32_e32 v7, 0xff, v2
	v_cmp_ne_u32_e32 vcc, 0, v7
	s_andn2_b64 s[8:9], s[8:9], exec
	s_and_b64 s[18:19], vcc, exec
	s_mov_b32 s16, 0
	s_or_b64 s[8:9], s[8:9], s[18:19]
	s_or_b64 exec, exec, s[10:11]
	v_mov_b32_e32 v2, s16
	s_and_saveexec_b64 s[10:11], s[8:9]
	s_cbranch_execnz .LBB40_94
	s_branch .LBB40_95
.LBB40_168:                             ;   in Loop: Header=BB40_59 Depth=1
	v_bfe_u32 v4, v7, 20, 1
	v_add3_u32 v4, v7, v4, s25
	s_mov_b64 s[8:9], exec
	v_lshrrev_b32_e32 v8, 20, v4
	s_or_saveexec_b64 s[10:11], s[10:11]
                                        ; implicit-def: $sgpr16
	s_xor_b64 exec, exec, s[10:11]
	s_cbranch_execz .LBB40_99
.LBB40_169:                             ;   in Loop: Header=BB40_59 Depth=1
	v_add_f32_e64 v4, |v7|, s26
	v_and_b32_e32 v8, 0xff, v4
	v_cmp_ne_u32_e32 vcc, 0, v8
	s_andn2_b64 s[8:9], s[8:9], exec
	s_and_b64 s[18:19], vcc, exec
	s_mov_b32 s16, 0
	s_or_b64 s[8:9], s[8:9], s[18:19]
	s_or_b64 exec, exec, s[10:11]
	v_mov_b32_e32 v4, s16
	s_and_saveexec_b64 s[10:11], s[8:9]
	s_cbranch_execnz .LBB40_100
	s_branch .LBB40_101
.LBB40_170:                             ;   in Loop: Header=BB40_59 Depth=1
	v_bfe_u32 v3, v5, 20, 1
	v_add3_u32 v3, v5, v3, s25
	s_mov_b64 s[8:9], exec
	v_lshrrev_b32_e32 v7, 20, v3
	s_or_saveexec_b64 s[10:11], s[10:11]
                                        ; implicit-def: $sgpr16
	s_xor_b64 exec, exec, s[10:11]
	s_cbranch_execz .LBB40_105
.LBB40_171:                             ;   in Loop: Header=BB40_59 Depth=1
	v_add_f32_e64 v3, |v5|, s26
	v_and_b32_e32 v7, 0xff, v3
	v_cmp_ne_u32_e32 vcc, 0, v7
	s_andn2_b64 s[8:9], s[8:9], exec
	s_and_b64 s[18:19], vcc, exec
	s_mov_b32 s16, 0
	s_or_b64 s[8:9], s[8:9], s[18:19]
	s_or_b64 exec, exec, s[10:11]
	v_mov_b32_e32 v3, s16
	s_and_saveexec_b64 s[10:11], s[8:9]
	s_cbranch_execnz .LBB40_106
	s_branch .LBB40_107
.LBB40_172:                             ;   in Loop: Header=BB40_59 Depth=1
	v_bfe_u32 v6, v16, 20, 1
	v_add3_u32 v6, v16, v6, s25
	s_mov_b64 s[10:11], exec
	v_lshrrev_b32_e32 v17, 20, v6
	s_or_saveexec_b64 s[16:17], s[16:17]
                                        ; implicit-def: $sgpr18
	s_xor_b64 exec, exec, s[16:17]
	s_cbranch_execz .LBB40_112
.LBB40_173:                             ;   in Loop: Header=BB40_59 Depth=1
	v_add_f32_e64 v6, |v16|, s26
	v_and_b32_e32 v17, 0xff, v6
	v_cmp_ne_u32_e32 vcc, 0, v17
	s_andn2_b64 s[10:11], s[10:11], exec
	s_and_b64 s[30:31], vcc, exec
	s_mov_b32 s18, 0
	s_or_b64 s[10:11], s[10:11], s[30:31]
	s_or_b64 exec, exec, s[16:17]
	v_mov_b32_e32 v6, s18
	s_and_saveexec_b64 s[16:17], s[10:11]
	s_cbranch_execnz .LBB40_113
	s_branch .LBB40_114
.LBB40_174:                             ;   in Loop: Header=BB40_59 Depth=1
	v_bfe_u32 v2, v3, 20, 1
	v_add3_u32 v2, v3, v2, s25
	s_mov_b64 s[10:11], exec
	v_lshrrev_b32_e32 v7, 20, v2
	s_or_saveexec_b64 s[16:17], s[16:17]
                                        ; implicit-def: $sgpr18
	s_xor_b64 exec, exec, s[16:17]
	s_cbranch_execz .LBB40_118
.LBB40_175:                             ;   in Loop: Header=BB40_59 Depth=1
	v_add_f32_e64 v2, |v3|, s26
	v_and_b32_e32 v7, 0xff, v2
	v_cmp_ne_u32_e32 vcc, 0, v7
	s_andn2_b64 s[10:11], s[10:11], exec
	s_and_b64 s[30:31], vcc, exec
	s_mov_b32 s18, 0
	s_or_b64 s[10:11], s[10:11], s[30:31]
	s_or_b64 exec, exec, s[16:17]
	v_mov_b32_e32 v2, s18
	s_and_saveexec_b64 s[16:17], s[10:11]
	s_cbranch_execnz .LBB40_119
	s_branch .LBB40_120
.LBB40_176:                             ;   in Loop: Header=BB40_59 Depth=1
	v_bfe_u32 v4, v7, 20, 1
	v_add3_u32 v4, v7, v4, s25
	s_mov_b64 s[10:11], exec
	v_lshrrev_b32_e32 v8, 20, v4
	s_or_saveexec_b64 s[16:17], s[16:17]
                                        ; implicit-def: $sgpr18
	s_xor_b64 exec, exec, s[16:17]
	s_cbranch_execz .LBB40_124
.LBB40_177:                             ;   in Loop: Header=BB40_59 Depth=1
	v_add_f32_e64 v4, |v7|, s26
	v_and_b32_e32 v8, 0xff, v4
	v_cmp_ne_u32_e32 vcc, 0, v8
	s_andn2_b64 s[10:11], s[10:11], exec
	s_and_b64 s[30:31], vcc, exec
	s_mov_b32 s18, 0
	s_or_b64 s[10:11], s[10:11], s[30:31]
	s_or_b64 exec, exec, s[16:17]
	v_mov_b32_e32 v4, s18
	s_and_saveexec_b64 s[16:17], s[10:11]
	s_cbranch_execnz .LBB40_125
	s_branch .LBB40_126
.LBB40_178:                             ;   in Loop: Header=BB40_59 Depth=1
	v_bfe_u32 v3, v5, 20, 1
	v_add3_u32 v3, v5, v3, s25
	s_mov_b64 s[10:11], exec
	v_lshrrev_b32_e32 v7, 20, v3
	s_or_saveexec_b64 s[16:17], s[16:17]
                                        ; implicit-def: $sgpr18
	s_xor_b64 exec, exec, s[16:17]
	s_cbranch_execz .LBB40_130
.LBB40_179:                             ;   in Loop: Header=BB40_59 Depth=1
	v_add_f32_e64 v3, |v5|, s26
	v_and_b32_e32 v7, 0xff, v3
	v_cmp_ne_u32_e32 vcc, 0, v7
	s_andn2_b64 s[10:11], s[10:11], exec
	s_and_b64 s[30:31], vcc, exec
	s_mov_b32 s18, 0
	s_or_b64 s[10:11], s[10:11], s[30:31]
	s_or_b64 exec, exec, s[16:17]
	v_mov_b32_e32 v3, s18
	s_and_saveexec_b64 s[16:17], s[10:11]
	s_cbranch_execnz .LBB40_131
	s_branch .LBB40_132
.LBB40_180:                             ;   in Loop: Header=BB40_59 Depth=1
	v_bfe_u32 v6, v12, 20, 1
	v_add3_u32 v6, v12, v6, s25
	s_mov_b64 s[16:17], exec
	v_lshrrev_b32_e32 v13, 20, v6
	s_or_saveexec_b64 s[18:19], s[18:19]
                                        ; implicit-def: $sgpr29
	s_xor_b64 exec, exec, s[18:19]
	s_cbranch_execz .LBB40_137
.LBB40_181:                             ;   in Loop: Header=BB40_59 Depth=1
	v_add_f32_e64 v6, |v12|, s26
	v_and_b32_e32 v13, 0xff, v6
	v_cmp_ne_u32_e32 vcc, 0, v13
	s_andn2_b64 s[16:17], s[16:17], exec
	s_and_b64 s[30:31], vcc, exec
	s_mov_b32 s29, 0
	s_or_b64 s[16:17], s[16:17], s[30:31]
	s_or_b64 exec, exec, s[18:19]
	v_mov_b32_e32 v6, s29
	s_and_saveexec_b64 s[18:19], s[16:17]
	s_cbranch_execnz .LBB40_138
	s_branch .LBB40_139
.LBB40_182:                             ;   in Loop: Header=BB40_59 Depth=1
	v_bfe_u32 v2, v3, 20, 1
	v_add3_u32 v2, v3, v2, s25
	s_mov_b64 s[16:17], exec
	v_lshrrev_b32_e32 v7, 20, v2
	s_or_saveexec_b64 s[18:19], s[18:19]
                                        ; implicit-def: $sgpr29
	s_xor_b64 exec, exec, s[18:19]
	s_cbranch_execz .LBB40_143
.LBB40_183:                             ;   in Loop: Header=BB40_59 Depth=1
	v_add_f32_e64 v2, |v3|, s26
	v_and_b32_e32 v7, 0xff, v2
	v_cmp_ne_u32_e32 vcc, 0, v7
	s_andn2_b64 s[16:17], s[16:17], exec
	s_and_b64 s[30:31], vcc, exec
	s_mov_b32 s29, 0
	s_or_b64 s[16:17], s[16:17], s[30:31]
	s_or_b64 exec, exec, s[18:19]
	v_mov_b32_e32 v2, s29
	s_and_saveexec_b64 s[18:19], s[16:17]
	s_cbranch_execnz .LBB40_144
	s_branch .LBB40_145
.LBB40_184:                             ;   in Loop: Header=BB40_59 Depth=1
	v_bfe_u32 v4, v7, 20, 1
	v_add3_u32 v4, v7, v4, s25
	s_mov_b64 s[16:17], exec
	v_lshrrev_b32_e32 v8, 20, v4
	s_or_saveexec_b64 s[18:19], s[18:19]
                                        ; implicit-def: $sgpr29
	s_xor_b64 exec, exec, s[18:19]
	s_cbranch_execz .LBB40_149
.LBB40_185:                             ;   in Loop: Header=BB40_59 Depth=1
	v_add_f32_e64 v4, |v7|, s26
	v_and_b32_e32 v8, 0xff, v4
	v_cmp_ne_u32_e32 vcc, 0, v8
	s_andn2_b64 s[16:17], s[16:17], exec
	s_and_b64 s[30:31], vcc, exec
	s_mov_b32 s29, 0
	s_or_b64 s[16:17], s[16:17], s[30:31]
	s_or_b64 exec, exec, s[18:19]
	v_mov_b32_e32 v4, s29
	s_and_saveexec_b64 s[18:19], s[16:17]
	s_cbranch_execnz .LBB40_150
	s_branch .LBB40_151
.LBB40_186:                             ;   in Loop: Header=BB40_59 Depth=1
	v_bfe_u32 v3, v5, 20, 1
	v_add3_u32 v3, v5, v3, s25
	s_mov_b64 s[16:17], exec
	v_lshrrev_b32_e32 v7, 20, v3
	s_or_saveexec_b64 s[18:19], s[18:19]
                                        ; implicit-def: $sgpr29
	s_xor_b64 exec, exec, s[18:19]
	s_cbranch_execz .LBB40_155
.LBB40_187:                             ;   in Loop: Header=BB40_59 Depth=1
	v_add_f32_e64 v3, |v5|, s26
	v_and_b32_e32 v7, 0xff, v3
	v_cmp_ne_u32_e32 vcc, 0, v7
	s_andn2_b64 s[16:17], s[16:17], exec
	s_and_b64 s[30:31], vcc, exec
	s_mov_b32 s29, 0
	s_or_b64 s[16:17], s[16:17], s[30:31]
	s_or_b64 exec, exec, s[18:19]
	v_mov_b32_e32 v3, s29
	s_and_saveexec_b64 s[18:19], s[16:17]
	s_cbranch_execz .LBB40_54
.LBB40_188:                             ;   in Loop: Header=BB40_59 Depth=1
	v_lshrrev_b32_e32 v3, 24, v5
	v_and_or_b32 v3, v3, s27, v7
	s_branch .LBB40_54
.LBB40_189:
	s_endpgm
	.section	.rodata,"a",@progbits
	.p2align	6, 0x0
	.amdhsa_kernel _ZN4vllm31rms_norm_per_block_quant_kernelIfN3c1015Float8_e4m3fnuzELb0ELb0ELi64EEEvPT0_PfPKT_S8_PKffiiPS6_l
		.amdhsa_group_segment_fixed_size 4164
		.amdhsa_private_segment_fixed_size 0
		.amdhsa_kernarg_size 328
		.amdhsa_user_sgpr_count 6
		.amdhsa_user_sgpr_private_segment_buffer 1
		.amdhsa_user_sgpr_dispatch_ptr 0
		.amdhsa_user_sgpr_queue_ptr 0
		.amdhsa_user_sgpr_kernarg_segment_ptr 1
		.amdhsa_user_sgpr_dispatch_id 0
		.amdhsa_user_sgpr_flat_scratch_init 0
		.amdhsa_user_sgpr_kernarg_preload_length 0
		.amdhsa_user_sgpr_kernarg_preload_offset 0
		.amdhsa_user_sgpr_private_segment_size 0
		.amdhsa_uses_dynamic_stack 0
		.amdhsa_system_sgpr_private_segment_wavefront_offset 0
		.amdhsa_system_sgpr_workgroup_id_x 1
		.amdhsa_system_sgpr_workgroup_id_y 0
		.amdhsa_system_sgpr_workgroup_id_z 0
		.amdhsa_system_sgpr_workgroup_info 0
		.amdhsa_system_vgpr_workitem_id 0
		.amdhsa_next_free_vgpr 40
		.amdhsa_next_free_sgpr 46
		.amdhsa_accum_offset 40
		.amdhsa_reserve_vcc 1
		.amdhsa_reserve_flat_scratch 0
		.amdhsa_float_round_mode_32 0
		.amdhsa_float_round_mode_16_64 0
		.amdhsa_float_denorm_mode_32 3
		.amdhsa_float_denorm_mode_16_64 3
		.amdhsa_dx10_clamp 1
		.amdhsa_ieee_mode 1
		.amdhsa_fp16_overflow 0
		.amdhsa_tg_split 0
		.amdhsa_exception_fp_ieee_invalid_op 0
		.amdhsa_exception_fp_denorm_src 0
		.amdhsa_exception_fp_ieee_div_zero 0
		.amdhsa_exception_fp_ieee_overflow 0
		.amdhsa_exception_fp_ieee_underflow 0
		.amdhsa_exception_fp_ieee_inexact 0
		.amdhsa_exception_int_div_zero 0
	.end_amdhsa_kernel
	.section	.text._ZN4vllm31rms_norm_per_block_quant_kernelIfN3c1015Float8_e4m3fnuzELb0ELb0ELi64EEEvPT0_PfPKT_S8_PKffiiPS6_l,"axG",@progbits,_ZN4vllm31rms_norm_per_block_quant_kernelIfN3c1015Float8_e4m3fnuzELb0ELb0ELi64EEEvPT0_PfPKT_S8_PKffiiPS6_l,comdat
.Lfunc_end40:
	.size	_ZN4vllm31rms_norm_per_block_quant_kernelIfN3c1015Float8_e4m3fnuzELb0ELb0ELi64EEEvPT0_PfPKT_S8_PKffiiPS6_l, .Lfunc_end40-_ZN4vllm31rms_norm_per_block_quant_kernelIfN3c1015Float8_e4m3fnuzELb0ELb0ELi64EEEvPT0_PfPKT_S8_PKffiiPS6_l
                                        ; -- End function
	.section	.AMDGPU.csdata,"",@progbits
; Kernel info:
; codeLenInByte = 8936
; NumSgprs: 50
; NumVgprs: 40
; NumAgprs: 0
; TotalNumVgprs: 40
; ScratchSize: 0
; MemoryBound: 0
; FloatMode: 240
; IeeeMode: 1
; LDSByteSize: 4164 bytes/workgroup (compile time only)
; SGPRBlocks: 6
; VGPRBlocks: 4
; NumSGPRsForWavesPerEU: 50
; NumVGPRsForWavesPerEU: 40
; AccumOffset: 40
; Occupancy: 8
; WaveLimiterHint : 0
; COMPUTE_PGM_RSRC2:SCRATCH_EN: 0
; COMPUTE_PGM_RSRC2:USER_SGPR: 6
; COMPUTE_PGM_RSRC2:TRAP_HANDLER: 0
; COMPUTE_PGM_RSRC2:TGID_X_EN: 1
; COMPUTE_PGM_RSRC2:TGID_Y_EN: 0
; COMPUTE_PGM_RSRC2:TGID_Z_EN: 0
; COMPUTE_PGM_RSRC2:TIDIG_COMP_CNT: 0
; COMPUTE_PGM_RSRC3_GFX90A:ACCUM_OFFSET: 9
; COMPUTE_PGM_RSRC3_GFX90A:TG_SPLIT: 0
	.section	.text._ZN4vllm31rms_norm_per_block_quant_kernelIfaLb0ELb0ELi64EEEvPT0_PfPKT_S6_PKffiiPS4_l,"axG",@progbits,_ZN4vllm31rms_norm_per_block_quant_kernelIfaLb0ELb0ELi64EEEvPT0_PfPKT_S6_PKffiiPS4_l,comdat
	.protected	_ZN4vllm31rms_norm_per_block_quant_kernelIfaLb0ELb0ELi64EEEvPT0_PfPKT_S6_PKffiiPS4_l ; -- Begin function _ZN4vllm31rms_norm_per_block_quant_kernelIfaLb0ELb0ELi64EEEvPT0_PfPKT_S6_PKffiiPS4_l
	.globl	_ZN4vllm31rms_norm_per_block_quant_kernelIfaLb0ELb0ELi64EEEvPT0_PfPKT_S6_PKffiiPS4_l
	.p2align	8
	.type	_ZN4vllm31rms_norm_per_block_quant_kernelIfaLb0ELb0ELi64EEEvPT0_PfPKT_S6_PKffiiPS4_l,@function
_ZN4vllm31rms_norm_per_block_quant_kernelIfaLb0ELb0ELi64EEEvPT0_PfPKT_S6_PKffiiPS4_l: ; @_ZN4vllm31rms_norm_per_block_quant_kernelIfaLb0ELb0ELi64EEEvPT0_PfPKT_S6_PKffiiPS4_l
; %bb.0:
	s_load_dwordx4 s[16:19], s[4:5], 0x28
	s_load_dwordx8 s[8:15], s[4:5], 0x0
	v_mov_b32_e32 v1, 0
	s_waitcnt lgkmcnt(0)
	s_ashr_i32 s0, s18, 31
	s_mul_hi_u32 s1, s18, s6
	s_mul_i32 s0, s0, s6
	s_add_i32 s1, s1, s0
	s_mul_i32 s0, s18, s6
	s_lshl_b64 s[0:1], s[0:1], 2
	s_add_u32 s33, s12, s0
	s_addc_u32 s44, s13, s1
	s_ashr_i32 s12, s17, 2
	s_add_u32 s2, s4, 0x48
	s_mov_b32 s20, s17
	v_cmp_gt_u32_e64 s[0:1], s12, v0
	s_addc_u32 s3, s5, 0
	s_and_saveexec_b64 s[18:19], s[0:1]
	s_cbranch_execz .LBB41_10
; %bb.1:
	s_load_dword s7, s[2:3], 0x0
	v_mov_b32_e32 v3, 0
	v_mov_b32_e32 v9, s44
	;; [unrolled: 1-line block ×3, first 2 shown]
                                        ; implicit-def: $sgpr24_sgpr25
	s_waitcnt lgkmcnt(0)
	s_cmp_lt_u32 s6, s7
	s_cselect_b32 s7, 12, 18
	s_add_u32 s22, s2, s7
	s_addc_u32 s23, s3, 0
	global_load_ushort v8, v3, s[22:23]
	s_mov_b64 s[22:23], 0
	s_waitcnt vmcnt(0)
	v_add_u32_e32 v1, v8, v8
	v_mul_lo_u32 v10, v8, 3
	v_lshlrev_b32_e32 v11, 1, v8
	v_add_u32_e32 v12, v1, v8
	v_mov_b32_e32 v1, v3
	s_branch .LBB41_5
.LBB41_2:                               ;   in Loop: Header=BB41_5 Depth=1
	s_or_b64 exec, exec, s[30:31]
	s_orn2_b64 s[30:31], s[34:35], exec
.LBB41_3:                               ;   in Loop: Header=BB41_5 Depth=1
	s_or_b64 exec, exec, s[28:29]
	s_andn2_b64 s[24:25], s[24:25], exec
	s_and_b64 s[28:29], s[30:31], exec
	s_or_b64 s[24:25], s[24:25], s[28:29]
.LBB41_4:                               ;   in Loop: Header=BB41_5 Depth=1
	s_or_b64 exec, exec, s[26:27]
	s_and_b64 s[26:27], exec, s[24:25]
	s_or_b64 s[22:23], s[26:27], s[22:23]
	s_andn2_b64 exec, exec, s[22:23]
	s_cbranch_execz .LBB41_9
.LBB41_5:                               ; =>This Inner Loop Header: Depth=1
	v_lshlrev_b64 v[4:5], 4, v[2:3]
	v_add_co_u32_e32 v4, vcc, s33, v4
	v_addc_co_u32_e32 v5, vcc, v9, v5, vcc
	global_load_dwordx4 v[14:17], v[4:5], off
	v_add_u32_e32 v4, v2, v8
	v_cmp_gt_u32_e32 vcc, s12, v4
	s_or_b64 s[24:25], s[24:25], exec
	s_waitcnt vmcnt(0)
	v_fmac_f32_e32 v1, v14, v14
	v_fmac_f32_e32 v1, v15, v15
	;; [unrolled: 1-line block ×4, first 2 shown]
	s_and_saveexec_b64 s[26:27], vcc
	s_cbranch_execz .LBB41_4
; %bb.6:                                ;   in Loop: Header=BB41_5 Depth=1
	v_mov_b32_e32 v5, v3
	v_lshlrev_b64 v[6:7], 4, v[4:5]
	v_add_co_u32_e32 v6, vcc, s33, v6
	v_addc_co_u32_e32 v7, vcc, v9, v7, vcc
	global_load_dwordx4 v[14:17], v[6:7], off
	v_add_u32_e32 v6, v11, v2
	v_cmp_gt_u32_e32 vcc, s12, v6
	s_mov_b64 s[30:31], -1
	s_waitcnt vmcnt(0)
	v_fmac_f32_e32 v1, v14, v14
	v_fmac_f32_e32 v1, v15, v15
	;; [unrolled: 1-line block ×4, first 2 shown]
	s_and_saveexec_b64 s[28:29], vcc
	s_cbranch_execz .LBB41_3
; %bb.7:                                ;   in Loop: Header=BB41_5 Depth=1
	v_mov_b32_e32 v7, v3
	v_lshlrev_b64 v[6:7], 4, v[6:7]
	v_add_co_u32_e32 v6, vcc, s33, v6
	v_addc_co_u32_e32 v7, vcc, v9, v7, vcc
	global_load_dwordx4 v[14:17], v[6:7], off
	v_add_u32_e32 v2, v10, v2
	v_cmp_gt_u32_e32 vcc, s12, v2
	s_mov_b64 s[34:35], -1
	s_waitcnt vmcnt(0)
	v_fmac_f32_e32 v1, v14, v14
	v_fmac_f32_e32 v1, v15, v15
	;; [unrolled: 1-line block ×4, first 2 shown]
	s_and_saveexec_b64 s[30:31], vcc
	s_xor_b64 s[30:31], exec, s[30:31]
	s_cbranch_execz .LBB41_2
; %bb.8:                                ;   in Loop: Header=BB41_5 Depth=1
	v_lshlrev_b64 v[6:7], 4, v[2:3]
	v_add_co_u32_e32 v6, vcc, s33, v6
	v_addc_co_u32_e32 v7, vcc, v9, v7, vcc
	global_load_dwordx4 v[14:17], v[6:7], off
	v_add_u32_e32 v2, v12, v4
	v_cmp_le_u32_e32 vcc, s12, v2
	s_orn2_b64 s[34:35], vcc, exec
	s_waitcnt vmcnt(0)
	v_fmac_f32_e32 v1, v14, v14
	v_fmac_f32_e32 v1, v15, v15
	v_fmac_f32_e32 v1, v16, v16
	v_fmac_f32_e32 v1, v17, v17
	s_branch .LBB41_2
.LBB41_9:
	s_or_b64 exec, exec, s[22:23]
.LBB41_10:
	s_or_b64 exec, exec, s[18:19]
	v_mbcnt_lo_u32_b32 v2, -1, 0
	v_mbcnt_hi_u32_b32 v2, -1, v2
	v_and_b32_e32 v3, 63, v2
	v_cmp_ne_u32_e32 vcc, 63, v3
	s_load_dword s2, s[2:3], 0xc
	v_addc_co_u32_e32 v4, vcc, 0, v2, vcc
	v_lshlrev_b32_e32 v4, 2, v4
	ds_bpermute_b32 v4, v4, v1
	s_waitcnt lgkmcnt(0)
	s_and_b32 s45, s2, 0xffff
	v_and_b32_e32 v5, 0x3c0, v0
	v_sub_u32_e64 v5, s45, v5 clamp
	v_add_u32_e32 v6, 1, v2
	v_add_f32_e32 v4, v1, v4
	v_cmp_lt_u32_e32 vcc, v6, v5
	v_cndmask_b32_e32 v1, v1, v4, vcc
	v_cmp_gt_u32_e32 vcc, 62, v3
	v_cndmask_b32_e64 v4, 0, 1, vcc
	v_lshlrev_b32_e32 v4, 1, v4
	v_add_lshl_u32 v4, v4, v2, 2
	ds_bpermute_b32 v4, v4, v1
	v_add_u32_e32 v6, 2, v2
	v_cmp_lt_u32_e32 vcc, v6, v5
	v_add_u32_e32 v6, 4, v2
	s_waitcnt lgkmcnt(0)
	v_add_f32_e32 v4, v1, v4
	v_cndmask_b32_e32 v1, v1, v4, vcc
	v_cmp_gt_u32_e32 vcc, 60, v3
	v_cndmask_b32_e64 v4, 0, 1, vcc
	v_lshlrev_b32_e32 v4, 2, v4
	v_add_lshl_u32 v4, v4, v2, 2
	ds_bpermute_b32 v4, v4, v1
	v_cmp_lt_u32_e32 vcc, v6, v5
	v_add_u32_e32 v6, 8, v2
	s_waitcnt lgkmcnt(0)
	v_add_f32_e32 v4, v1, v4
	v_cndmask_b32_e32 v1, v1, v4, vcc
	v_cmp_gt_u32_e32 vcc, 56, v3
	v_cndmask_b32_e64 v4, 0, 1, vcc
	v_lshlrev_b32_e32 v4, 3, v4
	v_add_lshl_u32 v4, v4, v2, 2
	ds_bpermute_b32 v4, v4, v1
	;; [unrolled: 10-line block ×3, first 2 shown]
	v_cmp_lt_u32_e32 vcc, v6, v5
	s_waitcnt lgkmcnt(0)
	v_add_f32_e32 v4, v1, v4
	v_cndmask_b32_e32 v1, v1, v4, vcc
	v_cmp_gt_u32_e32 vcc, 32, v3
	v_cndmask_b32_e64 v3, 0, 1, vcc
	v_lshlrev_b32_e32 v3, 5, v3
	v_add_lshl_u32 v3, v3, v2, 2
	ds_bpermute_b32 v3, v3, v1
	v_add_u32_e32 v4, 32, v2
	v_cmp_lt_u32_e32 vcc, v4, v5
	s_waitcnt lgkmcnt(0)
	v_add_f32_e32 v3, v1, v3
	v_cndmask_b32_e32 v1, v1, v3, vcc
	v_cmp_eq_u32_e32 vcc, 0, v2
	s_and_saveexec_b64 s[2:3], vcc
	s_cbranch_execz .LBB41_12
; %bb.11:
	v_lshrrev_b32_e32 v3, 4, v0
	v_and_b32_e32 v3, 60, v3
	ds_write_b32 v3, v1 offset:4096
.LBB41_12:
	s_or_b64 exec, exec, s[2:3]
	v_cmp_gt_u32_e32 vcc, 16, v0
	s_waitcnt lgkmcnt(0)
	s_barrier
	s_and_saveexec_b64 s[18:19], vcc
	s_cbranch_execz .LBB41_14
; %bb.13:
	v_lshlrev_b32_e32 v1, 2, v2
	ds_read_b32 v1, v1 offset:4096
	v_and_b32_e32 v3, 15, v2
	v_cmp_ne_u32_e32 vcc, 15, v3
	v_addc_co_u32_e32 v4, vcc, 0, v2, vcc
	v_lshlrev_b32_e32 v4, 2, v4
	s_waitcnt lgkmcnt(0)
	ds_bpermute_b32 v4, v4, v1
	s_add_i32 s2, s45, 63
	s_lshr_b32 s7, s2, 6
	v_add_u32_e32 v5, 1, v3
	v_cmp_gt_u32_e64 s[2:3], 14, v3
	v_cmp_gt_u32_e32 vcc, s7, v5
	v_cndmask_b32_e64 v5, 0, 1, s[2:3]
	s_waitcnt lgkmcnt(0)
	v_add_f32_e32 v4, v1, v4
	v_lshlrev_b32_e32 v5, 1, v5
	v_cndmask_b32_e32 v4, v1, v4, vcc
	v_add_lshl_u32 v5, v5, v2, 2
	ds_bpermute_b32 v5, v5, v4
	v_add_u32_e32 v6, 2, v3
	v_cmp_gt_u32_e64 s[2:3], s7, v6
	v_add_u32_e32 v6, 4, v3
	s_waitcnt lgkmcnt(0)
	v_add_f32_e32 v5, v4, v5
	v_cndmask_b32_e64 v4, v4, v5, s[2:3]
	v_cmp_gt_u32_e64 s[2:3], 12, v3
	v_cndmask_b32_e64 v5, 0, 1, s[2:3]
	v_lshlrev_b32_e32 v5, 2, v5
	v_add_lshl_u32 v5, v5, v2, 2
	ds_bpermute_b32 v5, v5, v4
	v_cmp_gt_u32_e64 s[2:3], s7, v6
	s_waitcnt lgkmcnt(0)
	v_add_f32_e32 v5, v4, v5
	v_cndmask_b32_e64 v4, v4, v5, s[2:3]
	v_cmp_gt_u32_e64 s[2:3], 8, v3
	v_cndmask_b32_e64 v5, 0, 1, s[2:3]
	v_lshlrev_b32_e32 v5, 3, v5
	v_add_lshl_u32 v2, v5, v2, 2
	ds_bpermute_b32 v2, v2, v4
	v_add_u32_e32 v3, 8, v3
	v_cmp_gt_u32_e64 s[2:3], s7, v3
	s_waitcnt lgkmcnt(0)
	v_add_f32_e32 v2, v4, v2
	v_cndmask_b32_e64 v2, v4, v2, s[2:3]
	v_cndmask_b32_e32 v1, v1, v2, vcc
.LBB41_14:
	s_or_b64 exec, exec, s[18:19]
	v_cmp_eq_u32_e32 vcc, 0, v0
	s_and_saveexec_b64 s[2:3], vcc
	s_cbranch_execz .LBB41_16
; %bb.15:
	v_cvt_f32_i32_e32 v2, s17
	s_mov_b32 s7, 0x800000
	v_div_scale_f32 v3, s[18:19], v2, v2, v1
	v_rcp_f32_e32 v4, v3
	v_div_scale_f32 v5, vcc, v1, v2, v1
	v_fma_f32 v6, -v3, v4, 1.0
	v_fmac_f32_e32 v4, v6, v4
	v_mul_f32_e32 v6, v5, v4
	v_fma_f32 v7, -v3, v6, v5
	v_fmac_f32_e32 v6, v7, v4
	v_fma_f32 v3, -v3, v6, v5
	v_div_fmas_f32 v3, v3, v4, v6
	v_div_fixup_f32 v1, v3, v2, v1
	v_add_f32_e32 v1, s16, v1
	v_mul_f32_e32 v2, 0x4b800000, v1
	v_cmp_gt_f32_e32 vcc, s7, v1
	v_cndmask_b32_e32 v1, v1, v2, vcc
	v_rsq_f32_e32 v1, v1
	v_mul_f32_e32 v2, 0x45800000, v1
	v_cndmask_b32_e32 v1, v1, v2, vcc
	v_mov_b32_e32 v2, 0
	ds_write_b32 v2, v1 offset:4160
.LBB41_16:
	s_or_b64 exec, exec, s[2:3]
	s_ashr_i32 s21, s17, 31
	s_lshr_b32 s2, s21, 26
	s_add_i32 s2, s17, s2
	s_ashr_i32 s18, s2, 6
	s_abs_i32 s3, s18
	v_cvt_f32_u32_e32 v1, s3
	s_sub_i32 s7, 0, s3
	s_ashr_i32 s2, s2, 31
	v_mov_b32_e32 v7, 0
	v_rcp_iflag_f32_e32 v1, v1
	s_waitcnt lgkmcnt(0)
	s_barrier
	v_mul_f32_e32 v1, 0x4f7ffffe, v1
	v_cvt_u32_f32_e32 v1, v1
	ds_read_b32 v2, v7 offset:4160
	v_readfirstlane_b32 s13, v1
	s_mul_i32 s7, s7, s13
	s_mul_hi_u32 s7, s13, s7
	s_add_i32 s13, s13, s7
	s_mul_hi_u32 s7, s45, s13
	s_mul_i32 s13, s7, s3
	s_sub_i32 s13, s45, s13
	s_add_i32 s16, s7, 1
	s_sub_i32 s19, s13, s3
	s_cmp_ge_u32 s13, s3
	s_cselect_b32 s7, s16, s7
	s_cselect_b32 s13, s19, s13
	s_add_i32 s16, s7, 1
	s_cmp_ge_u32 s13, s3
	s_cselect_b32 s3, s16, s7
	s_xor_b32 s3, s3, s2
	s_sub_i32 s2, s3, s2
	s_abs_i32 s7, s2
	v_cvt_f32_u32_e32 v1, s7
	s_sub_i32 s13, 0, s7
	s_ashr_i32 s3, s2, 31
	v_rcp_iflag_f32_e32 v1, v1
	v_mul_f32_e32 v1, 0x4f7ffffe, v1
	v_cvt_u32_f32_e32 v1, v1
	v_mul_lo_u32 v3, s13, v1
	v_mul_hi_u32 v3, v1, v3
	v_add_u32_e32 v1, v1, v3
	v_mul_hi_u32 v1, v0, v1
	v_mul_lo_u32 v3, v1, s7
	v_sub_u32_e32 v3, v0, v3
	v_add_u32_e32 v4, 1, v1
	v_cmp_le_u32_e32 vcc, s7, v3
	v_cndmask_b32_e32 v1, v1, v4, vcc
	v_subrev_u32_e32 v4, s7, v3
	v_cndmask_b32_e32 v3, v3, v4, vcc
	v_add_u32_e32 v4, 1, v1
	v_cmp_le_u32_e32 vcc, s7, v3
	v_cndmask_b32_e32 v1, v1, v4, vcc
	v_xor_b32_e32 v1, s3, v1
	v_subrev_u32_e32 v4, s3, v1
	v_mul_lo_u32 v1, v4, s2
	v_ashrrev_i32_e32 v5, 31, v4
	v_sub_u32_e32 v6, v0, v1
	v_lshlrev_b64 v[10:11], 4, v[4:5]
	v_add_co_u32_e32 v8, vcc, v10, v6
	v_addc_co_u32_e32 v9, vcc, 0, v11, vcc
	v_add_co_u32_e32 v10, vcc, 16, v10
	v_addc_co_u32_e32 v11, vcc, 0, v11, vcc
	s_ashr_i32 s13, s12, 31
	v_mov_b32_e32 v1, s13
	v_cmp_gt_i64_e32 vcc, s[12:13], v[10:11]
	v_cndmask_b32_e32 v11, v1, v11, vcc
	v_mov_b32_e32 v1, s12
	v_cndmask_b32_e32 v10, v1, v10, vcc
	v_ashrrev_i32_e32 v13, 31, v10
	v_mov_b32_e32 v12, v10
	v_cmp_lt_i64_e32 vcc, v[8:9], v[12:13]
	s_and_saveexec_b64 s[22:23], vcc
	s_cbranch_execz .LBB41_26
; %bb.17:
	v_lshlrev_b64 v[14:15], 8, v[4:5]
	v_lshlrev_b64 v[16:17], 4, v[6:7]
	v_add_co_u32_e32 v14, vcc, v14, v16
	v_addc_co_u32_e32 v1, vcc, v15, v17, vcc
	s_lshl_b64 s[24:25], s[2:3], 6
	s_mul_hi_i32 s7, s2, 3
	s_mul_i32 s13, s2, 3
	s_lshl_b64 s[26:27], s[2:3], 1
	s_lshl_b64 s[30:31], s[2:3], 4
	s_mov_b64 s[28:29], 0
	v_mov_b32_e32 v7, 0
	v_mov_b32_e32 v3, s44
	;; [unrolled: 1-line block ×4, first 2 shown]
	v_pk_mov_b32 v[16:17], v[8:9], v[8:9] op_sel:[0,1]
                                        ; implicit-def: $sgpr34_sgpr35
	s_branch .LBB41_21
.LBB41_18:                              ;   in Loop: Header=BB41_21 Depth=1
	s_or_b64 exec, exec, s[40:41]
	s_orn2_b64 s[40:41], s[42:43], exec
.LBB41_19:                              ;   in Loop: Header=BB41_21 Depth=1
	s_or_b64 exec, exec, s[38:39]
	s_andn2_b64 s[34:35], s[34:35], exec
	s_and_b64 s[38:39], s[40:41], exec
	s_or_b64 s[34:35], s[34:35], s[38:39]
.LBB41_20:                              ;   in Loop: Header=BB41_21 Depth=1
	s_or_b64 exec, exec, s[36:37]
	s_and_b64 s[36:37], exec, s[34:35]
	s_or_b64 s[28:29], s[36:37], s[28:29]
	s_andn2_b64 exec, exec, s[28:29]
	s_cbranch_execz .LBB41_25
.LBB41_21:                              ; =>This Inner Loop Header: Depth=1
	v_add_co_u32_e32 v20, vcc, s33, v14
	v_addc_co_u32_e32 v21, vcc, v3, v1, vcc
	v_add_co_u32_e32 v22, vcc, s14, v14
	global_load_dwordx4 v[26:29], v[20:21], off
	v_addc_co_u32_e32 v23, vcc, v15, v1, vcc
	global_load_dwordx4 v[30:33], v[22:23], off
	v_add_co_u32_e32 v18, vcc, s2, v16
	v_addc_co_u32_e32 v19, vcc, v17, v24, vcc
	v_cmp_lt_i64_e32 vcc, v[18:19], v[12:13]
	s_or_b64 s[34:35], s[34:35], exec
	s_waitcnt vmcnt(1) lgkmcnt(0)
	v_mul_f32_e32 v25, v2, v26
	v_mul_f32_e32 v26, v2, v27
	;; [unrolled: 1-line block ×4, first 2 shown]
	s_waitcnt vmcnt(0)
	v_mul_f32_e32 v25, v25, v30
	v_mul_f32_e32 v26, v26, v31
	;; [unrolled: 1-line block ×4, first 2 shown]
	v_max3_f32 v7, v7, |v25|, |v26|
	v_max3_f32 v7, v7, |v27|, |v28|
	s_and_saveexec_b64 s[36:37], vcc
	s_cbranch_execz .LBB41_20
; %bb.22:                               ;   in Loop: Header=BB41_21 Depth=1
	v_mov_b32_e32 v25, s31
	v_add_co_u32_e32 v20, vcc, s30, v20
	v_addc_co_u32_e32 v21, vcc, v21, v25, vcc
	v_add_co_u32_e32 v22, vcc, s30, v22
	global_load_dwordx4 v[26:29], v[20:21], off
	v_addc_co_u32_e32 v23, vcc, v23, v25, vcc
	global_load_dwordx4 v[30:33], v[22:23], off
	v_mov_b32_e32 v25, s27
	v_add_co_u32_e32 v34, vcc, s26, v16
	v_addc_co_u32_e32 v35, vcc, v25, v17, vcc
	v_cmp_lt_i64_e32 vcc, v[34:35], v[12:13]
	s_mov_b64 s[40:41], -1
	s_waitcnt vmcnt(1)
	v_mul_f32_e32 v25, v2, v26
	v_mul_f32_e32 v26, v2, v27
	;; [unrolled: 1-line block ×4, first 2 shown]
	s_waitcnt vmcnt(0)
	v_mul_f32_e32 v25, v25, v30
	v_mul_f32_e32 v26, v26, v31
	;; [unrolled: 1-line block ×4, first 2 shown]
	v_max3_f32 v7, v7, |v25|, |v26|
	v_max3_f32 v7, v7, |v27|, |v28|
	s_and_saveexec_b64 s[38:39], vcc
	s_cbranch_execz .LBB41_19
; %bb.23:                               ;   in Loop: Header=BB41_21 Depth=1
	v_mov_b32_e32 v25, s31
	v_add_co_u32_e32 v20, vcc, s30, v20
	v_addc_co_u32_e32 v21, vcc, v21, v25, vcc
	v_add_co_u32_e32 v22, vcc, s30, v22
	global_load_dwordx4 v[26:29], v[20:21], off
	v_addc_co_u32_e32 v23, vcc, v23, v25, vcc
	global_load_dwordx4 v[30:33], v[22:23], off
	v_mov_b32_e32 v25, s7
	v_add_co_u32_e32 v16, vcc, s13, v16
	v_addc_co_u32_e32 v17, vcc, v25, v17, vcc
	v_cmp_lt_i64_e32 vcc, v[16:17], v[12:13]
	s_mov_b64 s[42:43], -1
	s_waitcnt vmcnt(1)
	v_mul_f32_e32 v16, v2, v26
	v_mul_f32_e32 v17, v2, v27
	;; [unrolled: 1-line block ×4, first 2 shown]
	s_waitcnt vmcnt(0)
	v_mul_f32_e32 v16, v16, v30
	v_mul_f32_e32 v17, v17, v31
	v_mul_f32_e32 v25, v25, v32
	v_mul_f32_e32 v26, v26, v33
	v_max3_f32 v7, v7, |v16|, |v17|
	v_max3_f32 v7, v7, |v25|, |v26|
                                        ; implicit-def: $vgpr16_vgpr17
	s_and_saveexec_b64 s[40:41], vcc
	s_xor_b64 s[40:41], exec, s[40:41]
	s_cbranch_execz .LBB41_18
; %bb.24:                               ;   in Loop: Header=BB41_21 Depth=1
	v_mov_b32_e32 v25, s31
	v_add_co_u32_e32 v16, vcc, s30, v20
	v_addc_co_u32_e32 v17, vcc, v21, v25, vcc
	global_load_dwordx4 v[26:29], v[16:17], off
	v_add_co_u32_e32 v16, vcc, s30, v22
	v_addc_co_u32_e32 v17, vcc, v23, v25, vcc
	global_load_dwordx4 v[20:23], v[16:17], off
	s_add_u32 s16, s2, s2
	s_addc_u32 s19, s3, s3
	v_mov_b32_e32 v16, s25
	v_add_co_u32_e32 v14, vcc, s24, v14
	s_add_u32 s16, s16, s2
	v_addc_co_u32_e32 v1, vcc, v1, v16, vcc
	s_addc_u32 s19, s19, s3
	v_mov_b32_e32 v17, s19
	v_add_co_u32_e32 v16, vcc, s16, v18
	v_addc_co_u32_e32 v17, vcc, v17, v19, vcc
	v_cmp_ge_i64_e32 vcc, v[16:17], v[12:13]
	s_orn2_b64 s[42:43], vcc, exec
	s_waitcnt vmcnt(1)
	v_mul_f32_e32 v18, v2, v26
	v_mul_f32_e32 v19, v2, v27
	;; [unrolled: 1-line block ×4, first 2 shown]
	s_waitcnt vmcnt(0)
	v_mul_f32_e32 v18, v18, v20
	v_mul_f32_e32 v19, v19, v21
	;; [unrolled: 1-line block ×4, first 2 shown]
	v_max3_f32 v7, v7, |v18|, |v19|
	v_max3_f32 v7, v7, |v20|, |v21|
	s_branch .LBB41_18
.LBB41_25:
	s_or_b64 exec, exec, s[28:29]
.LBB41_26:
	s_or_b64 exec, exec, s[22:23]
	s_lshr_b32 s7, s45, 6
	v_cvt_f32_u32_e32 v3, s7
	s_sub_i32 s22, 0, s7
	s_add_i32 s13, s18, s7
	s_add_i32 s13, s13, -1
	v_rcp_iflag_f32_e32 v3, v3
	s_ashr_i32 s16, s13, 31
	s_abs_i32 s13, s13
	s_ashr_i32 s19, s18, 31
	v_mul_f32_e32 v3, 0x4f7ffffe, v3
	v_cvt_u32_f32_e32 v3, v3
	v_lshlrev_b32_e32 v1, 2, v0
	ds_write_b32 v1, v7
	s_waitcnt lgkmcnt(0)
	v_readfirstlane_b32 s23, v3
	s_mul_i32 s22, s22, s23
	s_mul_hi_u32 s22, s23, s22
	s_add_i32 s23, s23, s22
	s_mul_hi_u32 s22, s13, s23
	s_mul_i32 s23, s22, s7
	s_sub_i32 s13, s13, s23
	s_add_i32 s23, s22, 1
	s_sub_i32 s24, s13, s7
	s_cmp_ge_u32 s13, s7
	s_cselect_b32 s22, s23, s22
	s_cselect_b32 s13, s24, s13
	s_add_i32 s23, s22, 1
	s_cmp_ge_u32 s13, s7
	s_cselect_b32 s13, s23, s22
	s_xor_b32 s13, s13, s16
	s_sub_i32 s22, s13, s16
	s_ashr_i32 s23, s22, 31
	v_cmp_lt_i64_e64 s[24:25], s[22:23], 1
	s_and_b64 vcc, exec, s[24:25]
	s_barrier
	s_cbranch_vccnz .LBB41_48
; %bb.27:
	v_and_b32_e32 v14, 63, v0
	v_add_co_u32_e32 v16, vcc, 32, v14
	v_addc_co_u32_e64 v17, s[24:25], 0, 0, vcc
	v_add_co_u32_e32 v18, vcc, 16, v14
	v_addc_co_u32_e64 v19, s[24:25], 0, 0, vcc
	v_add_co_u32_e32 v20, vcc, 8, v14
	v_lshrrev_b32_e32 v12, 6, v0
	v_addc_co_u32_e64 v21, s[24:25], 0, 0, vcc
	v_add_co_u32_e32 v22, vcc, 4, v14
	v_addc_co_u32_e64 v23, s[24:25], 0, 0, vcc
	v_add_co_u32_e32 v24, vcc, 2, v14
	v_mul_lo_u32 v3, s2, v12
	v_addc_co_u32_e64 v25, s[24:25], 0, 0, vcc
	v_add_co_u32_e32 v26, vcc, 1, v14
	v_lshlrev_b32_e32 v3, 2, v3
	v_lshlrev_b32_e32 v7, 2, v14
	s_movk_i32 s13, 0x100
	v_mov_b32_e32 v13, 0
	v_addc_co_u32_e64 v27, s[24:25], 0, 0, vcc
	v_add3_u32 v3, v3, v7, s13
	s_mul_i32 s13, s2, s7
	v_mov_b32_e32 v15, v13
	s_lshl_b32 s13, s13, 2
	s_mov_b64 s[24:25], 0
	v_mov_b32_e32 v7, s7
	s_mov_b64 s[26:27], src_shared_base
	s_branch .LBB41_30
.LBB41_28:                              ;   in Loop: Header=BB41_30 Depth=1
	s_or_b64 exec, exec, s[30:31]
	v_mov_b32_e32 v29, s27
	flat_load_dword v28, v[28:29] glc
	s_waitcnt vmcnt(0)
.LBB41_29:                              ;   in Loop: Header=BB41_30 Depth=1
	s_or_b64 exec, exec, s[28:29]
	s_add_u32 s24, s24, 1
	s_addc_u32 s25, s25, 0
	s_cmp_eq_u64 s[24:25], s[22:23]
	v_add_u32_e32 v3, s13, v3
	s_cbranch_scc1 .LBB41_48
.LBB41_30:                              ; =>This Loop Header: Depth=1
                                        ;     Child Loop BB41_33 Depth 2
	v_mad_u64_u32 v[32:33], s[28:29], s24, v7, v[12:13]
	s_mul_i32 s16, s25, s7
	v_add_u32_e32 v33, s16, v33
	v_cmp_gt_i64_e32 vcc, s[18:19], v[32:33]
	s_and_saveexec_b64 s[28:29], vcc
	s_cbranch_execz .LBB41_29
; %bb.31:                               ;   in Loop: Header=BB41_30 Depth=1
	v_pk_mov_b32 v[34:35], s[2:3], s[2:3] op_sel:[0,1]
	v_mul_lo_u32 v31, v33, s2
	v_mul_lo_u32 v38, v32, s3
	v_mad_u64_u32 v[34:35], s[30:31], v32, s2, v[34:35]
	v_add3_u32 v35, v31, v35, v38
	v_mov_b32_e32 v30, s21
	v_cmp_gt_i64_e32 vcc, s[20:21], v[34:35]
	s_waitcnt lgkmcnt(0)
	v_mad_u64_u32 v[28:29], s[30:31], v32, s2, v[14:15]
	v_cndmask_b32_e32 v35, v30, v35, vcc
	v_mov_b32_e32 v30, s17
	v_add3_u32 v29, v31, v29, v38
	v_cndmask_b32_e32 v34, v30, v34, vcc
	v_add_co_u32_e32 v36, vcc, 64, v28
	v_addc_co_u32_e32 v37, vcc, 0, v29, vcc
	v_cmp_lt_i64_e32 vcc, v[36:37], v[34:35]
	v_lshlrev_b32_e32 v30, 2, v28
	s_and_saveexec_b64 s[30:31], vcc
	s_cbranch_execz .LBB41_34
; %bb.32:                               ;   in Loop: Header=BB41_30 Depth=1
	ds_read_b32 v33, v30
	s_mov_b64 s[34:35], 0
	v_mov_b32_e32 v29, v3
.LBB41_33:                              ;   Parent Loop BB41_30 Depth=1
                                        ; =>  This Inner Loop Header: Depth=2
	ds_read_b32 v39, v29
	v_add_co_u32_e32 v36, vcc, 64, v36
	v_addc_co_u32_e32 v37, vcc, 0, v37, vcc
	s_waitcnt lgkmcnt(1)
	v_max_f32_e32 v33, v33, v33
	v_cmp_ge_i64_e32 vcc, v[36:37], v[34:35]
	s_waitcnt lgkmcnt(0)
	v_max_f32_e32 v39, v39, v39
	v_add_u32_e32 v29, 0x100, v29
	s_or_b64 s[34:35], vcc, s[34:35]
	v_max_f32_e32 v33, v33, v39
	ds_write_b32 v30, v33
	s_andn2_b64 exec, exec, s[34:35]
	s_cbranch_execnz .LBB41_33
.LBB41_34:                              ;   in Loop: Header=BB41_30 Depth=1
	s_or_b64 exec, exec, s[30:31]
	v_mad_u64_u32 v[32:33], s[30:31], v32, s2, 0
	v_add3_u32 v29, v33, v38, v31
	v_sub_co_u32_e32 v32, vcc, v34, v32
	v_subb_co_u32_e32 v33, vcc, v35, v29, vcc
	v_cmp_gt_i64_e32 vcc, 64, v[32:33]
	v_cndmask_b32_e32 v33, 0, v33, vcc
	v_cndmask_b32_e32 v32, 64, v32, vcc
	v_cmp_lt_i64_e32 vcc, v[16:17], v[32:33]
	s_and_saveexec_b64 s[30:31], vcc
	s_cbranch_execnz .LBB41_46
; %bb.35:                               ;   in Loop: Header=BB41_30 Depth=1
	s_or_b64 exec, exec, s[30:31]
	v_cmp_lt_i64_e32 vcc, v[18:19], v[32:33]
	s_and_saveexec_b64 s[30:31], vcc
	s_cbranch_execnz .LBB41_47
.LBB41_36:                              ;   in Loop: Header=BB41_30 Depth=1
	s_or_b64 exec, exec, s[30:31]
	v_cmp_lt_i64_e32 vcc, v[20:21], v[32:33]
	s_and_saveexec_b64 s[30:31], vcc
	s_cbranch_execz .LBB41_38
.LBB41_37:                              ;   in Loop: Header=BB41_30 Depth=1
	v_mov_b32_e32 v31, s27
	v_add_u32_e32 v34, 32, v30
	v_mov_b32_e32 v35, s27
	flat_load_dword v29, v[30:31] glc
	s_waitcnt vmcnt(0)
	flat_load_dword v36, v[34:35] glc
	s_waitcnt vmcnt(0) lgkmcnt(0)
	v_max_f32_e32 v29, v29, v29
	v_max_f32_e32 v34, v36, v36
	;; [unrolled: 1-line block ×3, first 2 shown]
	flat_store_dword v[30:31], v29
	s_waitcnt vmcnt(0)
.LBB41_38:                              ;   in Loop: Header=BB41_30 Depth=1
	s_or_b64 exec, exec, s[30:31]
	v_cmp_ge_i64_e32 vcc, v[22:23], v[32:33]
	s_and_saveexec_b64 s[30:31], vcc
	s_xor_b64 s[30:31], exec, s[30:31]
; %bb.39:                               ;   in Loop: Header=BB41_30 Depth=1
                                        ; implicit-def: $vgpr30
; %bb.40:                               ;   in Loop: Header=BB41_30 Depth=1
	s_andn2_saveexec_b64 s[30:31], s[30:31]
	s_cbranch_execz .LBB41_42
; %bb.41:                               ;   in Loop: Header=BB41_30 Depth=1
	v_mov_b32_e32 v31, s27
	v_add_u32_e32 v34, 16, v30
	v_mov_b32_e32 v35, s27
	flat_load_dword v29, v[30:31] glc
	s_waitcnt vmcnt(0)
	flat_load_dword v36, v[34:35] glc
	s_waitcnt vmcnt(0) lgkmcnt(0)
	v_max_f32_e32 v29, v29, v29
	v_max_f32_e32 v34, v36, v36
	v_max_f32_e32 v29, v29, v34
	flat_store_dword v[30:31], v29
	s_waitcnt vmcnt(0)
.LBB41_42:                              ;   in Loop: Header=BB41_30 Depth=1
	s_or_b64 exec, exec, s[30:31]
	v_cmp_lt_i64_e32 vcc, v[24:25], v[32:33]
	v_lshlrev_b32_e32 v28, 2, v28
	s_and_saveexec_b64 s[30:31], vcc
	s_cbranch_execz .LBB41_44
; %bb.43:                               ;   in Loop: Header=BB41_30 Depth=1
	v_mov_b32_e32 v29, s27
	v_add_u32_e32 v30, 8, v28
	v_mov_b32_e32 v31, s27
	flat_load_dword v34, v[28:29] glc
	s_waitcnt vmcnt(0)
	flat_load_dword v35, v[30:31] glc
	s_waitcnt vmcnt(0) lgkmcnt(0)
	v_max_f32_e32 v30, v34, v34
	v_max_f32_e32 v31, v35, v35
	;; [unrolled: 1-line block ×3, first 2 shown]
	flat_store_dword v[28:29], v30
	s_waitcnt vmcnt(0)
.LBB41_44:                              ;   in Loop: Header=BB41_30 Depth=1
	s_or_b64 exec, exec, s[30:31]
	v_cmp_lt_i64_e32 vcc, v[26:27], v[32:33]
	s_and_saveexec_b64 s[30:31], vcc
	s_cbranch_execz .LBB41_28
; %bb.45:                               ;   in Loop: Header=BB41_30 Depth=1
	v_mov_b32_e32 v29, s27
	v_add_u32_e32 v30, 4, v28
	v_mov_b32_e32 v31, s27
	flat_load_dword v32, v[28:29] glc
	s_waitcnt vmcnt(0)
	flat_load_dword v33, v[30:31] glc
	s_waitcnt vmcnt(0) lgkmcnt(0)
	v_max_f32_e32 v30, v32, v32
	v_max_f32_e32 v31, v33, v33
	;; [unrolled: 1-line block ×3, first 2 shown]
	flat_store_dword v[28:29], v30
	s_waitcnt vmcnt(0)
	s_branch .LBB41_28
.LBB41_46:                              ;   in Loop: Header=BB41_30 Depth=1
	v_mov_b32_e32 v31, s27
	v_add_u32_e32 v34, 0x80, v30
	v_mov_b32_e32 v35, s27
	flat_load_dword v29, v[30:31] glc
	s_waitcnt vmcnt(0)
	flat_load_dword v36, v[34:35] glc
	s_waitcnt vmcnt(0) lgkmcnt(0)
	v_max_f32_e32 v29, v29, v29
	v_max_f32_e32 v34, v36, v36
	;; [unrolled: 1-line block ×3, first 2 shown]
	flat_store_dword v[30:31], v29
	s_waitcnt vmcnt(0)
	s_or_b64 exec, exec, s[30:31]
	v_cmp_lt_i64_e32 vcc, v[18:19], v[32:33]
	s_and_saveexec_b64 s[30:31], vcc
	s_cbranch_execz .LBB41_36
.LBB41_47:                              ;   in Loop: Header=BB41_30 Depth=1
	v_mov_b32_e32 v31, s27
	v_add_u32_e32 v34, 64, v30
	v_mov_b32_e32 v35, s27
	flat_load_dword v29, v[30:31] glc
	s_waitcnt vmcnt(0)
	flat_load_dword v36, v[34:35] glc
	s_waitcnt vmcnt(0) lgkmcnt(0)
	v_max_f32_e32 v29, v29, v29
	v_max_f32_e32 v34, v36, v36
	;; [unrolled: 1-line block ×3, first 2 shown]
	flat_store_dword v[30:31], v29
	s_waitcnt vmcnt(0)
	s_or_b64 exec, exec, s[30:31]
	v_cmp_lt_i64_e32 vcc, v[20:21], v[32:33]
	s_and_saveexec_b64 s[30:31], vcc
	s_cbranch_execnz .LBB41_37
	s_branch .LBB41_38
.LBB41_48:
	v_cmp_eq_u32_e32 vcc, 0, v6
	v_cmp_lt_i64_e64 s[2:3], v[8:9], v[10:11]
	s_and_b64 s[22:23], vcc, s[2:3]
	s_mul_i32 s7, s19, s6
	s_mul_hi_u32 s16, s18, s6
	s_mul_i32 s2, s18, s6
	s_waitcnt lgkmcnt(0)
	s_barrier
	s_and_saveexec_b64 s[18:19], s[22:23]
	s_cbranch_execz .LBB41_52
; %bb.49:
	s_load_dwordx2 s[4:5], s[4:5], 0x20
	ds_read_b32 v1, v1
	s_waitcnt lgkmcnt(0)
	s_cmp_eq_u64 s[4:5], 0
	s_cbranch_scc1 .LBB41_51
; %bb.50:
	s_load_dword s3, s[4:5], 0x0
	v_max_f32_e32 v1, v1, v1
	s_waitcnt lgkmcnt(0)
	v_max_f32_e64 v3, s3, s3
	v_min_f32_e32 v1, v1, v3
.LBB41_51:
	s_mov_b32 s3, 0x42fe0000
	v_div_scale_f32 v3, s[4:5], s3, s3, v1
	v_rcp_f32_e32 v6, v3
	v_div_scale_f32 v7, vcc, v1, s3, v1
	v_lshlrev_b64 v[4:5], 2, v[4:5]
	v_fma_f32 v8, -v3, v6, 1.0
	v_fmac_f32_e32 v6, v8, v6
	v_mul_f32_e32 v8, v7, v6
	v_fma_f32 v9, -v3, v8, v7
	v_fmac_f32_e32 v8, v9, v6
	v_fma_f32 v3, -v3, v8, v7
	v_div_fmas_f32 v3, v3, v6, v8
	v_div_fixup_f32 v1, v3, s3, v1
	s_add_i32 s3, s16, s7
	s_lshl_b64 s[4:5], s[2:3], 2
	s_add_u32 s3, s10, s4
	s_addc_u32 s4, s11, s5
	v_mov_b32_e32 v3, s4
	v_add_co_u32_e32 v4, vcc, s3, v4
	v_max_f32_e32 v1, 0x34000000, v1
	v_addc_co_u32_e32 v5, vcc, v3, v5, vcc
	global_store_dword v[4:5], v1, off
.LBB41_52:
	s_or_b64 exec, exec, s[18:19]
	s_barrier
	s_and_saveexec_b64 s[4:5], s[0:1]
	s_cbranch_execz .LBB41_61
; %bb.53:
	s_mul_i32 s0, s21, s6
	s_mul_hi_u32 s1, s17, s6
	s_add_i32 s1, s1, s0
	s_mul_i32 s0, s17, s6
	s_add_u32 s13, s8, s0
	s_addc_u32 s20, s9, s1
	s_add_i32 s3, s16, s7
	s_lshl_b64 s[0:1], s[2:3], 2
	s_add_u32 s2, s10, s0
	s_addc_u32 s3, s11, s1
	s_add_i32 s25, s45, s45
	v_mov_b32_e32 v3, v2
	s_mul_i32 s21, s45, 3
	s_lshl_b32 s22, s45, 1
	s_mov_b64 s[4:5], 0
	v_mov_b32_e32 v1, 0
	v_mov_b32_e32 v8, s44
	;; [unrolled: 1-line block ×3, first 2 shown]
	s_mov_b32 s23, 0x42fe0000
	v_mov_b32_e32 v10, 0x42fe0000
	s_mov_b32 s24, 0xc3000000
	v_mov_b32_e32 v11, 0xc3000000
	v_mov_b32_e32 v12, s20
	s_add_i32 s25, s25, s45
	v_mov_b32_e32 v13, 8
                                        ; implicit-def: $sgpr6_sgpr7
	s_branch .LBB41_57
.LBB41_54:                              ;   in Loop: Header=BB41_57 Depth=1
	s_or_b64 exec, exec, s[16:17]
	s_orn2_b64 s[16:17], s[18:19], exec
.LBB41_55:                              ;   in Loop: Header=BB41_57 Depth=1
	s_or_b64 exec, exec, s[10:11]
	s_andn2_b64 s[0:1], s[6:7], exec
	s_and_b64 s[6:7], s[16:17], exec
	s_or_b64 s[6:7], s[0:1], s[6:7]
.LBB41_56:                              ;   in Loop: Header=BB41_57 Depth=1
	s_or_b64 exec, exec, s[8:9]
	s_and_b64 s[0:1], exec, s[6:7]
	s_or_b64 s[4:5], s[0:1], s[4:5]
	s_andn2_b64 exec, exec, s[4:5]
	s_cbranch_execz .LBB41_61
.LBB41_57:                              ; =>This Inner Loop Header: Depth=1
	v_lshrrev_b32_e32 v6, 2, v0
	v_lshlrev_b64 v[4:5], 4, v[0:1]
	v_and_b32_e32 v6, 0xffffffc, v6
	global_load_dword v22, v6, s[2:3]
	v_add_co_u32_e32 v6, vcc, s33, v4
	v_addc_co_u32_e32 v7, vcc, v8, v5, vcc
	global_load_dwordx4 v[14:17], v[6:7], off
	v_add_co_u32_e32 v4, vcc, s14, v4
	v_addc_co_u32_e32 v5, vcc, v9, v5, vcc
	global_load_dwordx4 v[18:21], v[4:5], off
	v_lshlrev_b64 v[6:7], 2, v[0:1]
	v_add_co_u32_e32 v6, vcc, s13, v6
	v_addc_co_u32_e32 v7, vcc, v12, v7, vcc
	v_add_u32_e32 v4, s45, v0
	v_cmp_gt_u32_e64 s[0:1], s12, v4
	s_or_b64 s[6:7], s[6:7], exec
	s_waitcnt vmcnt(2)
	v_div_scale_f32 v5, s[8:9], v22, v22, 1.0
	v_div_scale_f32 v23, vcc, 1.0, v22, 1.0
	s_waitcnt vmcnt(1)
	v_mul_f32_e32 v24, v2, v14
	v_mul_f32_e32 v25, v2, v15
	v_pk_mul_f32 v[14:15], v[2:3], v[16:17]
	v_rcp_f32_e32 v16, v5
	s_waitcnt vmcnt(0)
	v_mul_f32_e32 v17, v24, v18
	v_mul_f32_e32 v18, v25, v19
	v_fma_f32 v19, -v5, v16, 1.0
	v_fmac_f32_e32 v16, v19, v16
	v_mul_f32_e32 v19, v23, v16
	v_pk_mul_f32 v[14:15], v[14:15], v[20:21]
	v_fma_f32 v20, -v5, v19, v23
	v_fmac_f32_e32 v19, v20, v16
	v_fma_f32 v5, -v5, v19, v23
	v_div_fmas_f32 v5, v5, v16, v19
	v_div_fixup_f32 v16, v5, v22, 1.0
	v_mul_f32_e32 v5, v17, v16
	v_mul_f32_e32 v17, v18, v16
	v_rndne_f32_e32 v5, v5
	v_pk_mul_f32 v[14:15], v[14:15], v[16:17] op_sel_hi:[1,0]
	v_rndne_f32_e32 v16, v17
	v_cmp_nlt_f32_e32 vcc, s23, v5
	v_rndne_f32_e32 v15, v15
	v_cndmask_b32_e32 v17, v10, v5, vcc
	v_cmp_nlt_f32_e32 vcc, s23, v16
	v_rndne_f32_e32 v14, v14
	v_cndmask_b32_e32 v18, v10, v16, vcc
	v_cmp_nlt_f32_e32 vcc, s23, v15
	v_cndmask_b32_e32 v19, v10, v15, vcc
	v_cmp_nlt_f32_e32 vcc, s23, v14
	v_cndmask_b32_e32 v20, v10, v14, vcc
	v_cmp_ngt_f32_e32 vcc, s24, v5
	v_cndmask_b32_e32 v5, v11, v17, vcc
	v_cmp_ngt_f32_e32 vcc, s24, v16
	;; [unrolled: 2-line block ×4, first 2 shown]
	v_cvt_i32_f32_e32 v14, v14
	v_cndmask_b32_e32 v15, v11, v19, vcc
	v_cvt_i32_f32_e32 v16, v16
	v_cvt_i32_f32_e32 v5, v5
	;; [unrolled: 1-line block ×3, first 2 shown]
	v_and_b32_e32 v14, 0xff, v14
	v_lshlrev_b32_e32 v14, 16, v14
	v_lshlrev_b32_sdwa v16, v13, v16 dst_sel:DWORD dst_unused:UNUSED_PAD src0_sel:DWORD src1_sel:BYTE_0
	v_and_b32_e32 v5, 0xff, v5
	v_lshl_or_b32 v14, v15, 24, v14
	v_or3_b32 v5, v14, v16, v5
	global_store_dword v[6:7], v5, off
	s_and_saveexec_b64 s[8:9], s[0:1]
	s_cbranch_execz .LBB41_56
; %bb.58:                               ;   in Loop: Header=BB41_57 Depth=1
	v_lshrrev_b32_e32 v14, 2, v4
	v_and_b32_e32 v14, 0xffffffc, v14
	global_load_dword v24, v14, s[2:3]
	v_mov_b32_e32 v5, v1
	v_lshlrev_b64 v[6:7], 4, v[4:5]
	v_add_co_u32_e32 v14, vcc, s33, v6
	v_addc_co_u32_e32 v15, vcc, v8, v7, vcc
	global_load_dwordx4 v[14:17], v[14:15], off
	v_add_co_u32_e32 v6, vcc, s14, v6
	v_addc_co_u32_e32 v7, vcc, v9, v7, vcc
	global_load_dwordx4 v[18:21], v[6:7], off
	v_lshlrev_b64 v[22:23], 2, v[4:5]
	v_add_co_u32_e32 v22, vcc, s13, v22
	v_addc_co_u32_e32 v23, vcc, v12, v23, vcc
	v_add_u32_e32 v6, s22, v0
	v_cmp_gt_u32_e64 s[0:1], s12, v6
	s_mov_b64 s[16:17], -1
	s_waitcnt vmcnt(2)
	v_div_scale_f32 v5, s[10:11], v24, v24, 1.0
	v_rcp_f32_e32 v25, v5
	v_div_scale_f32 v7, vcc, 1.0, v24, 1.0
	s_waitcnt vmcnt(1)
	v_mul_f32_e32 v26, v2, v14
	v_mul_f32_e32 v27, v2, v15
	v_pk_mul_f32 v[14:15], v[2:3], v[16:17]
	v_fma_f32 v16, -v5, v25, 1.0
	v_fmac_f32_e32 v25, v16, v25
	v_mul_f32_e32 v16, v7, v25
	s_waitcnt vmcnt(0)
	v_mul_f32_e32 v17, v26, v18
	v_mul_f32_e32 v18, v27, v19
	v_fma_f32 v19, -v5, v16, v7
	v_fmac_f32_e32 v16, v19, v25
	v_fma_f32 v5, -v5, v16, v7
	v_div_fmas_f32 v5, v5, v25, v16
	v_div_fixup_f32 v16, v5, v24, 1.0
	v_mul_f32_e32 v5, v17, v16
	v_pk_mul_f32 v[14:15], v[14:15], v[20:21]
	v_mul_f32_e32 v7, v18, v16
	v_rndne_f32_e32 v5, v5
	v_pk_mul_f32 v[14:15], v[14:15], v[16:17] op_sel_hi:[1,0]
	v_rndne_f32_e32 v7, v7
	v_cmp_nlt_f32_e32 vcc, s23, v5
	v_rndne_f32_e32 v15, v15
	v_cndmask_b32_e32 v16, v10, v5, vcc
	v_cmp_nlt_f32_e32 vcc, s23, v7
	v_rndne_f32_e32 v14, v14
	v_cndmask_b32_e32 v17, v10, v7, vcc
	v_cmp_nlt_f32_e32 vcc, s23, v15
	v_cndmask_b32_e32 v18, v10, v15, vcc
	v_cmp_nlt_f32_e32 vcc, s23, v14
	v_cndmask_b32_e32 v19, v10, v14, vcc
	v_cmp_ngt_f32_e32 vcc, s24, v5
	v_cndmask_b32_e32 v5, v11, v16, vcc
	v_cmp_ngt_f32_e32 vcc, s24, v7
	;; [unrolled: 2-line block ×4, first 2 shown]
	v_cvt_i32_f32_e32 v14, v14
	v_cndmask_b32_e32 v15, v11, v18, vcc
	v_cvt_i32_f32_e32 v7, v7
	v_cvt_i32_f32_e32 v5, v5
	;; [unrolled: 1-line block ×3, first 2 shown]
	v_and_b32_e32 v14, 0xff, v14
	v_lshlrev_b32_e32 v14, 16, v14
	v_lshlrev_b32_sdwa v7, v13, v7 dst_sel:DWORD dst_unused:UNUSED_PAD src0_sel:DWORD src1_sel:BYTE_0
	v_and_b32_e32 v5, 0xff, v5
	v_lshl_or_b32 v14, v15, 24, v14
	v_or3_b32 v5, v14, v7, v5
	global_store_dword v[22:23], v5, off
	s_and_saveexec_b64 s[10:11], s[0:1]
	s_cbranch_execz .LBB41_55
; %bb.59:                               ;   in Loop: Header=BB41_57 Depth=1
	v_mov_b32_e32 v7, v1
	v_lshlrev_b64 v[18:19], 4, v[6:7]
	v_mov_b32_e32 v5, s44
	v_add_co_u32_e32 v20, vcc, s33, v18
	v_addc_co_u32_e32 v21, vcc, v5, v19, vcc
	v_lshrrev_b32_e32 v5, 2, v6
	v_and_b32_e32 v5, 0xffffffc, v5
	global_load_dword v22, v5, s[2:3]
	global_load_dwordx4 v[14:17], v[20:21], off
	v_mov_b32_e32 v5, s15
	v_add_co_u32_e32 v18, vcc, s14, v18
	v_addc_co_u32_e32 v19, vcc, v5, v19, vcc
	global_load_dwordx4 v[18:21], v[18:19], off
	v_lshlrev_b64 v[6:7], 2, v[6:7]
	v_mov_b32_e32 v5, s20
	v_add_co_u32_e32 v6, vcc, s13, v6
	v_addc_co_u32_e32 v7, vcc, v5, v7, vcc
	v_add_u32_e32 v0, s21, v0
	v_cmp_gt_u32_e64 s[0:1], s12, v0
	s_mov_b64 s[18:19], -1
	s_waitcnt vmcnt(2)
	v_div_scale_f32 v5, s[16:17], v22, v22, 1.0
	v_rcp_f32_e32 v24, v5
	s_waitcnt vmcnt(1)
	v_mul_f32_e32 v25, v2, v14
	v_mul_f32_e32 v26, v2, v15
	v_pk_mul_f32 v[14:15], v[2:3], v[16:17]
	v_fma_f32 v16, -v5, v24, 1.0
	v_div_scale_f32 v23, vcc, 1.0, v22, 1.0
	v_fmac_f32_e32 v24, v16, v24
	v_mul_f32_e32 v16, v23, v24
	s_waitcnt vmcnt(0)
	v_mul_f32_e32 v17, v25, v18
	v_mul_f32_e32 v18, v26, v19
	v_fma_f32 v19, -v5, v16, v23
	v_fmac_f32_e32 v16, v19, v24
	v_fma_f32 v5, -v5, v16, v23
	v_div_fmas_f32 v5, v5, v24, v16
	v_div_fixup_f32 v16, v5, v22, 1.0
	v_mul_f32_e32 v5, v17, v16
	v_pk_mul_f32 v[14:15], v[14:15], v[20:21]
	v_mul_f32_e32 v17, v18, v16
	v_rndne_f32_e32 v5, v5
	v_pk_mul_f32 v[14:15], v[14:15], v[16:17] op_sel_hi:[1,0]
	v_rndne_f32_e32 v16, v17
	v_cmp_nlt_f32_e32 vcc, s23, v5
	v_rndne_f32_e32 v15, v15
	v_cndmask_b32_e32 v17, v10, v5, vcc
	v_cmp_nlt_f32_e32 vcc, s23, v16
	v_rndne_f32_e32 v14, v14
	v_cndmask_b32_e32 v18, v10, v16, vcc
	v_cmp_nlt_f32_e32 vcc, s23, v15
	v_cndmask_b32_e32 v19, v10, v15, vcc
	v_cmp_nlt_f32_e32 vcc, s23, v14
	v_cndmask_b32_e32 v20, v10, v14, vcc
	v_cmp_ngt_f32_e32 vcc, s24, v5
	v_cndmask_b32_e32 v5, v11, v17, vcc
	v_cmp_ngt_f32_e32 vcc, s24, v16
	v_cndmask_b32_e32 v16, v11, v18, vcc
	v_cmp_ngt_f32_e32 vcc, s24, v14
	v_cndmask_b32_e32 v14, v11, v20, vcc
	v_cmp_ngt_f32_e32 vcc, s24, v15
	v_cvt_i32_f32_e32 v14, v14
	v_cndmask_b32_e32 v15, v11, v19, vcc
	v_cvt_i32_f32_e32 v16, v16
	v_cvt_i32_f32_e32 v5, v5
	v_cvt_i32_f32_e32 v15, v15
	v_and_b32_e32 v14, 0xff, v14
	v_lshlrev_b32_e32 v14, 16, v14
	v_lshlrev_b32_sdwa v16, v13, v16 dst_sel:DWORD dst_unused:UNUSED_PAD src0_sel:DWORD src1_sel:BYTE_0
	v_and_b32_e32 v5, 0xff, v5
	v_lshl_or_b32 v14, v15, 24, v14
	v_or3_b32 v5, v14, v16, v5
	global_store_dword v[6:7], v5, off
	s_and_saveexec_b64 s[16:17], s[0:1]
	s_cbranch_execz .LBB41_54
; %bb.60:                               ;   in Loop: Header=BB41_57 Depth=1
	v_lshlrev_b64 v[6:7], 4, v[0:1]
	v_mov_b32_e32 v5, s44
	v_add_co_u32_e32 v18, vcc, s33, v6
	v_addc_co_u32_e32 v19, vcc, v5, v7, vcc
	v_lshrrev_b32_e32 v5, 2, v0
	v_and_b32_e32 v5, 0xffffffc, v5
	global_load_dword v22, v5, s[2:3]
	global_load_dwordx4 v[14:17], v[18:19], off
	v_mov_b32_e32 v5, s15
	v_add_co_u32_e32 v6, vcc, s14, v6
	v_addc_co_u32_e32 v7, vcc, v5, v7, vcc
	global_load_dwordx4 v[18:21], v[6:7], off
	v_lshlrev_b64 v[6:7], 2, v[0:1]
	v_mov_b32_e32 v5, s20
	v_add_u32_e32 v0, s25, v4
	v_add_co_u32_e32 v4, vcc, s13, v6
	v_addc_co_u32_e32 v5, vcc, v5, v7, vcc
	v_cmp_le_u32_e64 s[0:1], s12, v0
	s_waitcnt vmcnt(2)
	v_div_scale_f32 v23, s[18:19], v22, v22, 1.0
	s_waitcnt vmcnt(1)
	v_pk_mul_f32 v[6:7], v[2:3], v[16:17]
	v_rcp_f32_e32 v16, v23
	v_mul_f32_e32 v14, v2, v14
	v_div_scale_f32 v24, vcc, 1.0, v22, 1.0
	s_waitcnt vmcnt(0)
	v_mul_f32_e32 v17, v14, v18
	v_fma_f32 v14, -v23, v16, 1.0
	v_fmac_f32_e32 v16, v14, v16
	v_mul_f32_e32 v14, v24, v16
	v_fma_f32 v18, -v23, v14, v24
	v_fmac_f32_e32 v14, v18, v16
	v_fma_f32 v18, -v23, v14, v24
	v_mul_f32_e32 v15, v2, v15
	v_div_fmas_f32 v14, v18, v16, v14
	v_mul_f32_e32 v15, v15, v19
	v_div_fixup_f32 v14, v14, v22, 1.0
	v_pk_mul_f32 v[6:7], v[6:7], v[20:21]
	v_mul_f32_e32 v16, v17, v14
	v_mul_f32_e32 v15, v15, v14
	v_pk_mul_f32 v[6:7], v[6:7], v[14:15] op_sel_hi:[1,0]
	v_rndne_f32_e32 v14, v16
	v_rndne_f32_e32 v15, v15
	v_cmp_nlt_f32_e32 vcc, s23, v14
	v_rndne_f32_e32 v7, v7
	v_cndmask_b32_e32 v16, v10, v14, vcc
	v_cmp_nlt_f32_e32 vcc, s23, v15
	v_rndne_f32_e32 v6, v6
	v_cndmask_b32_e32 v17, v10, v15, vcc
	v_cmp_nlt_f32_e32 vcc, s23, v7
	v_cndmask_b32_e32 v18, v10, v7, vcc
	v_cmp_nlt_f32_e32 vcc, s23, v6
	v_cndmask_b32_e32 v19, v10, v6, vcc
	v_cmp_ngt_f32_e32 vcc, s24, v14
	v_cndmask_b32_e32 v14, v11, v16, vcc
	v_cmp_ngt_f32_e32 vcc, s24, v15
	;; [unrolled: 2-line block ×4, first 2 shown]
	v_cvt_i32_f32_e32 v6, v6
	v_cndmask_b32_e32 v7, v11, v18, vcc
	v_cvt_i32_f32_e32 v15, v15
	v_cvt_i32_f32_e32 v14, v14
	;; [unrolled: 1-line block ×3, first 2 shown]
	v_and_b32_e32 v6, 0xff, v6
	v_lshlrev_b32_e32 v6, 16, v6
	v_lshlrev_b32_sdwa v15, v13, v15 dst_sel:DWORD dst_unused:UNUSED_PAD src0_sel:DWORD src1_sel:BYTE_0
	v_and_b32_e32 v14, 0xff, v14
	v_lshl_or_b32 v6, v7, 24, v6
	v_or3_b32 v6, v6, v15, v14
	s_orn2_b64 s[18:19], s[0:1], exec
	global_store_dword v[4:5], v6, off
	s_branch .LBB41_54
.LBB41_61:
	s_endpgm
	.section	.rodata,"a",@progbits
	.p2align	6, 0x0
	.amdhsa_kernel _ZN4vllm31rms_norm_per_block_quant_kernelIfaLb0ELb0ELi64EEEvPT0_PfPKT_S6_PKffiiPS4_l
		.amdhsa_group_segment_fixed_size 4164
		.amdhsa_private_segment_fixed_size 0
		.amdhsa_kernarg_size 328
		.amdhsa_user_sgpr_count 6
		.amdhsa_user_sgpr_private_segment_buffer 1
		.amdhsa_user_sgpr_dispatch_ptr 0
		.amdhsa_user_sgpr_queue_ptr 0
		.amdhsa_user_sgpr_kernarg_segment_ptr 1
		.amdhsa_user_sgpr_dispatch_id 0
		.amdhsa_user_sgpr_flat_scratch_init 0
		.amdhsa_user_sgpr_kernarg_preload_length 0
		.amdhsa_user_sgpr_kernarg_preload_offset 0
		.amdhsa_user_sgpr_private_segment_size 0
		.amdhsa_uses_dynamic_stack 0
		.amdhsa_system_sgpr_private_segment_wavefront_offset 0
		.amdhsa_system_sgpr_workgroup_id_x 1
		.amdhsa_system_sgpr_workgroup_id_y 0
		.amdhsa_system_sgpr_workgroup_id_z 0
		.amdhsa_system_sgpr_workgroup_info 0
		.amdhsa_system_vgpr_workitem_id 0
		.amdhsa_next_free_vgpr 40
		.amdhsa_next_free_sgpr 46
		.amdhsa_accum_offset 40
		.amdhsa_reserve_vcc 1
		.amdhsa_reserve_flat_scratch 0
		.amdhsa_float_round_mode_32 0
		.amdhsa_float_round_mode_16_64 0
		.amdhsa_float_denorm_mode_32 3
		.amdhsa_float_denorm_mode_16_64 3
		.amdhsa_dx10_clamp 1
		.amdhsa_ieee_mode 1
		.amdhsa_fp16_overflow 0
		.amdhsa_tg_split 0
		.amdhsa_exception_fp_ieee_invalid_op 0
		.amdhsa_exception_fp_denorm_src 0
		.amdhsa_exception_fp_ieee_div_zero 0
		.amdhsa_exception_fp_ieee_overflow 0
		.amdhsa_exception_fp_ieee_underflow 0
		.amdhsa_exception_fp_ieee_inexact 0
		.amdhsa_exception_int_div_zero 0
	.end_amdhsa_kernel
	.section	.text._ZN4vllm31rms_norm_per_block_quant_kernelIfaLb0ELb0ELi64EEEvPT0_PfPKT_S6_PKffiiPS4_l,"axG",@progbits,_ZN4vllm31rms_norm_per_block_quant_kernelIfaLb0ELb0ELi64EEEvPT0_PfPKT_S6_PKffiiPS4_l,comdat
.Lfunc_end41:
	.size	_ZN4vllm31rms_norm_per_block_quant_kernelIfaLb0ELb0ELi64EEEvPT0_PfPKT_S6_PKffiiPS4_l, .Lfunc_end41-_ZN4vllm31rms_norm_per_block_quant_kernelIfaLb0ELb0ELi64EEEvPT0_PfPKT_S6_PKffiiPS4_l
                                        ; -- End function
	.section	.AMDGPU.csdata,"",@progbits
; Kernel info:
; codeLenInByte = 5340
; NumSgprs: 50
; NumVgprs: 40
; NumAgprs: 0
; TotalNumVgprs: 40
; ScratchSize: 0
; MemoryBound: 0
; FloatMode: 240
; IeeeMode: 1
; LDSByteSize: 4164 bytes/workgroup (compile time only)
; SGPRBlocks: 6
; VGPRBlocks: 4
; NumSGPRsForWavesPerEU: 50
; NumVGPRsForWavesPerEU: 40
; AccumOffset: 40
; Occupancy: 8
; WaveLimiterHint : 0
; COMPUTE_PGM_RSRC2:SCRATCH_EN: 0
; COMPUTE_PGM_RSRC2:USER_SGPR: 6
; COMPUTE_PGM_RSRC2:TRAP_HANDLER: 0
; COMPUTE_PGM_RSRC2:TGID_X_EN: 1
; COMPUTE_PGM_RSRC2:TGID_Y_EN: 0
; COMPUTE_PGM_RSRC2:TGID_Z_EN: 0
; COMPUTE_PGM_RSRC2:TIDIG_COMP_CNT: 0
; COMPUTE_PGM_RSRC3_GFX90A:ACCUM_OFFSET: 9
; COMPUTE_PGM_RSRC3_GFX90A:TG_SPLIT: 0
	.section	.text._ZN4vllm31rms_norm_per_block_quant_kernelIN3c104HalfENS1_13Float8_e4m3fnELb1ELb1ELi128EEEvPT0_PfPKT_S9_PKffiiPS7_l,"axG",@progbits,_ZN4vllm31rms_norm_per_block_quant_kernelIN3c104HalfENS1_13Float8_e4m3fnELb1ELb1ELi128EEEvPT0_PfPKT_S9_PKffiiPS7_l,comdat
	.protected	_ZN4vllm31rms_norm_per_block_quant_kernelIN3c104HalfENS1_13Float8_e4m3fnELb1ELb1ELi128EEEvPT0_PfPKT_S9_PKffiiPS7_l ; -- Begin function _ZN4vllm31rms_norm_per_block_quant_kernelIN3c104HalfENS1_13Float8_e4m3fnELb1ELb1ELi128EEEvPT0_PfPKT_S9_PKffiiPS7_l
	.globl	_ZN4vllm31rms_norm_per_block_quant_kernelIN3c104HalfENS1_13Float8_e4m3fnELb1ELb1ELi128EEEvPT0_PfPKT_S9_PKffiiPS7_l
	.p2align	8
	.type	_ZN4vllm31rms_norm_per_block_quant_kernelIN3c104HalfENS1_13Float8_e4m3fnELb1ELb1ELi128EEEvPT0_PfPKT_S9_PKffiiPS7_l,@function
_ZN4vllm31rms_norm_per_block_quant_kernelIN3c104HalfENS1_13Float8_e4m3fnELb1ELb1ELi128EEEvPT0_PfPKT_S9_PKffiiPS7_l: ; @_ZN4vllm31rms_norm_per_block_quant_kernelIN3c104HalfENS1_13Float8_e4m3fnELb1ELb1ELi128EEEvPT0_PfPKT_S9_PKffiiPS7_l
; %bb.0:
	s_load_dwordx4 s[16:19], s[4:5], 0x28
	s_load_dwordx8 s[8:15], s[4:5], 0x0
	s_load_dwordx2 s[0:1], s[4:5], 0x38
	s_load_dword s48, s[4:5], 0x48
	s_mov_b32 s7, 0
	s_waitcnt lgkmcnt(0)
	s_ashr_i32 s2, s18, 31
	s_mul_hi_u32 s3, s18, s6
	s_mul_i32 s2, s2, s6
	s_ashr_i32 s21, s17, 31
	s_add_i32 s3, s3, s2
	s_mul_i32 s2, s18, s6
	s_mul_hi_u32 s18, s17, s6
	s_mul_i32 s19, s21, s6
	s_add_i32 s19, s18, s19
	s_lshl_b64 s[2:3], s[2:3], 1
	s_mul_i32 s18, s17, s6
	s_add_u32 s33, s12, s2
	s_addc_u32 s44, s13, s3
	s_lshl_b64 s[2:3], s[18:19], 1
	s_add_u32 s45, s0, s2
	s_addc_u32 s46, s1, s3
	s_ashr_i32 s12, s17, 2
	s_add_u32 s22, s4, 0x48
	s_mov_b32 s20, s17
	v_cmp_gt_u32_e64 s[0:1], s12, v0
	s_addc_u32 s23, s5, 0
	v_mov_b32_e32 v1, 0
	s_and_saveexec_b64 s[2:3], s[0:1]
	s_cbranch_execz .LBB42_10
; %bb.1:
	s_cmp_lt_u32 s6, s48
	s_cselect_b32 s13, 12, 18
	s_add_u32 s24, s22, s13
	s_addc_u32 s25, s23, 0
	v_mov_b32_e32 v3, 0
	global_load_ushort v8, v3, s[24:25]
	s_mov_b64 s[24:25], 0
	v_mov_b32_e32 v9, s44
	v_mov_b32_e32 v10, s46
	;; [unrolled: 1-line block ×4, first 2 shown]
                                        ; implicit-def: $sgpr26_sgpr27
	s_waitcnt vmcnt(0)
	v_mul_lo_u32 v11, v8, 3
	v_lshlrev_b32_e32 v12, 1, v8
	s_branch .LBB42_5
.LBB42_2:                               ;   in Loop: Header=BB42_5 Depth=1
	s_or_b64 exec, exec, s[34:35]
	s_orn2_b64 s[34:35], s[36:37], exec
.LBB42_3:                               ;   in Loop: Header=BB42_5 Depth=1
	s_or_b64 exec, exec, s[30:31]
	s_andn2_b64 s[26:27], s[26:27], exec
	s_and_b64 s[30:31], s[34:35], exec
	s_or_b64 s[26:27], s[26:27], s[30:31]
.LBB42_4:                               ;   in Loop: Header=BB42_5 Depth=1
	s_or_b64 exec, exec, s[28:29]
	s_and_b64 s[28:29], exec, s[26:27]
	s_or_b64 s[24:25], s[28:29], s[24:25]
	s_andn2_b64 exec, exec, s[24:25]
	s_cbranch_execz .LBB42_9
.LBB42_5:                               ; =>This Inner Loop Header: Depth=1
	v_lshlrev_b64 v[4:5], 3, v[2:3]
	v_add_co_u32_e32 v6, vcc, s33, v4
	v_addc_co_u32_e32 v7, vcc, v9, v5, vcc
	v_add_co_u32_e32 v4, vcc, s45, v4
	v_addc_co_u32_e32 v5, vcc, v10, v5, vcc
	global_load_dwordx2 v[6:7], v[6:7], off
	s_or_b64 s[26:27], s[26:27], exec
	global_load_dwordx2 v[4:5], v[4:5], off
	s_waitcnt vmcnt(1)
	v_cvt_f32_f16_e32 v14, v6
	v_cvt_f32_f16_sdwa v15, v6 dst_sel:DWORD dst_unused:UNUSED_PAD src0_sel:WORD_1
	s_waitcnt vmcnt(0)
	v_cvt_f32_f16_e32 v16, v4
	v_cvt_f32_f16_sdwa v17, v4 dst_sel:DWORD dst_unused:UNUSED_PAD src0_sel:WORD_1
	v_cvt_f32_f16_e32 v6, v7
	v_cvt_f32_f16_sdwa v7, v7 dst_sel:DWORD dst_unused:UNUSED_PAD src0_sel:WORD_1
	;; [unrolled: 2-line block ×3, first 2 shown]
	v_pk_add_f32 v[14:15], v[14:15], v[16:17]
	v_pk_mul_f32 v[14:15], v[14:15], v[14:15]
	v_add_f32_e32 v1, v1, v14
	v_pk_add_f32 v[6:7], v[6:7], v[18:19]
	v_pk_mul_f32 v[6:7], v[6:7], v[6:7]
	v_add_f32_e32 v1, v1, v15
	v_add_u32_e32 v4, v2, v8
	v_add_f32_e32 v1, v1, v6
	v_cmp_gt_u32_e32 vcc, s12, v4
	v_add_f32_e32 v1, v1, v7
	s_and_saveexec_b64 s[28:29], vcc
	s_cbranch_execz .LBB42_4
; %bb.6:                                ;   in Loop: Header=BB42_5 Depth=1
	v_mov_b32_e32 v5, v3
	v_lshlrev_b64 v[6:7], 3, v[4:5]
	v_add_co_u32_e32 v14, vcc, s33, v6
	v_addc_co_u32_e32 v15, vcc, v9, v7, vcc
	v_add_co_u32_e32 v6, vcc, s45, v6
	v_addc_co_u32_e32 v7, vcc, v10, v7, vcc
	global_load_dwordx2 v[14:15], v[14:15], off
	s_mov_b64 s[34:35], -1
	global_load_dwordx2 v[6:7], v[6:7], off
	s_waitcnt vmcnt(1)
	v_cvt_f32_f16_e32 v16, v14
	v_cvt_f32_f16_sdwa v17, v14 dst_sel:DWORD dst_unused:UNUSED_PAD src0_sel:WORD_1
	s_waitcnt vmcnt(0)
	v_cvt_f32_f16_e32 v18, v6
	v_cvt_f32_f16_sdwa v19, v6 dst_sel:DWORD dst_unused:UNUSED_PAD src0_sel:WORD_1
	v_cvt_f32_f16_e32 v14, v15
	v_cvt_f32_f16_sdwa v15, v15 dst_sel:DWORD dst_unused:UNUSED_PAD src0_sel:WORD_1
	;; [unrolled: 2-line block ×3, first 2 shown]
	v_pk_add_f32 v[16:17], v[16:17], v[18:19]
	v_pk_mul_f32 v[16:17], v[16:17], v[16:17]
	v_add_f32_e32 v1, v1, v16
	v_pk_add_f32 v[14:15], v[14:15], v[20:21]
	v_pk_mul_f32 v[14:15], v[14:15], v[14:15]
	v_add_f32_e32 v1, v1, v17
	v_add_u32_e32 v6, v12, v2
	v_add_f32_e32 v1, v1, v14
	v_cmp_gt_u32_e32 vcc, s12, v6
	v_add_f32_e32 v1, v1, v15
	s_and_saveexec_b64 s[30:31], vcc
	s_cbranch_execz .LBB42_3
; %bb.7:                                ;   in Loop: Header=BB42_5 Depth=1
	v_mov_b32_e32 v7, v3
	v_lshlrev_b64 v[6:7], 3, v[6:7]
	v_mov_b32_e32 v5, s44
	v_add_co_u32_e32 v14, vcc, s33, v6
	v_addc_co_u32_e32 v15, vcc, v5, v7, vcc
	v_mov_b32_e32 v5, s46
	v_add_co_u32_e32 v6, vcc, s45, v6
	v_addc_co_u32_e32 v7, vcc, v5, v7, vcc
	global_load_dwordx2 v[14:15], v[14:15], off
	v_add_u32_e32 v2, v11, v2
	global_load_dwordx2 v[6:7], v[6:7], off
	v_cmp_gt_u32_e32 vcc, s12, v2
	s_mov_b64 s[36:37], -1
	s_waitcnt vmcnt(1)
	v_cvt_f32_f16_e32 v16, v14
	v_cvt_f32_f16_sdwa v17, v14 dst_sel:DWORD dst_unused:UNUSED_PAD src0_sel:WORD_1
	s_waitcnt vmcnt(0)
	v_cvt_f32_f16_e32 v18, v6
	v_cvt_f32_f16_sdwa v19, v6 dst_sel:DWORD dst_unused:UNUSED_PAD src0_sel:WORD_1
	v_cvt_f32_f16_e32 v14, v15
	v_cvt_f32_f16_sdwa v15, v15 dst_sel:DWORD dst_unused:UNUSED_PAD src0_sel:WORD_1
	;; [unrolled: 2-line block ×3, first 2 shown]
	v_pk_add_f32 v[16:17], v[16:17], v[18:19]
	v_pk_add_f32 v[6:7], v[14:15], v[6:7]
	v_pk_mul_f32 v[14:15], v[16:17], v[16:17]
	v_add_f32_e32 v1, v1, v14
	v_pk_mul_f32 v[6:7], v[6:7], v[6:7]
	v_add_f32_e32 v1, v1, v15
	v_add_f32_e32 v1, v1, v6
	;; [unrolled: 1-line block ×3, first 2 shown]
	s_and_saveexec_b64 s[34:35], vcc
	s_xor_b64 s[34:35], exec, s[34:35]
	s_cbranch_execz .LBB42_2
; %bb.8:                                ;   in Loop: Header=BB42_5 Depth=1
	v_lshlrev_b64 v[6:7], 3, v[2:3]
	v_mov_b32_e32 v2, s44
	v_add_co_u32_e32 v14, vcc, s33, v6
	v_addc_co_u32_e32 v15, vcc, v2, v7, vcc
	v_mov_b32_e32 v2, s46
	v_add_co_u32_e32 v6, vcc, s45, v6
	v_addc_co_u32_e32 v7, vcc, v2, v7, vcc
	global_load_dwordx2 v[14:15], v[14:15], off
	v_add_u32_e32 v2, v8, v8
	global_load_dwordx2 v[6:7], v[6:7], off
	v_add_u32_e32 v2, v2, v8
	v_add_u32_e32 v2, v2, v4
	v_cmp_le_u32_e32 vcc, s12, v2
	s_orn2_b64 s[36:37], vcc, exec
	s_waitcnt vmcnt(1)
	v_cvt_f32_f16_e32 v16, v14
	v_cvt_f32_f16_sdwa v17, v14 dst_sel:DWORD dst_unused:UNUSED_PAD src0_sel:WORD_1
	s_waitcnt vmcnt(0)
	v_cvt_f32_f16_e32 v18, v6
	v_cvt_f32_f16_sdwa v19, v6 dst_sel:DWORD dst_unused:UNUSED_PAD src0_sel:WORD_1
	v_cvt_f32_f16_e32 v14, v15
	v_cvt_f32_f16_sdwa v15, v15 dst_sel:DWORD dst_unused:UNUSED_PAD src0_sel:WORD_1
	;; [unrolled: 2-line block ×3, first 2 shown]
	v_pk_add_f32 v[4:5], v[16:17], v[18:19]
	v_pk_mul_f32 v[4:5], v[4:5], v[4:5]
	v_add_f32_e32 v1, v1, v4
	v_pk_add_f32 v[6:7], v[14:15], v[6:7]
	v_pk_mul_f32 v[6:7], v[6:7], v[6:7]
	v_add_f32_e32 v1, v1, v5
	v_add_f32_e32 v1, v1, v6
	v_add_f32_e32 v1, v1, v7
	s_branch .LBB42_2
.LBB42_9:
	s_or_b64 exec, exec, s[24:25]
.LBB42_10:
	s_or_b64 exec, exec, s[2:3]
	v_mbcnt_lo_u32_b32 v2, -1, 0
	v_mbcnt_hi_u32_b32 v2, -1, v2
	v_and_b32_e32 v3, 63, v2
	v_cmp_ne_u32_e32 vcc, 63, v3
	s_load_dword s2, s[22:23], 0xc
	v_addc_co_u32_e32 v4, vcc, 0, v2, vcc
	v_lshlrev_b32_e32 v4, 2, v4
	ds_bpermute_b32 v4, v4, v1
	s_waitcnt lgkmcnt(0)
	s_and_b32 s13, s2, 0xffff
	v_and_b32_e32 v5, 0x3c0, v0
	v_sub_u32_e64 v5, s13, v5 clamp
	v_add_u32_e32 v6, 1, v2
	v_add_f32_e32 v4, v1, v4
	v_cmp_lt_u32_e32 vcc, v6, v5
	v_cndmask_b32_e32 v1, v1, v4, vcc
	v_cmp_gt_u32_e32 vcc, 62, v3
	v_cndmask_b32_e64 v4, 0, 1, vcc
	v_lshlrev_b32_e32 v4, 1, v4
	v_add_lshl_u32 v4, v4, v2, 2
	ds_bpermute_b32 v4, v4, v1
	v_add_u32_e32 v6, 2, v2
	v_cmp_lt_u32_e32 vcc, v6, v5
	v_add_u32_e32 v6, 4, v2
	s_waitcnt lgkmcnt(0)
	v_add_f32_e32 v4, v1, v4
	v_cndmask_b32_e32 v1, v1, v4, vcc
	v_cmp_gt_u32_e32 vcc, 60, v3
	v_cndmask_b32_e64 v4, 0, 1, vcc
	v_lshlrev_b32_e32 v4, 2, v4
	v_add_lshl_u32 v4, v4, v2, 2
	ds_bpermute_b32 v4, v4, v1
	v_cmp_lt_u32_e32 vcc, v6, v5
	v_add_u32_e32 v6, 8, v2
	s_waitcnt lgkmcnt(0)
	v_add_f32_e32 v4, v1, v4
	v_cndmask_b32_e32 v1, v1, v4, vcc
	v_cmp_gt_u32_e32 vcc, 56, v3
	v_cndmask_b32_e64 v4, 0, 1, vcc
	v_lshlrev_b32_e32 v4, 3, v4
	v_add_lshl_u32 v4, v4, v2, 2
	ds_bpermute_b32 v4, v4, v1
	;; [unrolled: 10-line block ×3, first 2 shown]
	v_cmp_lt_u32_e32 vcc, v6, v5
	s_waitcnt lgkmcnt(0)
	v_add_f32_e32 v4, v1, v4
	v_cndmask_b32_e32 v1, v1, v4, vcc
	v_cmp_gt_u32_e32 vcc, 32, v3
	v_cndmask_b32_e64 v3, 0, 1, vcc
	v_lshlrev_b32_e32 v3, 5, v3
	v_add_lshl_u32 v3, v3, v2, 2
	ds_bpermute_b32 v3, v3, v1
	v_add_u32_e32 v4, 32, v2
	v_cmp_lt_u32_e32 vcc, v4, v5
	s_waitcnt lgkmcnt(0)
	v_add_f32_e32 v3, v1, v3
	v_cndmask_b32_e32 v1, v1, v3, vcc
	v_cmp_eq_u32_e32 vcc, 0, v2
	s_and_saveexec_b64 s[2:3], vcc
	s_cbranch_execz .LBB42_12
; %bb.11:
	v_lshrrev_b32_e32 v3, 4, v0
	v_and_b32_e32 v3, 60, v3
	ds_write_b32 v3, v1 offset:4096
.LBB42_12:
	s_or_b64 exec, exec, s[2:3]
	v_cmp_gt_u32_e32 vcc, 16, v0
	s_waitcnt lgkmcnt(0)
	s_barrier
	s_and_saveexec_b64 s[24:25], vcc
	s_cbranch_execz .LBB42_14
; %bb.13:
	v_lshlrev_b32_e32 v1, 2, v2
	ds_read_b32 v1, v1 offset:4096
	v_and_b32_e32 v3, 15, v2
	v_cmp_ne_u32_e32 vcc, 15, v3
	v_addc_co_u32_e32 v4, vcc, 0, v2, vcc
	v_lshlrev_b32_e32 v4, 2, v4
	s_waitcnt lgkmcnt(0)
	ds_bpermute_b32 v4, v4, v1
	s_add_i32 s13, s13, 63
	s_lshr_b32 s13, s13, 6
	v_add_u32_e32 v5, 1, v3
	v_cmp_gt_u32_e64 s[2:3], 14, v3
	v_cmp_gt_u32_e32 vcc, s13, v5
	v_cndmask_b32_e64 v5, 0, 1, s[2:3]
	s_waitcnt lgkmcnt(0)
	v_add_f32_e32 v4, v1, v4
	v_lshlrev_b32_e32 v5, 1, v5
	v_cndmask_b32_e32 v4, v1, v4, vcc
	v_add_lshl_u32 v5, v5, v2, 2
	ds_bpermute_b32 v5, v5, v4
	v_add_u32_e32 v6, 2, v3
	v_cmp_gt_u32_e64 s[2:3], s13, v6
	v_add_u32_e32 v6, 4, v3
	s_waitcnt lgkmcnt(0)
	v_add_f32_e32 v5, v4, v5
	v_cndmask_b32_e64 v4, v4, v5, s[2:3]
	v_cmp_gt_u32_e64 s[2:3], 12, v3
	v_cndmask_b32_e64 v5, 0, 1, s[2:3]
	v_lshlrev_b32_e32 v5, 2, v5
	v_add_lshl_u32 v5, v5, v2, 2
	ds_bpermute_b32 v5, v5, v4
	v_cmp_gt_u32_e64 s[2:3], s13, v6
	s_waitcnt lgkmcnt(0)
	v_add_f32_e32 v5, v4, v5
	v_cndmask_b32_e64 v4, v4, v5, s[2:3]
	v_cmp_gt_u32_e64 s[2:3], 8, v3
	v_cndmask_b32_e64 v5, 0, 1, s[2:3]
	v_lshlrev_b32_e32 v5, 3, v5
	v_add_lshl_u32 v2, v5, v2, 2
	ds_bpermute_b32 v2, v2, v4
	v_add_u32_e32 v3, 8, v3
	v_cmp_gt_u32_e64 s[2:3], s13, v3
	s_waitcnt lgkmcnt(0)
	v_add_f32_e32 v2, v4, v2
	v_cndmask_b32_e64 v2, v4, v2, s[2:3]
	v_cndmask_b32_e32 v1, v1, v2, vcc
.LBB42_14:
	s_or_b64 exec, exec, s[24:25]
	v_cmp_eq_u32_e32 vcc, 0, v0
	s_and_saveexec_b64 s[2:3], vcc
	s_cbranch_execz .LBB42_16
; %bb.15:
	v_cvt_f32_i32_e32 v2, s20
	s_mov_b32 s13, 0x800000
	v_div_scale_f32 v3, s[24:25], v2, v2, v1
	v_rcp_f32_e32 v4, v3
	v_div_scale_f32 v5, vcc, v1, v2, v1
	v_fma_f32 v6, -v3, v4, 1.0
	v_fmac_f32_e32 v4, v6, v4
	v_mul_f32_e32 v6, v5, v4
	v_fma_f32 v7, -v3, v6, v5
	v_fmac_f32_e32 v6, v7, v4
	v_fma_f32 v3, -v3, v6, v5
	v_div_fmas_f32 v3, v3, v4, v6
	v_div_fixup_f32 v1, v3, v2, v1
	v_add_f32_e32 v1, s16, v1
	v_mul_f32_e32 v2, 0x4b800000, v1
	v_cmp_gt_f32_e32 vcc, s13, v1
	v_cndmask_b32_e32 v1, v1, v2, vcc
	v_rsq_f32_e32 v1, v1
	v_mul_f32_e32 v2, 0x45800000, v1
	v_cndmask_b32_e32 v1, v1, v2, vcc
	v_mov_b32_e32 v2, 0
	ds_write_b32 v2, v1 offset:4160
.LBB42_16:
	s_or_b64 exec, exec, s[2:3]
	s_ashr_i32 s2, s20, 31
	s_lshr_b32 s2, s2, 25
	s_add_i32 s3, s20, s2
	s_ashr_i32 s2, s3, 7
	s_cmp_lt_u32 s6, s48
	s_cselect_b32 s13, 12, 18
	s_add_u32 s16, s22, s13
	v_mov_b32_e32 v5, 0
	s_addc_u32 s17, s23, 0
	s_waitcnt lgkmcnt(0)
	s_barrier
	global_load_ushort v1, v5, s[16:17]
	ds_read_b32 v36, v5 offset:4160
	s_abs_i32 s13, s2
	v_cvt_f32_u32_e32 v2, s13
	s_sub_i32 s16, 0, s13
	s_ashr_i32 s3, s3, 31
	v_mov_b32_e32 v10, s12
	v_rcp_iflag_f32_e32 v2, v2
	v_mul_f32_e32 v2, 0x4f7ffffe, v2
	v_cvt_u32_f32_e32 v2, v2
	v_readfirstlane_b32 s17, v2
	s_mul_i32 s16, s16, s17
	s_mul_hi_u32 s16, s17, s16
	s_add_i32 s17, s17, s16
	s_waitcnt vmcnt(0)
	v_readfirstlane_b32 s47, v1
	s_mul_hi_u32 s16, s47, s17
	s_mul_i32 s17, s16, s13
	s_sub_i32 s17, s47, s17
	s_add_i32 s22, s16, 1
	s_sub_i32 s23, s17, s13
	s_cmp_ge_u32 s17, s13
	s_cselect_b32 s16, s22, s16
	s_cselect_b32 s17, s23, s17
	s_add_i32 s22, s16, 1
	s_cmp_ge_u32 s17, s13
	s_cselect_b32 s13, s22, s16
	s_xor_b32 s13, s13, s3
	s_sub_i32 s16, s13, s3
	s_abs_i32 s3, s16
	v_cvt_f32_u32_e32 v1, s3
	s_sub_i32 s22, 0, s3
	s_ashr_i32 s17, s16, 31
	s_ashr_i32 s13, s12, 31
	v_rcp_iflag_f32_e32 v1, v1
	v_mov_b32_e32 v11, s13
	v_mul_f32_e32 v1, 0x4f7ffffe, v1
	v_cvt_u32_f32_e32 v1, v1
	v_mul_lo_u32 v2, s22, v1
	v_mul_hi_u32 v2, v1, v2
	v_add_u32_e32 v1, v1, v2
	v_mul_hi_u32 v1, v0, v1
	v_mul_lo_u32 v2, v1, s3
	v_sub_u32_e32 v2, v0, v2
	v_add_u32_e32 v3, 1, v1
	v_cmp_le_u32_e32 vcc, s3, v2
	v_cndmask_b32_e32 v1, v1, v3, vcc
	v_subrev_u32_e32 v3, s3, v2
	v_cndmask_b32_e32 v2, v2, v3, vcc
	v_add_u32_e32 v3, 1, v1
	v_cmp_le_u32_e32 vcc, s3, v2
	v_cndmask_b32_e32 v1, v1, v3, vcc
	v_xor_b32_e32 v1, s17, v1
	v_subrev_u32_e32 v2, s17, v1
	v_mul_lo_u32 v1, v2, s16
	v_ashrrev_i32_e32 v3, 31, v2
	v_sub_u32_e32 v4, v0, v1
	v_lshlrev_b64 v[8:9], 5, v[2:3]
	v_add_co_u32_e32 v6, vcc, v8, v4
	v_addc_co_u32_e32 v7, vcc, 0, v9, vcc
	v_add_co_u32_e32 v8, vcc, 32, v8
	v_addc_co_u32_e32 v9, vcc, 0, v9, vcc
	v_cmp_gt_i64_e32 vcc, s[12:13], v[8:9]
	v_cndmask_b32_e32 v8, v10, v8, vcc
	v_cndmask_b32_e32 v9, v11, v9, vcc
	v_ashrrev_i32_e32 v11, 31, v8
	v_mov_b32_e32 v10, v8
	v_cmp_lt_i64_e32 vcc, v[6:7], v[10:11]
	s_and_saveexec_b64 s[22:23], vcc
	s_cbranch_execz .LBB42_26
; %bb.17:
	v_lshlrev_b64 v[12:13], 8, v[2:3]
	v_lshlrev_b64 v[14:15], 3, v[4:5]
	v_add_co_u32_e32 v12, vcc, v12, v14
	v_addc_co_u32_e32 v1, vcc, v13, v15, vcc
	s_lshl_b64 s[24:25], s[16:17], 5
	s_mul_hi_i32 s3, s16, 3
	s_mul_i32 s13, s16, 3
	s_lshl_b64 s[26:27], s[16:17], 1
	s_lshl_b64 s[30:31], s[16:17], 3
	s_mov_b64 s[28:29], 0
	v_mov_b32_e32 v5, 0
	v_mov_b32_e32 v13, s44
	;; [unrolled: 1-line block ×5, first 2 shown]
	v_pk_mov_b32 v[14:15], v[6:7], v[6:7] op_sel:[0,1]
                                        ; implicit-def: $sgpr34_sgpr35
	s_branch .LBB42_21
.LBB42_18:                              ;   in Loop: Header=BB42_21 Depth=1
	s_or_b64 exec, exec, s[40:41]
	s_orn2_b64 s[40:41], s[42:43], exec
.LBB42_19:                              ;   in Loop: Header=BB42_21 Depth=1
	s_or_b64 exec, exec, s[38:39]
	s_andn2_b64 s[34:35], s[34:35], exec
	s_and_b64 s[38:39], s[40:41], exec
	s_or_b64 s[34:35], s[34:35], s[38:39]
.LBB42_20:                              ;   in Loop: Header=BB42_21 Depth=1
	s_or_b64 exec, exec, s[36:37]
	s_and_b64 s[36:37], exec, s[34:35]
	s_or_b64 s[28:29], s[36:37], s[28:29]
	s_andn2_b64 exec, exec, s[28:29]
	s_cbranch_execz .LBB42_25
.LBB42_21:                              ; =>This Inner Loop Header: Depth=1
	v_add_co_u32_e32 v18, vcc, s33, v12
	v_addc_co_u32_e32 v19, vcc, v13, v1, vcc
	v_add_co_u32_e32 v22, vcc, s45, v12
	v_addc_co_u32_e32 v23, vcc, v25, v1, vcc
	global_load_dwordx2 v[16:17], v[18:19], off
	global_load_dwordx2 v[28:29], v[22:23], off
	v_add_co_u32_e32 v20, vcc, s14, v12
	v_addc_co_u32_e32 v21, vcc, v24, v1, vcc
	global_load_dwordx2 v[30:31], v[20:21], off
	s_or_b64 s[34:35], s[34:35], exec
	s_waitcnt vmcnt(2)
	v_cvt_f32_f16_e32 v27, v16
	v_cvt_f32_f16_sdwa v16, v16 dst_sel:DWORD dst_unused:UNUSED_PAD src0_sel:WORD_1
	s_waitcnt vmcnt(1)
	v_cvt_f32_f16_e32 v33, v28
	v_cvt_f32_f16_sdwa v28, v28 dst_sel:DWORD dst_unused:UNUSED_PAD src0_sel:WORD_1
	v_cvt_f32_f16_e32 v32, v17
	v_cvt_f32_f16_sdwa v17, v17 dst_sel:DWORD dst_unused:UNUSED_PAD src0_sel:WORD_1
	;; [unrolled: 2-line block ×3, first 2 shown]
	v_add_f32_e32 v27, v27, v33
	v_add_f32_e32 v16, v16, v28
	;; [unrolled: 1-line block ×4, first 2 shown]
	s_waitcnt lgkmcnt(0)
	v_fma_mixlo_f16 v27, v36, v27, 0
	v_fma_mixlo_f16 v16, v36, v16, 0
	;; [unrolled: 1-line block ×4, first 2 shown]
	s_waitcnt vmcnt(0)
	v_mul_f16_e32 v27, v30, v27
	v_mul_f16_sdwa v16, v30, v16 dst_sel:DWORD dst_unused:UNUSED_PAD src0_sel:WORD_1 src1_sel:DWORD
	v_mul_f16_e32 v28, v31, v28
	v_mul_f16_sdwa v17, v31, v17 dst_sel:DWORD dst_unused:UNUSED_PAD src0_sel:WORD_1 src1_sel:DWORD
	v_cvt_f32_f16_e64 v27, |v27|
	v_cvt_f32_f16_e64 v29, |v16|
	;; [unrolled: 1-line block ×4, first 2 shown]
	v_add_co_u32_e32 v16, vcc, s16, v14
	v_addc_co_u32_e32 v17, vcc, v15, v26, vcc
	v_max3_f32 v5, v5, v27, v29
	v_cmp_lt_i64_e32 vcc, v[16:17], v[10:11]
	v_max3_f32 v5, v5, v28, v30
	s_and_saveexec_b64 s[36:37], vcc
	s_cbranch_execz .LBB42_20
; %bb.22:                               ;   in Loop: Header=BB42_21 Depth=1
	v_mov_b32_e32 v27, s31
	v_add_co_u32_e32 v18, vcc, s30, v18
	v_addc_co_u32_e32 v19, vcc, v19, v27, vcc
	v_add_co_u32_e32 v22, vcc, s30, v22
	v_addc_co_u32_e32 v23, vcc, v23, v27, vcc
	global_load_dwordx2 v[28:29], v[18:19], off
	global_load_dwordx2 v[30:31], v[22:23], off
	v_add_co_u32_e32 v20, vcc, s30, v20
	v_addc_co_u32_e32 v21, vcc, v21, v27, vcc
	global_load_dwordx2 v[32:33], v[20:21], off
	v_mov_b32_e32 v27, s27
	s_mov_b64 s[40:41], -1
	s_waitcnt vmcnt(2)
	v_cvt_f32_f16_e32 v34, v28
	v_cvt_f32_f16_sdwa v28, v28 dst_sel:DWORD dst_unused:UNUSED_PAD src0_sel:WORD_1
	s_waitcnt vmcnt(1)
	v_cvt_f32_f16_e32 v37, v30
	v_cvt_f32_f16_sdwa v30, v30 dst_sel:DWORD dst_unused:UNUSED_PAD src0_sel:WORD_1
	v_cvt_f32_f16_e32 v35, v29
	v_cvt_f32_f16_sdwa v29, v29 dst_sel:DWORD dst_unused:UNUSED_PAD src0_sel:WORD_1
	v_cvt_f32_f16_e32 v38, v31
	v_cvt_f32_f16_sdwa v31, v31 dst_sel:DWORD dst_unused:UNUSED_PAD src0_sel:WORD_1
	v_add_f32_e32 v34, v34, v37
	v_add_f32_e32 v28, v28, v30
	;; [unrolled: 1-line block ×4, first 2 shown]
	v_fma_mixlo_f16 v31, v36, v34, 0
	v_fma_mixlo_f16 v28, v36, v28, 0
	;; [unrolled: 1-line block ×4, first 2 shown]
	s_waitcnt vmcnt(0)
	v_mul_f16_e32 v31, v32, v31
	v_mul_f16_sdwa v28, v32, v28 dst_sel:DWORD dst_unused:UNUSED_PAD src0_sel:WORD_1 src1_sel:DWORD
	v_mul_f16_e32 v30, v33, v30
	v_mul_f16_sdwa v29, v33, v29 dst_sel:DWORD dst_unused:UNUSED_PAD src0_sel:WORD_1 src1_sel:DWORD
	v_cvt_f32_f16_e64 v31, |v31|
	v_cvt_f32_f16_e64 v32, |v28|
	;; [unrolled: 1-line block ×4, first 2 shown]
	v_add_co_u32_e32 v28, vcc, s26, v14
	v_addc_co_u32_e32 v29, vcc, v27, v15, vcc
	v_max3_f32 v5, v5, v31, v32
	v_cmp_lt_i64_e32 vcc, v[28:29], v[10:11]
	v_max3_f32 v5, v5, v30, v33
	s_and_saveexec_b64 s[38:39], vcc
	s_cbranch_execz .LBB42_19
; %bb.23:                               ;   in Loop: Header=BB42_21 Depth=1
	v_mov_b32_e32 v27, s31
	v_add_co_u32_e32 v18, vcc, s30, v18
	v_addc_co_u32_e32 v19, vcc, v19, v27, vcc
	v_add_co_u32_e32 v22, vcc, s30, v22
	v_addc_co_u32_e32 v23, vcc, v23, v27, vcc
	global_load_dwordx2 v[28:29], v[18:19], off
	global_load_dwordx2 v[30:31], v[22:23], off
	v_add_co_u32_e32 v20, vcc, s30, v20
	v_addc_co_u32_e32 v21, vcc, v21, v27, vcc
	global_load_dwordx2 v[32:33], v[20:21], off
	v_mov_b32_e32 v27, s3
	v_add_co_u32_e32 v14, vcc, s13, v14
	v_addc_co_u32_e32 v15, vcc, v27, v15, vcc
	v_cmp_lt_i64_e32 vcc, v[14:15], v[10:11]
	s_mov_b64 s[42:43], -1
                                        ; implicit-def: $vgpr14_vgpr15
	s_waitcnt vmcnt(2)
	v_cvt_f32_f16_e32 v34, v28
	v_cvt_f32_f16_sdwa v28, v28 dst_sel:DWORD dst_unused:UNUSED_PAD src0_sel:WORD_1
	s_waitcnt vmcnt(1)
	v_cvt_f32_f16_e32 v37, v30
	v_cvt_f32_f16_sdwa v30, v30 dst_sel:DWORD dst_unused:UNUSED_PAD src0_sel:WORD_1
	v_cvt_f32_f16_e32 v35, v29
	v_cvt_f32_f16_sdwa v29, v29 dst_sel:DWORD dst_unused:UNUSED_PAD src0_sel:WORD_1
	;; [unrolled: 2-line block ×3, first 2 shown]
	v_add_f32_e32 v34, v34, v37
	v_add_f32_e32 v28, v28, v30
	;; [unrolled: 1-line block ×4, first 2 shown]
	v_fma_mixlo_f16 v31, v36, v34, 0
	v_fma_mixlo_f16 v28, v36, v28, 0
	;; [unrolled: 1-line block ×4, first 2 shown]
	s_waitcnt vmcnt(0)
	v_mul_f16_e32 v31, v32, v31
	v_mul_f16_sdwa v28, v32, v28 dst_sel:DWORD dst_unused:UNUSED_PAD src0_sel:WORD_1 src1_sel:DWORD
	v_mul_f16_e32 v30, v33, v30
	v_mul_f16_sdwa v29, v33, v29 dst_sel:DWORD dst_unused:UNUSED_PAD src0_sel:WORD_1 src1_sel:DWORD
	v_cvt_f32_f16_e64 v31, |v31|
	v_cvt_f32_f16_e64 v28, |v28|
	;; [unrolled: 1-line block ×4, first 2 shown]
	v_max3_f32 v5, v5, v31, v28
	v_max3_f32 v5, v5, v30, v29
	s_and_saveexec_b64 s[40:41], vcc
	s_xor_b64 s[40:41], exec, s[40:41]
	s_cbranch_execz .LBB42_18
; %bb.24:                               ;   in Loop: Header=BB42_21 Depth=1
	v_mov_b32_e32 v27, s31
	v_add_co_u32_e32 v14, vcc, s30, v18
	v_addc_co_u32_e32 v15, vcc, v19, v27, vcc
	v_add_co_u32_e32 v18, vcc, s30, v22
	v_addc_co_u32_e32 v19, vcc, v23, v27, vcc
	global_load_dwordx2 v[14:15], v[14:15], off
	v_add_co_u32_e32 v20, vcc, s30, v20
	global_load_dwordx2 v[18:19], v[18:19], off
	v_addc_co_u32_e32 v21, vcc, v21, v27, vcc
	global_load_dwordx2 v[20:21], v[20:21], off
	s_add_u32 s42, s16, s16
	s_addc_u32 s43, s17, s17
	v_mov_b32_e32 v22, s25
	v_add_co_u32_e32 v12, vcc, s24, v12
	s_add_u32 s42, s42, s16
	v_addc_co_u32_e32 v1, vcc, v1, v22, vcc
	s_addc_u32 s43, s43, s17
	v_mov_b32_e32 v22, s43
	s_waitcnt vmcnt(2)
	v_cvt_f32_f16_e32 v23, v14
	v_cvt_f32_f16_sdwa v14, v14 dst_sel:DWORD dst_unused:UNUSED_PAD src0_sel:WORD_1
	v_cvt_f32_f16_e32 v27, v15
	s_waitcnt vmcnt(1)
	v_cvt_f32_f16_e32 v28, v18
	v_cvt_f32_f16_sdwa v18, v18 dst_sel:DWORD dst_unused:UNUSED_PAD src0_sel:WORD_1
	v_cvt_f32_f16_sdwa v15, v15 dst_sel:DWORD dst_unused:UNUSED_PAD src0_sel:WORD_1
	v_cvt_f32_f16_e32 v29, v19
	v_cvt_f32_f16_sdwa v19, v19 dst_sel:DWORD dst_unused:UNUSED_PAD src0_sel:WORD_1
	v_add_f32_e32 v23, v23, v28
	v_add_f32_e32 v14, v14, v18
	;; [unrolled: 1-line block ×4, first 2 shown]
	v_fma_mixlo_f16 v19, v36, v23, 0
	v_fma_mixlo_f16 v14, v36, v14, 0
	;; [unrolled: 1-line block ×4, first 2 shown]
	s_waitcnt vmcnt(0)
	v_mul_f16_e32 v19, v20, v19
	v_mul_f16_sdwa v14, v20, v14 dst_sel:DWORD dst_unused:UNUSED_PAD src0_sel:WORD_1 src1_sel:DWORD
	v_mul_f16_e32 v18, v21, v18
	v_mul_f16_sdwa v15, v21, v15 dst_sel:DWORD dst_unused:UNUSED_PAD src0_sel:WORD_1 src1_sel:DWORD
	v_cvt_f32_f16_e64 v19, |v19|
	v_cvt_f32_f16_e64 v20, |v14|
	;; [unrolled: 1-line block ×4, first 2 shown]
	v_add_co_u32_e32 v14, vcc, s42, v16
	v_addc_co_u32_e32 v15, vcc, v22, v17, vcc
	v_cmp_ge_i64_e32 vcc, v[14:15], v[10:11]
	v_max3_f32 v5, v5, v19, v20
	v_max3_f32 v5, v5, v18, v21
	s_orn2_b64 s[42:43], vcc, exec
	s_branch .LBB42_18
.LBB42_25:
	s_or_b64 exec, exec, s[28:29]
.LBB42_26:
	s_or_b64 exec, exec, s[22:23]
	s_lshr_b32 s13, s47, 6
	v_cvt_f32_u32_e32 v10, s13
	v_lshlrev_b32_e32 v1, 2, v0
	ds_write_b32 v1, v5
	s_sub_i32 s23, 0, s13
	v_rcp_iflag_f32_e32 v5, v10
	s_add_i32 s3, s2, s13
	s_add_i32 s3, s3, -1
	s_ashr_i32 s22, s3, 31
	v_mul_f32_e32 v5, 0x4f7ffffe, v5
	v_cvt_u32_f32_e32 v5, v5
	s_abs_i32 s3, s3
	s_waitcnt lgkmcnt(0)
	s_barrier
	v_readfirstlane_b32 s24, v5
	s_mul_i32 s23, s23, s24
	s_mul_hi_u32 s23, s24, s23
	s_add_i32 s24, s24, s23
	s_mul_hi_u32 s23, s3, s24
	s_mul_i32 s24, s23, s13
	s_sub_i32 s3, s3, s24
	s_add_i32 s24, s23, 1
	s_sub_i32 s25, s3, s13
	s_cmp_ge_u32 s3, s13
	s_cselect_b32 s23, s24, s23
	s_cselect_b32 s3, s25, s3
	s_add_i32 s24, s23, 1
	s_cmp_ge_u32 s3, s13
	s_cselect_b32 s3, s24, s23
	s_xor_b32 s3, s3, s22
	s_sub_i32 s22, s3, s22
	s_ashr_i32 s23, s22, 31
	v_cmp_lt_i64_e64 s[24:25], s[22:23], 1
	s_and_b64 vcc, exec, s[24:25]
	s_cbranch_vccnz .LBB42_48
; %bb.27:
	v_and_b32_e32 v12, 63, v0
	v_add_co_u32_e32 v14, vcc, 32, v12
	v_addc_co_u32_e64 v15, s[24:25], 0, 0, vcc
	v_add_co_u32_e32 v16, vcc, 16, v12
	v_addc_co_u32_e64 v17, s[24:25], 0, 0, vcc
	;; [unrolled: 2-line block ×4, first 2 shown]
	v_add_co_u32_e32 v22, vcc, 2, v12
	v_lshrrev_b32_e32 v10, 6, v0
	v_addc_co_u32_e64 v23, s[24:25], 0, 0, vcc
	v_add_co_u32_e32 v24, vcc, 1, v12
	v_addc_co_u32_e64 v25, s[24:25], 0, 0, vcc
	v_mul_lo_u32 v5, s16, v10
	v_lshlrev_b32_e32 v5, 2, v5
	v_lshlrev_b32_e32 v26, 2, v12
	s_movk_i32 s24, 0x100
	v_mov_b32_e32 v11, 0
	v_add3_u32 v5, v5, v26, s24
	s_mul_i32 s24, s16, s13
	s_ashr_i32 s3, s2, 31
	v_mov_b32_e32 v13, v11
	s_lshl_b32 s36, s24, 2
	s_mov_b64 s[24:25], 0
	v_mov_b32_e32 v37, s13
	s_mov_b64 s[26:27], src_shared_base
	s_branch .LBB42_30
.LBB42_28:                              ;   in Loop: Header=BB42_30 Depth=1
	s_or_b64 exec, exec, s[30:31]
	v_mov_b32_e32 v27, s27
	flat_load_dword v26, v[26:27] glc
	s_waitcnt vmcnt(0)
.LBB42_29:                              ;   in Loop: Header=BB42_30 Depth=1
	s_or_b64 exec, exec, s[28:29]
	s_add_u32 s24, s24, 1
	s_addc_u32 s25, s25, 0
	s_cmp_eq_u64 s[24:25], s[22:23]
	v_add_u32_e32 v5, s36, v5
	s_cbranch_scc1 .LBB42_48
.LBB42_30:                              ; =>This Loop Header: Depth=1
                                        ;     Child Loop BB42_33 Depth 2
	v_mad_u64_u32 v[30:31], s[28:29], s24, v37, v[10:11]
	s_mul_i32 s26, s25, s13
	v_add_u32_e32 v31, s26, v31
	v_cmp_gt_i64_e32 vcc, s[2:3], v[30:31]
	s_and_saveexec_b64 s[28:29], vcc
	s_cbranch_execz .LBB42_29
; %bb.31:                               ;   in Loop: Header=BB42_30 Depth=1
	v_pk_mov_b32 v[32:33], s[16:17], s[16:17] op_sel:[0,1]
	v_mul_lo_u32 v29, v31, s16
	v_mul_lo_u32 v38, v30, s17
	v_mad_u64_u32 v[32:33], s[30:31], v30, s16, v[32:33]
	v_add3_u32 v33, v29, v33, v38
	v_mov_b32_e32 v28, s21
	v_cmp_gt_i64_e32 vcc, s[20:21], v[32:33]
	s_waitcnt lgkmcnt(0)
	v_mad_u64_u32 v[26:27], s[30:31], v30, s16, v[12:13]
	v_cndmask_b32_e32 v33, v28, v33, vcc
	v_mov_b32_e32 v28, s20
	v_add3_u32 v27, v29, v27, v38
	v_cndmask_b32_e32 v32, v28, v32, vcc
	v_add_co_u32_e32 v34, vcc, 64, v26
	v_addc_co_u32_e32 v35, vcc, 0, v27, vcc
	v_cmp_lt_i64_e32 vcc, v[34:35], v[32:33]
	v_lshlrev_b32_e32 v28, 2, v26
	s_and_saveexec_b64 s[30:31], vcc
	s_cbranch_execz .LBB42_34
; %bb.32:                               ;   in Loop: Header=BB42_30 Depth=1
	ds_read_b32 v31, v28
	s_mov_b64 s[34:35], 0
	v_mov_b32_e32 v27, v5
.LBB42_33:                              ;   Parent Loop BB42_30 Depth=1
                                        ; =>  This Inner Loop Header: Depth=2
	ds_read_b32 v39, v27
	v_add_co_u32_e32 v34, vcc, 64, v34
	v_addc_co_u32_e32 v35, vcc, 0, v35, vcc
	s_waitcnt lgkmcnt(1)
	v_max_f32_e32 v31, v31, v31
	v_cmp_ge_i64_e32 vcc, v[34:35], v[32:33]
	s_waitcnt lgkmcnt(0)
	v_max_f32_e32 v39, v39, v39
	v_add_u32_e32 v27, 0x100, v27
	s_or_b64 s[34:35], vcc, s[34:35]
	v_max_f32_e32 v31, v31, v39
	ds_write_b32 v28, v31
	s_andn2_b64 exec, exec, s[34:35]
	s_cbranch_execnz .LBB42_33
.LBB42_34:                              ;   in Loop: Header=BB42_30 Depth=1
	s_or_b64 exec, exec, s[30:31]
	v_mad_u64_u32 v[30:31], s[30:31], v30, s16, 0
	v_add3_u32 v27, v31, v38, v29
	v_sub_co_u32_e32 v30, vcc, v32, v30
	v_subb_co_u32_e32 v31, vcc, v33, v27, vcc
	v_cmp_gt_i64_e32 vcc, 64, v[30:31]
	v_cndmask_b32_e32 v31, 0, v31, vcc
	v_cndmask_b32_e32 v30, 64, v30, vcc
	v_cmp_lt_i64_e32 vcc, v[14:15], v[30:31]
	s_and_saveexec_b64 s[30:31], vcc
	s_cbranch_execnz .LBB42_46
; %bb.35:                               ;   in Loop: Header=BB42_30 Depth=1
	s_or_b64 exec, exec, s[30:31]
	v_cmp_lt_i64_e32 vcc, v[16:17], v[30:31]
	s_and_saveexec_b64 s[30:31], vcc
	s_cbranch_execnz .LBB42_47
.LBB42_36:                              ;   in Loop: Header=BB42_30 Depth=1
	s_or_b64 exec, exec, s[30:31]
	v_cmp_lt_i64_e32 vcc, v[18:19], v[30:31]
	s_and_saveexec_b64 s[30:31], vcc
	s_cbranch_execz .LBB42_38
.LBB42_37:                              ;   in Loop: Header=BB42_30 Depth=1
	v_mov_b32_e32 v29, s27
	v_add_u32_e32 v32, 32, v28
	v_mov_b32_e32 v33, s27
	flat_load_dword v27, v[28:29] glc
	s_waitcnt vmcnt(0)
	flat_load_dword v34, v[32:33] glc
	s_waitcnt vmcnt(0) lgkmcnt(0)
	v_max_f32_e32 v27, v27, v27
	v_max_f32_e32 v32, v34, v34
	;; [unrolled: 1-line block ×3, first 2 shown]
	flat_store_dword v[28:29], v27
	s_waitcnt vmcnt(0)
.LBB42_38:                              ;   in Loop: Header=BB42_30 Depth=1
	s_or_b64 exec, exec, s[30:31]
	v_cmp_ge_i64_e32 vcc, v[20:21], v[30:31]
	s_and_saveexec_b64 s[30:31], vcc
	s_xor_b64 s[30:31], exec, s[30:31]
; %bb.39:                               ;   in Loop: Header=BB42_30 Depth=1
                                        ; implicit-def: $vgpr28
; %bb.40:                               ;   in Loop: Header=BB42_30 Depth=1
	s_andn2_saveexec_b64 s[30:31], s[30:31]
	s_cbranch_execz .LBB42_42
; %bb.41:                               ;   in Loop: Header=BB42_30 Depth=1
	v_mov_b32_e32 v29, s27
	v_add_u32_e32 v32, 16, v28
	v_mov_b32_e32 v33, s27
	flat_load_dword v27, v[28:29] glc
	s_waitcnt vmcnt(0)
	flat_load_dword v34, v[32:33] glc
	s_waitcnt vmcnt(0) lgkmcnt(0)
	v_max_f32_e32 v27, v27, v27
	v_max_f32_e32 v32, v34, v34
	v_max_f32_e32 v27, v27, v32
	flat_store_dword v[28:29], v27
	s_waitcnt vmcnt(0)
.LBB42_42:                              ;   in Loop: Header=BB42_30 Depth=1
	s_or_b64 exec, exec, s[30:31]
	v_cmp_lt_i64_e32 vcc, v[22:23], v[30:31]
	v_lshlrev_b32_e32 v26, 2, v26
	s_and_saveexec_b64 s[30:31], vcc
	s_cbranch_execz .LBB42_44
; %bb.43:                               ;   in Loop: Header=BB42_30 Depth=1
	v_mov_b32_e32 v27, s27
	v_add_u32_e32 v28, 8, v26
	v_mov_b32_e32 v29, s27
	flat_load_dword v32, v[26:27] glc
	s_waitcnt vmcnt(0)
	flat_load_dword v33, v[28:29] glc
	s_waitcnt vmcnt(0) lgkmcnt(0)
	v_max_f32_e32 v28, v32, v32
	v_max_f32_e32 v29, v33, v33
	;; [unrolled: 1-line block ×3, first 2 shown]
	flat_store_dword v[26:27], v28
	s_waitcnt vmcnt(0)
.LBB42_44:                              ;   in Loop: Header=BB42_30 Depth=1
	s_or_b64 exec, exec, s[30:31]
	v_cmp_lt_i64_e32 vcc, v[24:25], v[30:31]
	s_and_saveexec_b64 s[30:31], vcc
	s_cbranch_execz .LBB42_28
; %bb.45:                               ;   in Loop: Header=BB42_30 Depth=1
	v_mov_b32_e32 v27, s27
	v_add_u32_e32 v28, 4, v26
	v_mov_b32_e32 v29, s27
	flat_load_dword v30, v[26:27] glc
	s_waitcnt vmcnt(0)
	flat_load_dword v31, v[28:29] glc
	s_waitcnt vmcnt(0) lgkmcnt(0)
	v_max_f32_e32 v28, v30, v30
	v_max_f32_e32 v29, v31, v31
	;; [unrolled: 1-line block ×3, first 2 shown]
	flat_store_dword v[26:27], v28
	s_waitcnt vmcnt(0)
	s_branch .LBB42_28
.LBB42_46:                              ;   in Loop: Header=BB42_30 Depth=1
	v_mov_b32_e32 v29, s27
	v_add_u32_e32 v32, 0x80, v28
	v_mov_b32_e32 v33, s27
	flat_load_dword v27, v[28:29] glc
	s_waitcnt vmcnt(0)
	flat_load_dword v34, v[32:33] glc
	s_waitcnt vmcnt(0) lgkmcnt(0)
	v_max_f32_e32 v27, v27, v27
	v_max_f32_e32 v32, v34, v34
	;; [unrolled: 1-line block ×3, first 2 shown]
	flat_store_dword v[28:29], v27
	s_waitcnt vmcnt(0)
	s_or_b64 exec, exec, s[30:31]
	v_cmp_lt_i64_e32 vcc, v[16:17], v[30:31]
	s_and_saveexec_b64 s[30:31], vcc
	s_cbranch_execz .LBB42_36
.LBB42_47:                              ;   in Loop: Header=BB42_30 Depth=1
	v_mov_b32_e32 v29, s27
	v_add_u32_e32 v32, 64, v28
	v_mov_b32_e32 v33, s27
	flat_load_dword v27, v[28:29] glc
	s_waitcnt vmcnt(0)
	flat_load_dword v34, v[32:33] glc
	s_waitcnt vmcnt(0) lgkmcnt(0)
	v_max_f32_e32 v27, v27, v27
	v_max_f32_e32 v32, v34, v34
	;; [unrolled: 1-line block ×3, first 2 shown]
	flat_store_dword v[28:29], v27
	s_waitcnt vmcnt(0)
	s_or_b64 exec, exec, s[30:31]
	v_cmp_lt_i64_e32 vcc, v[18:19], v[30:31]
	s_and_saveexec_b64 s[30:31], vcc
	s_cbranch_execnz .LBB42_37
	s_branch .LBB42_38
.LBB42_48:
	s_load_dwordx2 s[16:17], s[4:5], 0x40
	v_cmp_eq_u32_e32 vcc, 0, v4
	v_cmp_lt_i64_e64 s[2:3], v[6:7], v[8:9]
	s_and_b64 s[2:3], vcc, s[2:3]
	s_waitcnt lgkmcnt(0)
	s_barrier
	s_and_saveexec_b64 s[20:21], s[2:3]
	s_cbranch_execz .LBB42_55
; %bb.49:
	s_load_dwordx2 s[2:3], s[4:5], 0x20
	ds_read_b32 v1, v1
	s_waitcnt lgkmcnt(0)
	s_cmp_eq_u64 s[2:3], 0
	s_cbranch_scc1 .LBB42_51
; %bb.50:
	s_load_dword s2, s[2:3], 0x0
	v_max_f32_e32 v1, v1, v1
	s_waitcnt lgkmcnt(0)
	v_max_f32_e64 v4, s2, s2
	v_min_f32_e32 v1, v1, v4
.LBB42_51:
	s_add_u32 s3, s16, s48
	s_addc_u32 s4, s17, 0
	s_add_u32 s22, s3, -1
	s_addc_u32 s23, s4, -1
	s_or_b64 s[4:5], s[22:23], s[16:17]
	s_mov_b32 s2, 0
	s_mov_b32 s3, s5
	s_cmp_lg_u64 s[2:3], 0
	s_mov_b64 s[24:25], -1
	s_cbranch_scc0 .LBB42_164
; %bb.52:
	s_ashr_i32 s2, s17, 31
	s_add_u32 s4, s16, s2
	s_mov_b32 s3, s2
	s_addc_u32 s5, s17, s2
	s_xor_b64 s[26:27], s[4:5], s[2:3]
	v_cvt_f32_u32_e32 v4, s26
	v_cvt_f32_u32_e32 v5, s27
	s_sub_u32 s2, 0, s26
	s_subb_u32 s3, 0, s27
	v_madmk_f32 v4, v5, 0x4f800000, v4
	v_rcp_f32_e32 v4, v4
	v_mul_f32_e32 v4, 0x5f7ffffc, v4
	v_mul_f32_e32 v5, 0x2f800000, v4
	v_trunc_f32_e32 v5, v5
	v_madmk_f32 v4, v5, 0xcf800000, v4
	v_cvt_u32_f32_e32 v5, v5
	v_cvt_u32_f32_e32 v4, v4
	v_readfirstlane_b32 s4, v5
	v_readfirstlane_b32 s5, v4
	s_mul_i32 s13, s2, s4
	s_mul_hi_u32 s29, s2, s5
	s_mul_i32 s28, s3, s5
	s_add_i32 s13, s29, s13
	s_add_i32 s13, s13, s28
	s_mul_i32 s30, s2, s5
	s_mul_hi_u32 s28, s5, s13
	s_mul_i32 s29, s5, s13
	s_mul_hi_u32 s5, s5, s30
	s_add_u32 s5, s5, s29
	s_addc_u32 s28, 0, s28
	s_mul_hi_u32 s31, s4, s30
	s_mul_i32 s30, s4, s30
	s_add_u32 s5, s5, s30
	s_mul_hi_u32 s29, s4, s13
	s_addc_u32 s5, s28, s31
	s_addc_u32 s28, s29, 0
	s_mul_i32 s13, s4, s13
	s_add_u32 s5, s5, s13
	s_addc_u32 s13, 0, s28
	v_add_co_u32_e32 v4, vcc, s5, v4
	s_cmp_lg_u64 vcc, 0
	s_addc_u32 s4, s4, s13
	v_readfirstlane_b32 s13, v4
	s_mul_i32 s5, s2, s4
	s_mul_hi_u32 s28, s2, s13
	s_add_i32 s5, s28, s5
	s_mul_i32 s3, s3, s13
	s_add_i32 s5, s5, s3
	s_mul_i32 s2, s2, s13
	s_mul_hi_u32 s28, s4, s2
	s_mul_i32 s29, s4, s2
	s_mul_i32 s31, s13, s5
	s_mul_hi_u32 s2, s13, s2
	s_mul_hi_u32 s30, s13, s5
	s_add_u32 s2, s2, s31
	s_addc_u32 s13, 0, s30
	s_add_u32 s2, s2, s29
	s_mul_hi_u32 s3, s4, s5
	s_addc_u32 s2, s13, s28
	s_addc_u32 s3, s3, 0
	s_mul_i32 s5, s4, s5
	s_add_u32 s2, s2, s5
	s_addc_u32 s3, 0, s3
	v_add_co_u32_e32 v4, vcc, s2, v4
	s_cmp_lg_u64 vcc, 0
	s_addc_u32 s4, s4, s3
	s_ashr_i32 s28, s23, 31
	s_add_u32 s2, s22, s28
	s_mov_b32 s29, s28
	s_addc_u32 s3, s23, s28
	s_xor_b64 s[30:31], s[2:3], s[28:29]
	v_readfirstlane_b32 s5, v4
	s_mul_i32 s3, s30, s4
	s_mul_hi_u32 s13, s30, s5
	s_mul_hi_u32 s2, s30, s4
	s_add_u32 s3, s13, s3
	s_addc_u32 s2, 0, s2
	s_mul_hi_u32 s29, s31, s5
	s_mul_i32 s5, s31, s5
	s_add_u32 s3, s3, s5
	s_mul_hi_u32 s13, s31, s4
	s_addc_u32 s2, s2, s29
	s_addc_u32 s3, s13, 0
	s_mul_i32 s4, s31, s4
	s_add_u32 s2, s2, s4
	s_addc_u32 s3, 0, s3
	s_mul_i32 s3, s26, s3
	s_mul_hi_u32 s4, s26, s2
	s_add_i32 s3, s4, s3
	s_mul_i32 s4, s27, s2
	s_mul_i32 s2, s26, s2
	s_add_i32 s13, s3, s4
	v_mov_b32_e32 v4, s2
	s_sub_i32 s3, s31, s13
	v_sub_co_u32_e32 v4, vcc, s30, v4
	s_cmp_lg_u64 vcc, 0
	s_subb_u32 s29, s3, s27
	v_subrev_co_u32_e64 v5, s[2:3], s26, v4
	s_cmp_lg_u64 s[2:3], 0
	s_subb_u32 s30, s29, 0
	s_cmp_ge_u32 s30, s27
	s_cselect_b32 s34, -1, 0
	v_cmp_le_u32_e64 s[4:5], s26, v5
	s_cmp_eq_u32 s30, s27
	v_cndmask_b32_e64 v6, 0, -1, s[4:5]
	v_mov_b32_e32 v7, s34
	s_cselect_b64 s[4:5], -1, 0
	s_cmp_lg_u64 s[2:3], 0
	v_cndmask_b32_e64 v6, v7, v6, s[4:5]
	s_subb_u32 s4, s29, s27
	v_subrev_co_u32_e64 v7, s[2:3], s26, v5
	s_cmp_lg_u64 s[2:3], 0
	s_subb_u32 s4, s4, 0
	v_cmp_ne_u32_e64 s[2:3], 0, v6
	v_cndmask_b32_e64 v5, v5, v7, s[2:3]
	v_mov_b32_e32 v6, s30
	v_mov_b32_e32 v7, s4
	s_cmp_lg_u64 vcc, 0
	v_cndmask_b32_e64 v6, v6, v7, s[2:3]
	s_subb_u32 s2, s31, s13
	s_cmp_ge_u32 s2, s27
	s_cselect_b32 s3, -1, 0
	v_cmp_le_u32_e32 vcc, s26, v4
	s_cmp_eq_u32 s2, s27
	v_cndmask_b32_e64 v7, 0, -1, vcc
	v_mov_b32_e32 v8, s3
	s_cselect_b64 vcc, -1, 0
	v_cndmask_b32_e32 v7, v8, v7, vcc
	v_cmp_ne_u32_e32 vcc, 0, v7
	v_mov_b32_e32 v8, s2
	v_cndmask_b32_e32 v4, v4, v5, vcc
	v_cndmask_b32_e32 v6, v8, v6, vcc
	v_xor_b32_e32 v4, s28, v4
	v_xor_b32_e32 v5, s28, v6
	v_mov_b32_e32 v6, s28
	v_subrev_co_u32_e32 v4, vcc, s28, v4
	v_subb_co_u32_e32 v5, vcc, v5, v6, vcc
	s_cbranch_execnz .LBB42_54
.LBB42_53:
	v_cvt_f32_u32_e32 v4, s16
	s_sub_i32 s2, 0, s16
	v_rcp_iflag_f32_e32 v4, v4
	v_mul_f32_e32 v4, 0x4f7ffffe, v4
	v_cvt_u32_f32_e32 v4, v4
	v_mul_lo_u32 v5, s2, v4
	v_mul_hi_u32 v5, v4, v5
	v_add_u32_e32 v4, v4, v5
	v_mul_hi_u32 v4, s22, v4
	v_mul_lo_u32 v4, v4, s16
	v_sub_u32_e32 v4, s22, v4
	v_subrev_u32_e32 v5, s16, v4
	v_cmp_le_u32_e32 vcc, s16, v4
	v_cndmask_b32_e32 v4, v4, v5, vcc
	v_subrev_u32_e32 v5, s16, v4
	v_cmp_le_u32_e32 vcc, s16, v4
	v_cndmask_b32_e32 v4, v4, v5, vcc
	v_mov_b32_e32 v5, 0
.LBB42_54:
	s_mov_b32 s4, 0x43e00000
	v_div_scale_f32 v6, s[2:3], s4, s4, v1
	v_rcp_f32_e32 v7, v6
	v_div_scale_f32 v8, vcc, v1, s4, v1
	v_fma_f32 v9, -v6, v7, 1.0
	v_fmac_f32_e32 v7, v9, v7
	v_mul_f32_e32 v9, v8, v7
	v_fma_f32 v10, -v6, v9, v8
	v_fmac_f32_e32 v9, v10, v7
	v_fma_f32 v6, -v6, v9, v8
	v_div_fmas_f32 v6, v6, v7, v9
	v_div_fixup_f32 v1, v6, s4, v1
	v_mov_b32_e32 v6, s23
	v_sub_co_u32_e32 v4, vcc, s22, v4
	v_subb_co_u32_e32 v5, vcc, v6, v5, vcc
	v_mul_lo_u32 v5, v5, v2
	v_mul_lo_u32 v6, v4, v3
	v_mad_u64_u32 v[2:3], s[2:3], v4, v2, 0
	s_lshl_b64 s[2:3], s[6:7], 2
	v_add3_u32 v3, v3, v6, v5
	s_add_u32 s2, s2, s10
	v_lshlrev_b64 v[2:3], 2, v[2:3]
	s_addc_u32 s3, s3, s11
	v_mov_b32_e32 v4, s3
	v_add_co_u32_e32 v2, vcc, s2, v2
	v_max_f32_e32 v1, 0x36924925, v1
	v_addc_co_u32_e32 v3, vcc, v4, v3, vcc
	global_store_dword v[2:3], v1, off
.LBB42_55:
	s_or_b64 exec, exec, s[20:21]
	s_barrier
	s_and_saveexec_b64 s[2:3], s[0:1]
	s_cbranch_execz .LBB42_163
; %bb.56:
	s_add_u32 s1, s16, s48
	s_addc_u32 s2, s17, 0
	s_add_u32 s4, s1, -1
	s_addc_u32 s5, s2, -1
	s_or_b64 s[2:3], s[4:5], s[16:17]
	s_mov_b32 s0, 0
	s_mov_b32 s1, s3
	s_cmp_lg_u64 s[0:1], 0
	s_mov_b64 s[20:21], -1
	s_cbranch_scc0 .LBB42_165
; %bb.57:
	s_ashr_i32 s0, s17, 31
	s_add_u32 s2, s16, s0
	s_mov_b32 s1, s0
	s_addc_u32 s3, s17, s0
	s_xor_b64 s[22:23], s[2:3], s[0:1]
	v_cvt_f32_u32_e32 v1, s22
	v_cvt_f32_u32_e32 v2, s23
	s_sub_u32 s0, 0, s22
	s_subb_u32 s1, 0, s23
	v_madmk_f32 v1, v2, 0x4f800000, v1
	v_rcp_f32_e32 v1, v1
	v_mul_f32_e32 v1, 0x5f7ffffc, v1
	v_mul_f32_e32 v2, 0x2f800000, v1
	v_trunc_f32_e32 v2, v2
	v_madmk_f32 v1, v2, 0xcf800000, v1
	v_cvt_u32_f32_e32 v2, v2
	v_cvt_u32_f32_e32 v1, v1
	v_readfirstlane_b32 s2, v2
	v_readfirstlane_b32 s3, v1
	s_mul_i32 s13, s0, s2
	s_mul_hi_u32 s24, s0, s3
	s_mul_i32 s17, s1, s3
	s_add_i32 s13, s24, s13
	s_add_i32 s13, s13, s17
	s_mul_i32 s25, s0, s3
	s_mul_hi_u32 s17, s3, s13
	s_mul_i32 s24, s3, s13
	s_mul_hi_u32 s3, s3, s25
	s_add_u32 s3, s3, s24
	s_addc_u32 s17, 0, s17
	s_mul_hi_u32 s26, s2, s25
	s_mul_i32 s25, s2, s25
	s_add_u32 s3, s3, s25
	s_mul_hi_u32 s24, s2, s13
	s_addc_u32 s3, s17, s26
	s_addc_u32 s17, s24, 0
	s_mul_i32 s13, s2, s13
	s_add_u32 s3, s3, s13
	s_addc_u32 s13, 0, s17
	v_add_co_u32_e32 v1, vcc, s3, v1
	s_cmp_lg_u64 vcc, 0
	s_addc_u32 s2, s2, s13
	v_readfirstlane_b32 s13, v1
	s_mul_i32 s3, s0, s2
	s_mul_hi_u32 s17, s0, s13
	s_add_i32 s3, s17, s3
	s_mul_i32 s1, s1, s13
	s_add_i32 s3, s3, s1
	s_mul_i32 s0, s0, s13
	s_mul_hi_u32 s17, s2, s0
	s_mul_i32 s24, s2, s0
	s_mul_i32 s26, s13, s3
	s_mul_hi_u32 s0, s13, s0
	s_mul_hi_u32 s25, s13, s3
	s_add_u32 s0, s0, s26
	s_addc_u32 s13, 0, s25
	s_add_u32 s0, s0, s24
	s_mul_hi_u32 s1, s2, s3
	s_addc_u32 s0, s13, s17
	s_addc_u32 s1, s1, 0
	s_mul_i32 s3, s2, s3
	s_add_u32 s0, s0, s3
	s_addc_u32 s1, 0, s1
	v_add_co_u32_e32 v1, vcc, s0, v1
	s_cmp_lg_u64 vcc, 0
	s_addc_u32 s2, s2, s1
	s_ashr_i32 s24, s5, 31
	s_add_u32 s0, s4, s24
	s_mov_b32 s25, s24
	s_addc_u32 s1, s5, s24
	s_xor_b64 s[26:27], s[0:1], s[24:25]
	v_readfirstlane_b32 s3, v1
	s_mul_i32 s1, s26, s2
	s_mul_hi_u32 s13, s26, s3
	s_mul_hi_u32 s0, s26, s2
	s_add_u32 s1, s13, s1
	s_addc_u32 s0, 0, s0
	s_mul_hi_u32 s17, s27, s3
	s_mul_i32 s3, s27, s3
	s_add_u32 s1, s1, s3
	s_mul_hi_u32 s13, s27, s2
	s_addc_u32 s0, s0, s17
	s_addc_u32 s1, s13, 0
	s_mul_i32 s2, s27, s2
	s_add_u32 s0, s0, s2
	s_addc_u32 s1, 0, s1
	s_mul_i32 s1, s22, s1
	s_mul_hi_u32 s2, s22, s0
	s_add_i32 s1, s2, s1
	s_mul_i32 s2, s23, s0
	s_mul_i32 s0, s22, s0
	s_add_i32 s13, s1, s2
	v_mov_b32_e32 v1, s0
	s_sub_i32 s1, s27, s13
	v_sub_co_u32_e32 v1, vcc, s26, v1
	s_cmp_lg_u64 vcc, 0
	s_subb_u32 s17, s1, s23
	v_subrev_co_u32_e64 v2, s[0:1], s22, v1
	s_cmp_lg_u64 s[0:1], 0
	s_subb_u32 s25, s17, 0
	s_cmp_ge_u32 s25, s23
	s_cselect_b32 s26, -1, 0
	v_cmp_le_u32_e64 s[2:3], s22, v2
	s_cmp_eq_u32 s25, s23
	v_cndmask_b32_e64 v3, 0, -1, s[2:3]
	v_mov_b32_e32 v4, s26
	s_cselect_b64 s[2:3], -1, 0
	s_cmp_lg_u64 s[0:1], 0
	v_cndmask_b32_e64 v3, v4, v3, s[2:3]
	s_subb_u32 s2, s17, s23
	v_subrev_co_u32_e64 v4, s[0:1], s22, v2
	s_cmp_lg_u64 s[0:1], 0
	s_subb_u32 s2, s2, 0
	v_cmp_ne_u32_e64 s[0:1], 0, v3
	v_cndmask_b32_e64 v2, v2, v4, s[0:1]
	v_mov_b32_e32 v3, s25
	v_mov_b32_e32 v4, s2
	s_cmp_lg_u64 vcc, 0
	v_cndmask_b32_e64 v3, v3, v4, s[0:1]
	s_subb_u32 s0, s27, s13
	s_cmp_ge_u32 s0, s23
	s_cselect_b32 s1, -1, 0
	v_cmp_le_u32_e32 vcc, s22, v1
	s_cmp_eq_u32 s0, s23
	v_cndmask_b32_e64 v4, 0, -1, vcc
	v_mov_b32_e32 v5, s1
	s_cselect_b64 vcc, -1, 0
	v_cndmask_b32_e32 v4, v5, v4, vcc
	v_cmp_ne_u32_e32 vcc, 0, v4
	v_mov_b32_e32 v5, s0
	v_cndmask_b32_e32 v1, v1, v2, vcc
	v_cndmask_b32_e32 v3, v5, v3, vcc
	v_xor_b32_e32 v1, s24, v1
	v_xor_b32_e32 v3, s24, v3
	v_mov_b32_e32 v4, s24
	v_subrev_co_u32_e32 v2, vcc, s24, v1
	v_subb_co_u32_e32 v3, vcc, v3, v4, vcc
	s_cbranch_execnz .LBB42_59
.LBB42_58:
	v_cvt_f32_u32_e32 v1, s16
	s_sub_i32 s0, 0, s16
	v_mov_b32_e32 v3, 0
	v_rcp_iflag_f32_e32 v1, v1
	v_mul_f32_e32 v1, 0x4f7ffffe, v1
	v_cvt_u32_f32_e32 v1, v1
	v_mul_lo_u32 v2, s0, v1
	v_mul_hi_u32 v2, v1, v2
	v_add_u32_e32 v1, v1, v2
	v_mul_hi_u32 v1, s4, v1
	v_mul_lo_u32 v1, v1, s16
	v_sub_u32_e32 v1, s4, v1
	v_subrev_u32_e32 v2, s16, v1
	v_cmp_le_u32_e32 vcc, s16, v1
	v_cndmask_b32_e32 v1, v1, v2, vcc
	v_subrev_u32_e32 v2, s16, v1
	v_cmp_le_u32_e32 vcc, s16, v1
	v_cndmask_b32_e32 v2, v1, v2, vcc
.LBB42_59:
	s_add_u32 s13, s8, s18
	s_addc_u32 s16, s9, s19
	s_lshl_b64 s[0:1], s[6:7], 2
	s_add_u32 s17, s10, s0
	s_addc_u32 s18, s11, s1
	v_mov_b32_e32 v1, s5
	v_sub_co_u32_e32 v12, vcc, s4, v2
	v_subb_co_u32_e32 v13, vcc, v1, v3, vcc
	s_mul_i32 s19, s47, 3
	s_lshl_b32 s20, s47, 1
	s_mov_b64 s[0:1], 0
	v_mov_b32_e32 v1, 0
	v_mov_b32_e32 v14, s44
	;; [unrolled: 1-line block ×5, first 2 shown]
	s_mov_b32 s21, 0x43f00000
	s_mov_b32 s22, 0x3c7fffff
	;; [unrolled: 1-line block ×4, first 2 shown]
	s_movk_i32 s25, 0x80
	s_movk_i32 s26, 0xff
	s_branch .LBB42_65
.LBB42_60:                              ;   in Loop: Header=BB42_65 Depth=1
	s_or_b64 exec, exec, s[10:11]
.LBB42_61:                              ;   in Loop: Header=BB42_65 Depth=1
	s_or_b64 exec, exec, s[8:9]
	v_and_b32_sdwa v7, v18, s25 dst_sel:DWORD dst_unused:UNUSED_PAD src0_sel:BYTE_3 src1_sel:DWORD
	v_lshrrev_b32_e32 v18, 24, v11
	v_lshlrev_b64 v[10:11], 2, v[0:1]
	v_mov_b32_e32 v0, s16
	v_add_co_u32_e32 v10, vcc, s13, v10
	v_and_b32_sdwa v4, v4, s25 dst_sel:DWORD dst_unused:UNUSED_PAD src0_sel:BYTE_3 src1_sel:DWORD
	v_addc_co_u32_e32 v11, vcc, v0, v11, vcc
	v_lshlrev_b32_e32 v0, 24, v6
	v_and_or_b32 v6, v9, s26, v7
	v_and_b32_e32 v5, 0x80000000, v5
	v_lshlrev_b32_e32 v6, 16, v6
	v_and_or_b32 v3, v3, s26, v4
	v_and_b32_e32 v4, 0xff, v8
	v_or3_b32 v0, v5, v0, v6
	v_lshlrev_b32_e32 v3, 8, v3
	v_and_or_b32 v4, v18, s25, v4
	s_add_i32 s8, s47, s47
	v_or3_b32 v0, v0, v3, v4
	s_add_i32 s8, s8, s47
	global_store_dword v[10:11], v0, off
	v_add_u32_e32 v0, s8, v2
	v_cmp_le_u32_e32 vcc, s12, v0
	s_orn2_b64 s[8:9], vcc, exec
.LBB42_62:                              ;   in Loop: Header=BB42_65 Depth=1
	s_or_b64 exec, exec, s[6:7]
	s_orn2_b64 s[6:7], s[8:9], exec
.LBB42_63:                              ;   in Loop: Header=BB42_65 Depth=1
	s_or_b64 exec, exec, s[4:5]
	s_orn2_b64 s[4:5], s[6:7], exec
.LBB42_64:                              ;   in Loop: Header=BB42_65 Depth=1
	s_or_b64 exec, exec, s[2:3]
	s_and_b64 s[2:3], exec, s[4:5]
	s_or_b64 s[0:1], s[2:3], s[0:1]
	s_andn2_b64 exec, exec, s[0:1]
	s_cbranch_execz .LBB42_163
.LBB42_65:                              ; =>This Inner Loop Header: Depth=1
	v_lshlrev_b64 v[2:3], 3, v[0:1]
	v_add_co_u32_e32 v4, vcc, s33, v2
	v_addc_co_u32_e32 v5, vcc, v14, v3, vcc
	v_add_co_u32_e32 v10, vcc, s45, v2
	v_addc_co_u32_e32 v11, vcc, v16, v3, vcc
	global_load_dwordx2 v[4:5], v[4:5], off
	v_bfe_u32 v19, v0, 5, 25
	global_load_dwordx2 v[6:7], v[10:11], off
	v_add_co_u32_e32 v2, vcc, s14, v2
	v_mad_u64_u32 v[8:9], s[2:3], v12, v19, 0
	v_addc_co_u32_e32 v3, vcc, v15, v3, vcc
	v_mov_b32_e32 v18, v9
	global_load_dwordx2 v[2:3], v[2:3], off
	v_mad_u64_u32 v[18:19], s[2:3], v13, v19, v[18:19]
	v_mov_b32_e32 v9, v18
	v_lshlrev_b64 v[8:9], 2, v[8:9]
	v_add_co_u32_e32 v8, vcc, s17, v8
	v_addc_co_u32_e32 v9, vcc, v17, v9, vcc
	global_load_dword v9, v[8:9], off
	v_mov_b32_e32 v8, 0x7f
	s_waitcnt vmcnt(3)
	v_cvt_f32_f16_e32 v20, v4
	v_cvt_f32_f16_sdwa v21, v4 dst_sel:DWORD dst_unused:UNUSED_PAD src0_sel:WORD_1
	s_waitcnt vmcnt(2)
	v_cvt_f32_f16_e32 v22, v6
	v_cvt_f32_f16_sdwa v23, v6 dst_sel:DWORD dst_unused:UNUSED_PAD src0_sel:WORD_1
	v_cvt_f32_f16_e32 v18, v5
	v_cvt_f32_f16_sdwa v19, v5 dst_sel:DWORD dst_unused:UNUSED_PAD src0_sel:WORD_1
	;; [unrolled: 2-line block ×3, first 2 shown]
	v_pk_add_f32 v[6:7], v[20:21], v[22:23]
	v_cvt_f16_f32_e32 v21, v6
	v_fma_mixlo_f16 v6, v36, v6, 0
	v_pk_add_f32 v[4:5], v[18:19], v[4:5]
	s_waitcnt vmcnt(1)
	v_mul_f16_e32 v6, v2, v6
	v_cvt_f16_f32_e32 v18, v5
	v_cvt_f16_f32_e32 v19, v4
	;; [unrolled: 1-line block ×3, first 2 shown]
	v_cvt_f32_f16_e32 v6, v6
	v_pack_b32_f16 v19, v19, v18
	v_pack_b32_f16 v18, v21, v20
	s_waitcnt vmcnt(0)
	v_div_scale_f32 v20, s[2:3], v9, v9, v6
	v_rcp_f32_e32 v21, v20
	global_store_dwordx2 v[10:11], v[18:19], off
	v_div_scale_f32 v10, vcc, v6, v9, v6
	v_fma_f32 v11, -v20, v21, 1.0
	v_fmac_f32_e32 v21, v11, v21
	v_mul_f32_e32 v11, v10, v21
	v_fma_f32 v18, -v20, v11, v10
	v_fmac_f32_e32 v11, v18, v21
	v_fma_f32 v10, -v20, v11, v10
	v_div_fmas_f32 v10, v10, v21, v11
	v_div_fixup_f32 v6, v10, v9, v6
	v_min_f32_e32 v6, 0x43e00000, v6
	v_max_f32_e32 v10, 0xc3e00000, v6
	v_and_b32_e32 v11, 0x7fffffff, v10
	v_cmp_gt_u32_e32 vcc, s21, v11
	v_mov_b32_e32 v6, 0x7f
	s_and_saveexec_b64 s[2:3], vcc
	s_cbranch_execz .LBB42_71
; %bb.66:                               ;   in Loop: Header=BB42_65 Depth=1
	v_cmp_lt_u32_e32 vcc, s22, v11
                                        ; implicit-def: $vgpr6
	s_and_saveexec_b64 s[4:5], vcc
	s_xor_b64 s[4:5], exec, s[4:5]
; %bb.67:                               ;   in Loop: Header=BB42_65 Depth=1
	v_bfe_u32 v6, v10, 20, 1
	v_add3_u32 v6, v10, v6, s23
	v_lshrrev_b32_e32 v6, 20, v6
; %bb.68:                               ;   in Loop: Header=BB42_65 Depth=1
	s_andn2_saveexec_b64 s[4:5], s[4:5]
; %bb.69:                               ;   in Loop: Header=BB42_65 Depth=1
	v_add_f32_e64 v6, |v10|, s24
; %bb.70:                               ;   in Loop: Header=BB42_65 Depth=1
	s_or_b64 exec, exec, s[4:5]
.LBB42_71:                              ;   in Loop: Header=BB42_65 Depth=1
	s_or_b64 exec, exec, s[2:3]
	v_fma_mixlo_f16 v7, v36, v7, 0
	v_mul_f16_sdwa v2, v2, v7 dst_sel:DWORD dst_unused:UNUSED_PAD src0_sel:WORD_1 src1_sel:DWORD
	v_cvt_f32_f16_e32 v2, v2
	v_div_scale_f32 v7, s[2:3], v9, v9, v2
	v_rcp_f32_e32 v11, v7
	v_div_scale_f32 v18, vcc, v2, v9, v2
	v_fma_f32 v19, -v7, v11, 1.0
	v_fmac_f32_e32 v11, v19, v11
	v_mul_f32_e32 v19, v18, v11
	v_fma_f32 v20, -v7, v19, v18
	v_fmac_f32_e32 v19, v20, v11
	v_fma_f32 v7, -v7, v19, v18
	v_div_fmas_f32 v7, v7, v11, v19
	v_div_fixup_f32 v2, v7, v9, v2
	v_min_f32_e32 v2, 0x43e00000, v2
	v_max_f32_e32 v2, 0xc3e00000, v2
	v_and_b32_e32 v7, 0x7fffffff, v2
	v_cmp_gt_u32_e32 vcc, s21, v7
	s_and_saveexec_b64 s[2:3], vcc
	s_cbranch_execz .LBB42_77
; %bb.72:                               ;   in Loop: Header=BB42_65 Depth=1
	v_cmp_lt_u32_e32 vcc, s22, v7
                                        ; implicit-def: $vgpr8
	s_and_saveexec_b64 s[4:5], vcc
	s_xor_b64 s[4:5], exec, s[4:5]
; %bb.73:                               ;   in Loop: Header=BB42_65 Depth=1
	v_bfe_u32 v7, v2, 20, 1
	v_add3_u32 v7, v2, v7, s23
	v_lshrrev_b32_e32 v8, 20, v7
; %bb.74:                               ;   in Loop: Header=BB42_65 Depth=1
	s_andn2_saveexec_b64 s[4:5], s[4:5]
; %bb.75:                               ;   in Loop: Header=BB42_65 Depth=1
	v_add_f32_e64 v8, |v2|, s24
; %bb.76:                               ;   in Loop: Header=BB42_65 Depth=1
	s_or_b64 exec, exec, s[4:5]
.LBB42_77:                              ;   in Loop: Header=BB42_65 Depth=1
	s_or_b64 exec, exec, s[2:3]
	v_fma_mixlo_f16 v4, v36, v4, 0
	v_mul_f16_e32 v4, v3, v4
	v_cvt_f32_f16_e32 v7, v4
	v_mov_b32_e32 v4, 0x7f
	v_div_scale_f32 v11, s[2:3], v9, v9, v7
	v_rcp_f32_e32 v18, v11
	v_div_scale_f32 v19, vcc, v7, v9, v7
	v_fma_f32 v20, -v11, v18, 1.0
	v_fmac_f32_e32 v18, v20, v18
	v_mul_f32_e32 v20, v19, v18
	v_fma_f32 v21, -v11, v20, v19
	v_fmac_f32_e32 v20, v21, v18
	v_fma_f32 v11, -v11, v20, v19
	v_div_fmas_f32 v11, v11, v18, v20
	v_div_fixup_f32 v7, v11, v9, v7
	v_min_f32_e32 v7, 0x43e00000, v7
	v_max_f32_e32 v11, 0xc3e00000, v7
	v_and_b32_e32 v18, 0x7fffffff, v11
	v_cmp_gt_u32_e32 vcc, s21, v18
	v_mov_b32_e32 v7, 0x7f
	s_and_saveexec_b64 s[2:3], vcc
	s_cbranch_execz .LBB42_83
; %bb.78:                               ;   in Loop: Header=BB42_65 Depth=1
	v_cmp_lt_u32_e32 vcc, s22, v18
                                        ; implicit-def: $vgpr7
	s_and_saveexec_b64 s[4:5], vcc
	s_xor_b64 s[4:5], exec, s[4:5]
; %bb.79:                               ;   in Loop: Header=BB42_65 Depth=1
	v_bfe_u32 v7, v11, 20, 1
	v_add3_u32 v7, v11, v7, s23
	v_lshrrev_b32_e32 v7, 20, v7
; %bb.80:                               ;   in Loop: Header=BB42_65 Depth=1
	s_andn2_saveexec_b64 s[4:5], s[4:5]
; %bb.81:                               ;   in Loop: Header=BB42_65 Depth=1
	v_add_f32_e64 v7, |v11|, s24
; %bb.82:                               ;   in Loop: Header=BB42_65 Depth=1
	s_or_b64 exec, exec, s[4:5]
.LBB42_83:                              ;   in Loop: Header=BB42_65 Depth=1
	s_or_b64 exec, exec, s[2:3]
	v_fma_mixlo_f16 v5, v36, v5, 0
	v_mul_f16_sdwa v3, v3, v5 dst_sel:DWORD dst_unused:UNUSED_PAD src0_sel:WORD_1 src1_sel:DWORD
	v_cvt_f32_f16_e32 v3, v3
	v_div_scale_f32 v5, s[2:3], v9, v9, v3
	v_rcp_f32_e32 v18, v5
	v_div_scale_f32 v19, vcc, v3, v9, v3
	v_fma_f32 v20, -v5, v18, 1.0
	v_fmac_f32_e32 v18, v20, v18
	v_mul_f32_e32 v20, v19, v18
	v_fma_f32 v21, -v5, v20, v19
	v_fmac_f32_e32 v20, v21, v18
	v_fma_f32 v5, -v5, v20, v19
	v_div_fmas_f32 v5, v5, v18, v20
	v_div_fixup_f32 v3, v5, v9, v3
	v_min_f32_e32 v3, 0x43e00000, v3
	v_max_f32_e32 v3, 0xc3e00000, v3
	v_and_b32_e32 v5, 0x7fffffff, v3
	v_cmp_gt_u32_e32 vcc, s21, v5
	s_and_saveexec_b64 s[2:3], vcc
	s_cbranch_execz .LBB42_89
; %bb.84:                               ;   in Loop: Header=BB42_65 Depth=1
	v_cmp_lt_u32_e32 vcc, s22, v5
                                        ; implicit-def: $vgpr4
	s_and_saveexec_b64 s[4:5], vcc
	s_xor_b64 s[4:5], exec, s[4:5]
; %bb.85:                               ;   in Loop: Header=BB42_65 Depth=1
	v_bfe_u32 v4, v3, 20, 1
	v_add3_u32 v4, v3, v4, s23
	v_lshrrev_b32_e32 v4, 20, v4
; %bb.86:                               ;   in Loop: Header=BB42_65 Depth=1
	s_andn2_saveexec_b64 s[4:5], s[4:5]
; %bb.87:                               ;   in Loop: Header=BB42_65 Depth=1
	v_add_f32_e64 v4, |v3|, s24
; %bb.88:                               ;   in Loop: Header=BB42_65 Depth=1
	s_or_b64 exec, exec, s[4:5]
.LBB42_89:                              ;   in Loop: Header=BB42_65 Depth=1
	s_or_b64 exec, exec, s[2:3]
	v_and_b32_sdwa v5, v11, s25 dst_sel:DWORD dst_unused:UNUSED_PAD src0_sel:BYTE_3 src1_sel:DWORD
	v_and_or_b32 v5, v7, s26, v5
	v_and_b32_sdwa v2, v2, s25 dst_sel:DWORD dst_unused:UNUSED_PAD src0_sel:BYTE_3 src1_sel:DWORD
	v_lshlrev_b32_e32 v4, 24, v4
	v_and_b32_e32 v3, 0x80000000, v3
	v_lshlrev_b32_e32 v5, 16, v5
	v_lshrrev_b32_e32 v9, 24, v10
	v_lshlrev_b64 v[10:11], 2, v[0:1]
	v_or3_b32 v3, v3, v4, v5
	v_and_or_b32 v2, v8, s26, v2
	v_and_b32_e32 v4, 0xff, v6
	v_mov_b32_e32 v18, s16
	v_add_co_u32_e32 v10, vcc, s13, v10
	v_lshlrev_b32_e32 v2, 8, v2
	v_and_or_b32 v4, v9, s25, v4
	v_addc_co_u32_e32 v11, vcc, v18, v11, vcc
	v_or3_b32 v2, v3, v2, v4
	global_store_dword v[10:11], v2, off
	v_add_u32_e32 v2, s47, v0
	v_cmp_gt_u32_e32 vcc, s12, v2
	s_mov_b64 s[4:5], -1
	s_and_saveexec_b64 s[2:3], vcc
	s_cbranch_execz .LBB42_64
; %bb.90:                               ;   in Loop: Header=BB42_65 Depth=1
	v_mov_b32_e32 v3, v1
	v_lshlrev_b64 v[4:5], 3, v[2:3]
	v_mov_b32_e32 v7, s44
	v_add_co_u32_e32 v6, vcc, s33, v4
	v_addc_co_u32_e32 v7, vcc, v7, v5, vcc
	v_mov_b32_e32 v8, s46
	v_add_co_u32_e32 v18, vcc, s45, v4
	v_addc_co_u32_e32 v19, vcc, v8, v5, vcc
	global_load_dwordx2 v[6:7], v[6:7], off
	v_mov_b32_e32 v10, s15
	global_load_dwordx2 v[8:9], v[18:19], off
	v_add_co_u32_e32 v4, vcc, s14, v4
	v_bfe_u32 v21, v2, 5, 25
	v_addc_co_u32_e32 v5, vcc, v10, v5, vcc
	v_mad_u64_u32 v[10:11], s[4:5], v12, v21, 0
	v_mov_b32_e32 v20, v11
	global_load_dwordx2 v[4:5], v[4:5], off
	v_mad_u64_u32 v[20:21], s[4:5], v13, v21, v[20:21]
	v_mov_b32_e32 v11, v20
	v_lshlrev_b64 v[10:11], 2, v[10:11]
	v_mov_b32_e32 v20, s18
	v_add_co_u32_e32 v10, vcc, s17, v10
	v_addc_co_u32_e32 v11, vcc, v20, v11, vcc
	global_load_dword v11, v[10:11], off
	v_mov_b32_e32 v10, 0x7f
	s_waitcnt vmcnt(3)
	v_cvt_f32_f16_e32 v22, v6
	v_cvt_f32_f16_sdwa v23, v6 dst_sel:DWORD dst_unused:UNUSED_PAD src0_sel:WORD_1
	s_waitcnt vmcnt(2)
	v_cvt_f32_f16_e32 v24, v8
	v_cvt_f32_f16_sdwa v25, v8 dst_sel:DWORD dst_unused:UNUSED_PAD src0_sel:WORD_1
	v_cvt_f32_f16_e32 v20, v7
	v_cvt_f32_f16_sdwa v21, v7 dst_sel:DWORD dst_unused:UNUSED_PAD src0_sel:WORD_1
	;; [unrolled: 2-line block ×3, first 2 shown]
	v_pk_add_f32 v[8:9], v[22:23], v[24:25]
	v_cvt_f16_f32_e32 v23, v8
	v_fma_mixlo_f16 v8, v36, v8, 0
	v_pk_add_f32 v[6:7], v[20:21], v[6:7]
	s_waitcnt vmcnt(1)
	v_mul_f16_e32 v8, v4, v8
	v_cvt_f16_f32_e32 v20, v7
	v_cvt_f16_f32_e32 v21, v6
	;; [unrolled: 1-line block ×3, first 2 shown]
	v_cvt_f32_f16_e32 v8, v8
	v_pack_b32_f16 v21, v21, v20
	v_pack_b32_f16 v20, v23, v22
	global_store_dwordx2 v[18:19], v[20:21], off
	s_waitcnt vmcnt(1)
	v_div_scale_f32 v22, s[4:5], v11, v11, v8
	v_rcp_f32_e32 v23, v22
	v_div_scale_f32 v18, vcc, v8, v11, v8
	v_fma_f32 v19, -v22, v23, 1.0
	v_fmac_f32_e32 v23, v19, v23
	v_mul_f32_e32 v19, v18, v23
	v_fma_f32 v20, -v22, v19, v18
	v_fmac_f32_e32 v19, v20, v23
	v_fma_f32 v18, -v22, v19, v18
	v_div_fmas_f32 v18, v18, v23, v19
	v_div_fixup_f32 v8, v18, v11, v8
	v_min_f32_e32 v8, 0x43e00000, v8
	v_max_f32_e32 v18, 0xc3e00000, v8
	v_and_b32_e32 v19, 0x7fffffff, v18
	v_cmp_gt_u32_e32 vcc, s21, v19
	v_mov_b32_e32 v8, 0x7f
	s_and_saveexec_b64 s[4:5], vcc
	s_cbranch_execz .LBB42_96
; %bb.91:                               ;   in Loop: Header=BB42_65 Depth=1
	v_cmp_lt_u32_e32 vcc, s22, v19
                                        ; implicit-def: $vgpr8
	s_and_saveexec_b64 s[6:7], vcc
	s_xor_b64 s[6:7], exec, s[6:7]
; %bb.92:                               ;   in Loop: Header=BB42_65 Depth=1
	v_bfe_u32 v8, v18, 20, 1
	v_add3_u32 v8, v18, v8, s23
	v_lshrrev_b32_e32 v8, 20, v8
; %bb.93:                               ;   in Loop: Header=BB42_65 Depth=1
	s_andn2_saveexec_b64 s[6:7], s[6:7]
; %bb.94:                               ;   in Loop: Header=BB42_65 Depth=1
	v_add_f32_e64 v8, |v18|, s24
; %bb.95:                               ;   in Loop: Header=BB42_65 Depth=1
	s_or_b64 exec, exec, s[6:7]
.LBB42_96:                              ;   in Loop: Header=BB42_65 Depth=1
	s_or_b64 exec, exec, s[4:5]
	v_fma_mixlo_f16 v9, v36, v9, 0
	v_mul_f16_sdwa v4, v4, v9 dst_sel:DWORD dst_unused:UNUSED_PAD src0_sel:WORD_1 src1_sel:DWORD
	v_cvt_f32_f16_e32 v4, v4
	v_div_scale_f32 v9, s[4:5], v11, v11, v4
	v_rcp_f32_e32 v19, v9
	v_div_scale_f32 v20, vcc, v4, v11, v4
	v_fma_f32 v21, -v9, v19, 1.0
	v_fmac_f32_e32 v19, v21, v19
	v_mul_f32_e32 v21, v20, v19
	v_fma_f32 v22, -v9, v21, v20
	v_fmac_f32_e32 v21, v22, v19
	v_fma_f32 v9, -v9, v21, v20
	v_div_fmas_f32 v9, v9, v19, v21
	v_div_fixup_f32 v4, v9, v11, v4
	v_min_f32_e32 v4, 0x43e00000, v4
	v_max_f32_e32 v4, 0xc3e00000, v4
	v_and_b32_e32 v9, 0x7fffffff, v4
	v_cmp_gt_u32_e32 vcc, s21, v9
	s_and_saveexec_b64 s[4:5], vcc
	s_cbranch_execz .LBB42_102
; %bb.97:                               ;   in Loop: Header=BB42_65 Depth=1
	v_cmp_lt_u32_e32 vcc, s22, v9
                                        ; implicit-def: $vgpr10
	s_and_saveexec_b64 s[6:7], vcc
	s_xor_b64 s[6:7], exec, s[6:7]
; %bb.98:                               ;   in Loop: Header=BB42_65 Depth=1
	v_bfe_u32 v9, v4, 20, 1
	v_add3_u32 v9, v4, v9, s23
	v_lshrrev_b32_e32 v10, 20, v9
; %bb.99:                               ;   in Loop: Header=BB42_65 Depth=1
	s_andn2_saveexec_b64 s[6:7], s[6:7]
; %bb.100:                              ;   in Loop: Header=BB42_65 Depth=1
	v_add_f32_e64 v10, |v4|, s24
; %bb.101:                              ;   in Loop: Header=BB42_65 Depth=1
	s_or_b64 exec, exec, s[6:7]
.LBB42_102:                             ;   in Loop: Header=BB42_65 Depth=1
	s_or_b64 exec, exec, s[4:5]
	v_fma_mixlo_f16 v6, v36, v6, 0
	v_mul_f16_e32 v6, v5, v6
	v_cvt_f32_f16_e32 v9, v6
	v_mov_b32_e32 v6, 0x7f
	v_div_scale_f32 v19, s[4:5], v11, v11, v9
	v_rcp_f32_e32 v20, v19
	v_div_scale_f32 v21, vcc, v9, v11, v9
	v_fma_f32 v22, -v19, v20, 1.0
	v_fmac_f32_e32 v20, v22, v20
	v_mul_f32_e32 v22, v21, v20
	v_fma_f32 v23, -v19, v22, v21
	v_fmac_f32_e32 v22, v23, v20
	v_fma_f32 v19, -v19, v22, v21
	v_div_fmas_f32 v19, v19, v20, v22
	v_div_fixup_f32 v9, v19, v11, v9
	v_min_f32_e32 v9, 0x43e00000, v9
	v_max_f32_e32 v19, 0xc3e00000, v9
	v_and_b32_e32 v20, 0x7fffffff, v19
	v_cmp_gt_u32_e32 vcc, s21, v20
	v_mov_b32_e32 v9, 0x7f
	s_and_saveexec_b64 s[4:5], vcc
	s_cbranch_execz .LBB42_108
; %bb.103:                              ;   in Loop: Header=BB42_65 Depth=1
	v_cmp_lt_u32_e32 vcc, s22, v20
                                        ; implicit-def: $vgpr9
	s_and_saveexec_b64 s[6:7], vcc
	s_xor_b64 s[6:7], exec, s[6:7]
; %bb.104:                              ;   in Loop: Header=BB42_65 Depth=1
	v_bfe_u32 v9, v19, 20, 1
	v_add3_u32 v9, v19, v9, s23
	v_lshrrev_b32_e32 v9, 20, v9
; %bb.105:                              ;   in Loop: Header=BB42_65 Depth=1
	s_andn2_saveexec_b64 s[6:7], s[6:7]
; %bb.106:                              ;   in Loop: Header=BB42_65 Depth=1
	v_add_f32_e64 v9, |v19|, s24
; %bb.107:                              ;   in Loop: Header=BB42_65 Depth=1
	s_or_b64 exec, exec, s[6:7]
.LBB42_108:                             ;   in Loop: Header=BB42_65 Depth=1
	s_or_b64 exec, exec, s[4:5]
	v_fma_mixlo_f16 v7, v36, v7, 0
	v_mul_f16_sdwa v5, v5, v7 dst_sel:DWORD dst_unused:UNUSED_PAD src0_sel:WORD_1 src1_sel:DWORD
	v_cvt_f32_f16_e32 v5, v5
	v_div_scale_f32 v7, s[4:5], v11, v11, v5
	v_rcp_f32_e32 v20, v7
	v_div_scale_f32 v21, vcc, v5, v11, v5
	v_fma_f32 v22, -v7, v20, 1.0
	v_fmac_f32_e32 v20, v22, v20
	v_mul_f32_e32 v22, v21, v20
	v_fma_f32 v23, -v7, v22, v21
	v_fmac_f32_e32 v22, v23, v20
	v_fma_f32 v7, -v7, v22, v21
	v_div_fmas_f32 v7, v7, v20, v22
	v_div_fixup_f32 v5, v7, v11, v5
	v_min_f32_e32 v5, 0x43e00000, v5
	v_max_f32_e32 v5, 0xc3e00000, v5
	v_and_b32_e32 v7, 0x7fffffff, v5
	v_cmp_gt_u32_e32 vcc, s21, v7
	s_and_saveexec_b64 s[4:5], vcc
	s_cbranch_execz .LBB42_114
; %bb.109:                              ;   in Loop: Header=BB42_65 Depth=1
	v_cmp_lt_u32_e32 vcc, s22, v7
                                        ; implicit-def: $vgpr6
	s_and_saveexec_b64 s[6:7], vcc
	s_xor_b64 s[6:7], exec, s[6:7]
; %bb.110:                              ;   in Loop: Header=BB42_65 Depth=1
	v_bfe_u32 v6, v5, 20, 1
	v_add3_u32 v6, v5, v6, s23
	v_lshrrev_b32_e32 v6, 20, v6
; %bb.111:                              ;   in Loop: Header=BB42_65 Depth=1
	s_andn2_saveexec_b64 s[6:7], s[6:7]
; %bb.112:                              ;   in Loop: Header=BB42_65 Depth=1
	v_add_f32_e64 v6, |v5|, s24
; %bb.113:                              ;   in Loop: Header=BB42_65 Depth=1
	s_or_b64 exec, exec, s[6:7]
.LBB42_114:                             ;   in Loop: Header=BB42_65 Depth=1
	s_or_b64 exec, exec, s[4:5]
	v_and_b32_sdwa v7, v19, s25 dst_sel:DWORD dst_unused:UNUSED_PAD src0_sel:BYTE_3 src1_sel:DWORD
	v_lshrrev_b32_e32 v11, 24, v18
	v_lshlrev_b64 v[18:19], 2, v[2:3]
	v_mov_b32_e32 v3, s16
	v_add_co_u32_e32 v18, vcc, s13, v18
	v_addc_co_u32_e32 v19, vcc, v3, v19, vcc
	v_lshlrev_b32_e32 v3, 24, v6
	v_and_or_b32 v6, v9, s26, v7
	v_and_b32_sdwa v4, v4, s25 dst_sel:DWORD dst_unused:UNUSED_PAD src0_sel:BYTE_3 src1_sel:DWORD
	v_and_b32_e32 v5, 0x80000000, v5
	v_lshlrev_b32_e32 v6, 16, v6
	v_or3_b32 v3, v5, v3, v6
	v_and_or_b32 v4, v10, s26, v4
	v_and_b32_e32 v5, 0xff, v8
	v_lshlrev_b32_e32 v4, 8, v4
	v_and_or_b32 v5, v11, s25, v5
	v_or3_b32 v3, v3, v4, v5
	v_add_u32_e32 v4, s20, v0
	v_cmp_gt_u32_e32 vcc, s12, v4
	s_mov_b64 s[6:7], -1
	global_store_dword v[18:19], v3, off
	s_and_saveexec_b64 s[4:5], vcc
	s_cbranch_execz .LBB42_63
; %bb.115:                              ;   in Loop: Header=BB42_65 Depth=1
	v_mov_b32_e32 v5, v1
	v_lshlrev_b64 v[6:7], 3, v[4:5]
	v_mov_b32_e32 v3, s44
	v_add_co_u32_e32 v8, vcc, s33, v6
	v_addc_co_u32_e32 v9, vcc, v3, v7, vcc
	v_mov_b32_e32 v10, s46
	v_add_co_u32_e32 v20, vcc, s45, v6
	v_addc_co_u32_e32 v21, vcc, v10, v7, vcc
	global_load_dwordx2 v[8:9], v[8:9], off
	v_mov_b32_e32 v3, s15
	global_load_dwordx2 v[10:11], v[20:21], off
	v_add_co_u32_e32 v6, vcc, s14, v6
	v_addc_co_u32_e32 v7, vcc, v3, v7, vcc
	v_bfe_u32 v3, v4, 5, 25
	v_mad_u64_u32 v[18:19], s[6:7], v12, v3, 0
	v_mov_b32_e32 v22, v19
	global_load_dwordx2 v[6:7], v[6:7], off
	v_mad_u64_u32 v[22:23], s[6:7], v13, v3, v[22:23]
	v_mov_b32_e32 v19, v22
	v_lshlrev_b64 v[18:19], 2, v[18:19]
	v_mov_b32_e32 v3, s18
	v_add_co_u32_e32 v18, vcc, s17, v18
	v_addc_co_u32_e32 v19, vcc, v3, v19, vcc
	global_load_dword v18, v[18:19], off
	v_mov_b32_e32 v3, 0x7f
	s_waitcnt vmcnt(3)
	v_cvt_f32_f16_e32 v24, v8
	v_cvt_f32_f16_sdwa v25, v8 dst_sel:DWORD dst_unused:UNUSED_PAD src0_sel:WORD_1
	s_waitcnt vmcnt(2)
	v_cvt_f32_f16_e32 v26, v10
	v_cvt_f32_f16_sdwa v27, v10 dst_sel:DWORD dst_unused:UNUSED_PAD src0_sel:WORD_1
	v_cvt_f32_f16_e32 v22, v9
	v_cvt_f32_f16_sdwa v23, v9 dst_sel:DWORD dst_unused:UNUSED_PAD src0_sel:WORD_1
	;; [unrolled: 2-line block ×3, first 2 shown]
	v_pk_add_f32 v[10:11], v[24:25], v[26:27]
	v_cvt_f16_f32_e32 v25, v10
	v_fma_mixlo_f16 v10, v36, v10, 0
	v_pk_add_f32 v[8:9], v[22:23], v[8:9]
	s_waitcnt vmcnt(1)
	v_mul_f16_e32 v10, v6, v10
	v_cvt_f16_f32_e32 v19, v9
	v_cvt_f16_f32_e32 v22, v8
	v_cvt_f32_f16_e32 v10, v10
	v_cvt_f16_f32_e32 v24, v11
	v_pack_b32_f16 v23, v22, v19
	v_pack_b32_f16 v22, v25, v24
	s_waitcnt vmcnt(0)
	v_div_scale_f32 v19, s[6:7], v18, v18, v10
	v_rcp_f32_e32 v24, v19
	global_store_dwordx2 v[20:21], v[22:23], off
	v_div_scale_f32 v20, vcc, v10, v18, v10
	v_fma_f32 v21, -v19, v24, 1.0
	v_fmac_f32_e32 v24, v21, v24
	v_mul_f32_e32 v21, v20, v24
	v_fma_f32 v22, -v19, v21, v20
	v_fmac_f32_e32 v21, v22, v24
	v_fma_f32 v19, -v19, v21, v20
	v_div_fmas_f32 v19, v19, v24, v21
	v_div_fixup_f32 v10, v19, v18, v10
	v_min_f32_e32 v10, 0x43e00000, v10
	v_max_f32_e32 v19, 0xc3e00000, v10
	v_and_b32_e32 v20, 0x7fffffff, v19
	v_cmp_gt_u32_e32 vcc, s21, v20
	v_mov_b32_e32 v10, 0x7f
	s_and_saveexec_b64 s[6:7], vcc
	s_cbranch_execz .LBB42_121
; %bb.116:                              ;   in Loop: Header=BB42_65 Depth=1
	v_cmp_lt_u32_e32 vcc, s22, v20
                                        ; implicit-def: $vgpr10
	s_and_saveexec_b64 s[8:9], vcc
	s_xor_b64 s[8:9], exec, s[8:9]
; %bb.117:                              ;   in Loop: Header=BB42_65 Depth=1
	v_bfe_u32 v10, v19, 20, 1
	v_add3_u32 v10, v19, v10, s23
	v_lshrrev_b32_e32 v10, 20, v10
; %bb.118:                              ;   in Loop: Header=BB42_65 Depth=1
	s_andn2_saveexec_b64 s[8:9], s[8:9]
; %bb.119:                              ;   in Loop: Header=BB42_65 Depth=1
	v_add_f32_e64 v10, |v19|, s24
; %bb.120:                              ;   in Loop: Header=BB42_65 Depth=1
	s_or_b64 exec, exec, s[8:9]
.LBB42_121:                             ;   in Loop: Header=BB42_65 Depth=1
	s_or_b64 exec, exec, s[6:7]
	v_fma_mixlo_f16 v11, v36, v11, 0
	v_mul_f16_sdwa v6, v6, v11 dst_sel:DWORD dst_unused:UNUSED_PAD src0_sel:WORD_1 src1_sel:DWORD
	v_cvt_f32_f16_e32 v6, v6
	v_div_scale_f32 v11, s[6:7], v18, v18, v6
	v_rcp_f32_e32 v20, v11
	v_div_scale_f32 v21, vcc, v6, v18, v6
	v_fma_f32 v22, -v11, v20, 1.0
	v_fmac_f32_e32 v20, v22, v20
	v_mul_f32_e32 v22, v21, v20
	v_fma_f32 v23, -v11, v22, v21
	v_fmac_f32_e32 v22, v23, v20
	v_fma_f32 v11, -v11, v22, v21
	v_div_fmas_f32 v11, v11, v20, v22
	v_div_fixup_f32 v6, v11, v18, v6
	v_min_f32_e32 v6, 0x43e00000, v6
	v_max_f32_e32 v6, 0xc3e00000, v6
	v_and_b32_e32 v11, 0x7fffffff, v6
	v_cmp_gt_u32_e32 vcc, s21, v11
	s_and_saveexec_b64 s[6:7], vcc
	s_cbranch_execz .LBB42_127
; %bb.122:                              ;   in Loop: Header=BB42_65 Depth=1
	v_cmp_lt_u32_e32 vcc, s22, v11
                                        ; implicit-def: $vgpr3
	s_and_saveexec_b64 s[8:9], vcc
	s_xor_b64 s[8:9], exec, s[8:9]
; %bb.123:                              ;   in Loop: Header=BB42_65 Depth=1
	v_bfe_u32 v3, v6, 20, 1
	v_add3_u32 v3, v6, v3, s23
	v_lshrrev_b32_e32 v3, 20, v3
; %bb.124:                              ;   in Loop: Header=BB42_65 Depth=1
	s_andn2_saveexec_b64 s[8:9], s[8:9]
; %bb.125:                              ;   in Loop: Header=BB42_65 Depth=1
	v_add_f32_e64 v3, |v6|, s24
; %bb.126:                              ;   in Loop: Header=BB42_65 Depth=1
	s_or_b64 exec, exec, s[8:9]
.LBB42_127:                             ;   in Loop: Header=BB42_65 Depth=1
	s_or_b64 exec, exec, s[6:7]
	v_fma_mixlo_f16 v8, v36, v8, 0
	v_mul_f16_e32 v8, v7, v8
	v_cvt_f32_f16_e32 v11, v8
	v_mov_b32_e32 v8, 0x7f
	v_div_scale_f32 v20, s[6:7], v18, v18, v11
	v_rcp_f32_e32 v21, v20
	v_div_scale_f32 v22, vcc, v11, v18, v11
	v_fma_f32 v23, -v20, v21, 1.0
	v_fmac_f32_e32 v21, v23, v21
	v_mul_f32_e32 v23, v22, v21
	v_fma_f32 v24, -v20, v23, v22
	v_fmac_f32_e32 v23, v24, v21
	v_fma_f32 v20, -v20, v23, v22
	v_div_fmas_f32 v20, v20, v21, v23
	v_div_fixup_f32 v11, v20, v18, v11
	v_min_f32_e32 v11, 0x43e00000, v11
	v_max_f32_e32 v20, 0xc3e00000, v11
	v_and_b32_e32 v21, 0x7fffffff, v20
	v_cmp_gt_u32_e32 vcc, s21, v21
	v_mov_b32_e32 v11, 0x7f
	s_and_saveexec_b64 s[6:7], vcc
	s_cbranch_execz .LBB42_133
; %bb.128:                              ;   in Loop: Header=BB42_65 Depth=1
	v_cmp_lt_u32_e32 vcc, s22, v21
                                        ; implicit-def: $vgpr11
	s_and_saveexec_b64 s[8:9], vcc
	s_xor_b64 s[8:9], exec, s[8:9]
; %bb.129:                              ;   in Loop: Header=BB42_65 Depth=1
	v_bfe_u32 v11, v20, 20, 1
	v_add3_u32 v11, v20, v11, s23
	v_lshrrev_b32_e32 v11, 20, v11
; %bb.130:                              ;   in Loop: Header=BB42_65 Depth=1
	s_andn2_saveexec_b64 s[8:9], s[8:9]
; %bb.131:                              ;   in Loop: Header=BB42_65 Depth=1
	v_add_f32_e64 v11, |v20|, s24
; %bb.132:                              ;   in Loop: Header=BB42_65 Depth=1
	s_or_b64 exec, exec, s[8:9]
.LBB42_133:                             ;   in Loop: Header=BB42_65 Depth=1
	s_or_b64 exec, exec, s[6:7]
	v_fma_mixlo_f16 v9, v36, v9, 0
	v_mul_f16_sdwa v7, v7, v9 dst_sel:DWORD dst_unused:UNUSED_PAD src0_sel:WORD_1 src1_sel:DWORD
	v_cvt_f32_f16_e32 v7, v7
	v_div_scale_f32 v9, s[6:7], v18, v18, v7
	v_rcp_f32_e32 v21, v9
	v_div_scale_f32 v22, vcc, v7, v18, v7
	v_fma_f32 v23, -v9, v21, 1.0
	v_fmac_f32_e32 v21, v23, v21
	v_mul_f32_e32 v23, v22, v21
	v_fma_f32 v24, -v9, v23, v22
	v_fmac_f32_e32 v23, v24, v21
	v_fma_f32 v9, -v9, v23, v22
	v_div_fmas_f32 v9, v9, v21, v23
	v_div_fixup_f32 v7, v9, v18, v7
	v_min_f32_e32 v7, 0x43e00000, v7
	v_max_f32_e32 v7, 0xc3e00000, v7
	v_and_b32_e32 v9, 0x7fffffff, v7
	v_cmp_gt_u32_e32 vcc, s21, v9
	s_and_saveexec_b64 s[6:7], vcc
	s_cbranch_execz .LBB42_139
; %bb.134:                              ;   in Loop: Header=BB42_65 Depth=1
	v_cmp_lt_u32_e32 vcc, s22, v9
                                        ; implicit-def: $vgpr8
	s_and_saveexec_b64 s[8:9], vcc
	s_xor_b64 s[8:9], exec, s[8:9]
; %bb.135:                              ;   in Loop: Header=BB42_65 Depth=1
	v_bfe_u32 v8, v7, 20, 1
	v_add3_u32 v8, v7, v8, s23
	v_lshrrev_b32_e32 v8, 20, v8
; %bb.136:                              ;   in Loop: Header=BB42_65 Depth=1
	s_andn2_saveexec_b64 s[8:9], s[8:9]
; %bb.137:                              ;   in Loop: Header=BB42_65 Depth=1
	v_add_f32_e64 v8, |v7|, s24
; %bb.138:                              ;   in Loop: Header=BB42_65 Depth=1
	s_or_b64 exec, exec, s[8:9]
.LBB42_139:                             ;   in Loop: Header=BB42_65 Depth=1
	s_or_b64 exec, exec, s[6:7]
	v_and_b32_sdwa v9, v20, s25 dst_sel:DWORD dst_unused:UNUSED_PAD src0_sel:BYTE_3 src1_sel:DWORD
	v_and_b32_sdwa v6, v6, s25 dst_sel:DWORD dst_unused:UNUSED_PAD src0_sel:BYTE_3 src1_sel:DWORD
	v_lshlrev_b64 v[4:5], 2, v[4:5]
	v_and_or_b32 v9, v11, s26, v9
	v_lshrrev_b32_e32 v18, 24, v19
	v_mov_b32_e32 v19, s16
	v_add_co_u32_e32 v4, vcc, s13, v4
	v_lshlrev_b32_e32 v8, 24, v8
	v_and_b32_e32 v7, 0x80000000, v7
	v_lshlrev_b32_e32 v9, 16, v9
	v_and_or_b32 v3, v3, s26, v6
	v_and_b32_e32 v6, 0xff, v10
	v_addc_co_u32_e32 v5, vcc, v19, v5, vcc
	v_or3_b32 v7, v7, v8, v9
	v_lshlrev_b32_e32 v3, 8, v3
	v_and_or_b32 v6, v18, s25, v6
	v_add_u32_e32 v0, s19, v0
	v_or3_b32 v3, v7, v3, v6
	v_cmp_gt_u32_e32 vcc, s12, v0
	s_mov_b64 s[8:9], -1
	global_store_dword v[4:5], v3, off
	s_and_saveexec_b64 s[6:7], vcc
	s_cbranch_execz .LBB42_62
; %bb.140:                              ;   in Loop: Header=BB42_65 Depth=1
	v_lshlrev_b64 v[4:5], 3, v[0:1]
	v_mov_b32_e32 v3, s44
	v_add_co_u32_e32 v6, vcc, s33, v4
	v_addc_co_u32_e32 v7, vcc, v3, v5, vcc
	v_mov_b32_e32 v8, s46
	v_add_co_u32_e32 v18, vcc, s45, v4
	v_addc_co_u32_e32 v19, vcc, v8, v5, vcc
	global_load_dwordx2 v[6:7], v[6:7], off
	v_mov_b32_e32 v3, s15
	global_load_dwordx2 v[8:9], v[18:19], off
	v_add_co_u32_e32 v4, vcc, s14, v4
	v_addc_co_u32_e32 v5, vcc, v3, v5, vcc
	v_bfe_u32 v3, v0, 5, 25
	v_mad_u64_u32 v[10:11], s[8:9], v12, v3, 0
	v_mov_b32_e32 v20, v11
	global_load_dwordx2 v[4:5], v[4:5], off
	v_mad_u64_u32 v[20:21], s[8:9], v13, v3, v[20:21]
	v_mov_b32_e32 v11, v20
	v_lshlrev_b64 v[10:11], 2, v[10:11]
	v_mov_b32_e32 v3, s18
	v_add_co_u32_e32 v10, vcc, s17, v10
	v_addc_co_u32_e32 v11, vcc, v3, v11, vcc
	global_load_dword v10, v[10:11], off
	v_mov_b32_e32 v3, 0x7f
	s_waitcnt vmcnt(3)
	v_cvt_f32_f16_e32 v22, v6
	v_cvt_f32_f16_sdwa v23, v6 dst_sel:DWORD dst_unused:UNUSED_PAD src0_sel:WORD_1
	s_waitcnt vmcnt(2)
	v_cvt_f32_f16_e32 v24, v8
	v_cvt_f32_f16_sdwa v25, v8 dst_sel:DWORD dst_unused:UNUSED_PAD src0_sel:WORD_1
	v_cvt_f32_f16_e32 v20, v7
	v_cvt_f32_f16_sdwa v21, v7 dst_sel:DWORD dst_unused:UNUSED_PAD src0_sel:WORD_1
	;; [unrolled: 2-line block ×3, first 2 shown]
	v_pk_add_f32 v[8:9], v[22:23], v[24:25]
	v_cvt_f16_f32_e32 v23, v8
	v_fma_mixlo_f16 v8, v36, v8, 0
	v_pk_add_f32 v[6:7], v[20:21], v[6:7]
	s_waitcnt vmcnt(1)
	v_mul_f16_e32 v8, v4, v8
	v_cvt_f16_f32_e32 v11, v7
	v_cvt_f16_f32_e32 v20, v6
	v_cvt_f32_f16_e32 v8, v8
	v_cvt_f16_f32_e32 v22, v9
	v_pack_b32_f16 v21, v20, v11
	v_pack_b32_f16 v20, v23, v22
	s_waitcnt vmcnt(0)
	v_div_scale_f32 v11, s[8:9], v10, v10, v8
	v_rcp_f32_e32 v22, v11
	global_store_dwordx2 v[18:19], v[20:21], off
	v_div_scale_f32 v18, vcc, v8, v10, v8
	v_fma_f32 v19, -v11, v22, 1.0
	v_fmac_f32_e32 v22, v19, v22
	v_mul_f32_e32 v19, v18, v22
	v_fma_f32 v20, -v11, v19, v18
	v_fmac_f32_e32 v19, v20, v22
	v_fma_f32 v11, -v11, v19, v18
	v_div_fmas_f32 v11, v11, v22, v19
	v_div_fixup_f32 v8, v11, v10, v8
	v_min_f32_e32 v8, 0x43e00000, v8
	v_max_f32_e32 v11, 0xc3e00000, v8
	v_and_b32_e32 v18, 0x7fffffff, v11
	v_cmp_gt_u32_e32 vcc, s21, v18
	v_mov_b32_e32 v8, 0x7f
	s_and_saveexec_b64 s[8:9], vcc
	s_cbranch_execz .LBB42_146
; %bb.141:                              ;   in Loop: Header=BB42_65 Depth=1
	v_cmp_lt_u32_e32 vcc, s22, v18
                                        ; implicit-def: $vgpr8
	s_and_saveexec_b64 s[10:11], vcc
	s_xor_b64 s[10:11], exec, s[10:11]
; %bb.142:                              ;   in Loop: Header=BB42_65 Depth=1
	v_bfe_u32 v8, v11, 20, 1
	v_add3_u32 v8, v11, v8, s23
	v_lshrrev_b32_e32 v8, 20, v8
; %bb.143:                              ;   in Loop: Header=BB42_65 Depth=1
	s_andn2_saveexec_b64 s[10:11], s[10:11]
; %bb.144:                              ;   in Loop: Header=BB42_65 Depth=1
	v_add_f32_e64 v8, |v11|, s24
; %bb.145:                              ;   in Loop: Header=BB42_65 Depth=1
	s_or_b64 exec, exec, s[10:11]
.LBB42_146:                             ;   in Loop: Header=BB42_65 Depth=1
	s_or_b64 exec, exec, s[8:9]
	v_fma_mixlo_f16 v9, v36, v9, 0
	v_mul_f16_sdwa v4, v4, v9 dst_sel:DWORD dst_unused:UNUSED_PAD src0_sel:WORD_1 src1_sel:DWORD
	v_cvt_f32_f16_e32 v4, v4
	v_div_scale_f32 v9, s[8:9], v10, v10, v4
	v_rcp_f32_e32 v18, v9
	v_div_scale_f32 v19, vcc, v4, v10, v4
	v_fma_f32 v20, -v9, v18, 1.0
	v_fmac_f32_e32 v18, v20, v18
	v_mul_f32_e32 v20, v19, v18
	v_fma_f32 v21, -v9, v20, v19
	v_fmac_f32_e32 v20, v21, v18
	v_fma_f32 v9, -v9, v20, v19
	v_div_fmas_f32 v9, v9, v18, v20
	v_div_fixup_f32 v4, v9, v10, v4
	v_min_f32_e32 v4, 0x43e00000, v4
	v_max_f32_e32 v4, 0xc3e00000, v4
	v_and_b32_e32 v9, 0x7fffffff, v4
	v_cmp_gt_u32_e32 vcc, s21, v9
	s_and_saveexec_b64 s[8:9], vcc
	s_cbranch_execz .LBB42_152
; %bb.147:                              ;   in Loop: Header=BB42_65 Depth=1
	v_cmp_lt_u32_e32 vcc, s22, v9
                                        ; implicit-def: $vgpr3
	s_and_saveexec_b64 s[10:11], vcc
	s_xor_b64 s[10:11], exec, s[10:11]
; %bb.148:                              ;   in Loop: Header=BB42_65 Depth=1
	v_bfe_u32 v3, v4, 20, 1
	v_add3_u32 v3, v4, v3, s23
	v_lshrrev_b32_e32 v3, 20, v3
; %bb.149:                              ;   in Loop: Header=BB42_65 Depth=1
	s_andn2_saveexec_b64 s[10:11], s[10:11]
; %bb.150:                              ;   in Loop: Header=BB42_65 Depth=1
	v_add_f32_e64 v3, |v4|, s24
; %bb.151:                              ;   in Loop: Header=BB42_65 Depth=1
	s_or_b64 exec, exec, s[10:11]
.LBB42_152:                             ;   in Loop: Header=BB42_65 Depth=1
	s_or_b64 exec, exec, s[8:9]
	v_fma_mixlo_f16 v6, v36, v6, 0
	v_mul_f16_e32 v6, v5, v6
	v_cvt_f32_f16_e32 v9, v6
	v_mov_b32_e32 v6, 0x7f
	v_div_scale_f32 v18, s[8:9], v10, v10, v9
	v_rcp_f32_e32 v19, v18
	v_div_scale_f32 v20, vcc, v9, v10, v9
	v_fma_f32 v21, -v18, v19, 1.0
	v_fmac_f32_e32 v19, v21, v19
	v_mul_f32_e32 v21, v20, v19
	v_fma_f32 v22, -v18, v21, v20
	v_fmac_f32_e32 v21, v22, v19
	v_fma_f32 v18, -v18, v21, v20
	v_div_fmas_f32 v18, v18, v19, v21
	v_div_fixup_f32 v9, v18, v10, v9
	v_min_f32_e32 v9, 0x43e00000, v9
	v_max_f32_e32 v18, 0xc3e00000, v9
	v_and_b32_e32 v19, 0x7fffffff, v18
	v_cmp_gt_u32_e32 vcc, s21, v19
	v_mov_b32_e32 v9, 0x7f
	s_and_saveexec_b64 s[8:9], vcc
	s_cbranch_execz .LBB42_158
; %bb.153:                              ;   in Loop: Header=BB42_65 Depth=1
	v_cmp_lt_u32_e32 vcc, s22, v19
                                        ; implicit-def: $vgpr9
	s_and_saveexec_b64 s[10:11], vcc
	s_xor_b64 s[10:11], exec, s[10:11]
; %bb.154:                              ;   in Loop: Header=BB42_65 Depth=1
	v_bfe_u32 v9, v18, 20, 1
	v_add3_u32 v9, v18, v9, s23
	v_lshrrev_b32_e32 v9, 20, v9
; %bb.155:                              ;   in Loop: Header=BB42_65 Depth=1
	s_andn2_saveexec_b64 s[10:11], s[10:11]
; %bb.156:                              ;   in Loop: Header=BB42_65 Depth=1
	v_add_f32_e64 v9, |v18|, s24
; %bb.157:                              ;   in Loop: Header=BB42_65 Depth=1
	s_or_b64 exec, exec, s[10:11]
.LBB42_158:                             ;   in Loop: Header=BB42_65 Depth=1
	s_or_b64 exec, exec, s[8:9]
	v_fma_mixlo_f16 v7, v36, v7, 0
	v_mul_f16_sdwa v5, v5, v7 dst_sel:DWORD dst_unused:UNUSED_PAD src0_sel:WORD_1 src1_sel:DWORD
	v_cvt_f32_f16_e32 v5, v5
	v_div_scale_f32 v7, s[8:9], v10, v10, v5
	v_rcp_f32_e32 v19, v7
	v_div_scale_f32 v20, vcc, v5, v10, v5
	v_fma_f32 v21, -v7, v19, 1.0
	v_fmac_f32_e32 v19, v21, v19
	v_mul_f32_e32 v21, v20, v19
	v_fma_f32 v22, -v7, v21, v20
	v_fmac_f32_e32 v21, v22, v19
	v_fma_f32 v7, -v7, v21, v20
	v_div_fmas_f32 v7, v7, v19, v21
	v_div_fixup_f32 v5, v7, v10, v5
	v_min_f32_e32 v5, 0x43e00000, v5
	v_max_f32_e32 v5, 0xc3e00000, v5
	v_and_b32_e32 v7, 0x7fffffff, v5
	v_cmp_gt_u32_e32 vcc, s21, v7
	s_and_saveexec_b64 s[8:9], vcc
	s_cbranch_execz .LBB42_61
; %bb.159:                              ;   in Loop: Header=BB42_65 Depth=1
	v_cmp_lt_u32_e32 vcc, s22, v7
                                        ; implicit-def: $vgpr6
	s_and_saveexec_b64 s[10:11], vcc
	s_xor_b64 s[10:11], exec, s[10:11]
; %bb.160:                              ;   in Loop: Header=BB42_65 Depth=1
	v_bfe_u32 v6, v5, 20, 1
	v_add3_u32 v6, v5, v6, s23
	v_lshrrev_b32_e32 v6, 20, v6
; %bb.161:                              ;   in Loop: Header=BB42_65 Depth=1
	s_andn2_saveexec_b64 s[10:11], s[10:11]
	s_cbranch_execz .LBB42_60
; %bb.162:                              ;   in Loop: Header=BB42_65 Depth=1
	v_add_f32_e64 v6, |v5|, s24
	s_branch .LBB42_60
.LBB42_163:
	s_endpgm
.LBB42_164:
                                        ; implicit-def: $vgpr4_vgpr5
	s_andn2_b64 vcc, exec, s[24:25]
	s_cbranch_vccz .LBB42_53
	s_branch .LBB42_54
.LBB42_165:
                                        ; implicit-def: $vgpr2_vgpr3
	s_andn2_b64 vcc, exec, s[20:21]
	s_cbranch_vccz .LBB42_58
	s_branch .LBB42_59
	.section	.rodata,"a",@progbits
	.p2align	6, 0x0
	.amdhsa_kernel _ZN4vllm31rms_norm_per_block_quant_kernelIN3c104HalfENS1_13Float8_e4m3fnELb1ELb1ELi128EEEvPT0_PfPKT_S9_PKffiiPS7_l
		.amdhsa_group_segment_fixed_size 4164
		.amdhsa_private_segment_fixed_size 0
		.amdhsa_kernarg_size 328
		.amdhsa_user_sgpr_count 6
		.amdhsa_user_sgpr_private_segment_buffer 1
		.amdhsa_user_sgpr_dispatch_ptr 0
		.amdhsa_user_sgpr_queue_ptr 0
		.amdhsa_user_sgpr_kernarg_segment_ptr 1
		.amdhsa_user_sgpr_dispatch_id 0
		.amdhsa_user_sgpr_flat_scratch_init 0
		.amdhsa_user_sgpr_kernarg_preload_length 0
		.amdhsa_user_sgpr_kernarg_preload_offset 0
		.amdhsa_user_sgpr_private_segment_size 0
		.amdhsa_uses_dynamic_stack 0
		.amdhsa_system_sgpr_private_segment_wavefront_offset 0
		.amdhsa_system_sgpr_workgroup_id_x 1
		.amdhsa_system_sgpr_workgroup_id_y 0
		.amdhsa_system_sgpr_workgroup_id_z 0
		.amdhsa_system_sgpr_workgroup_info 0
		.amdhsa_system_vgpr_workitem_id 0
		.amdhsa_next_free_vgpr 40
		.amdhsa_next_free_sgpr 49
		.amdhsa_accum_offset 40
		.amdhsa_reserve_vcc 1
		.amdhsa_reserve_flat_scratch 0
		.amdhsa_float_round_mode_32 0
		.amdhsa_float_round_mode_16_64 0
		.amdhsa_float_denorm_mode_32 3
		.amdhsa_float_denorm_mode_16_64 3
		.amdhsa_dx10_clamp 1
		.amdhsa_ieee_mode 1
		.amdhsa_fp16_overflow 0
		.amdhsa_tg_split 0
		.amdhsa_exception_fp_ieee_invalid_op 0
		.amdhsa_exception_fp_denorm_src 0
		.amdhsa_exception_fp_ieee_div_zero 0
		.amdhsa_exception_fp_ieee_overflow 0
		.amdhsa_exception_fp_ieee_underflow 0
		.amdhsa_exception_fp_ieee_inexact 0
		.amdhsa_exception_int_div_zero 0
	.end_amdhsa_kernel
	.section	.text._ZN4vllm31rms_norm_per_block_quant_kernelIN3c104HalfENS1_13Float8_e4m3fnELb1ELb1ELi128EEEvPT0_PfPKT_S9_PKffiiPS7_l,"axG",@progbits,_ZN4vllm31rms_norm_per_block_quant_kernelIN3c104HalfENS1_13Float8_e4m3fnELb1ELb1ELi128EEEvPT0_PfPKT_S9_PKffiiPS7_l,comdat
.Lfunc_end42:
	.size	_ZN4vllm31rms_norm_per_block_quant_kernelIN3c104HalfENS1_13Float8_e4m3fnELb1ELb1ELi128EEEvPT0_PfPKT_S9_PKffiiPS7_l, .Lfunc_end42-_ZN4vllm31rms_norm_per_block_quant_kernelIN3c104HalfENS1_13Float8_e4m3fnELb1ELb1ELi128EEEvPT0_PfPKT_S9_PKffiiPS7_l
                                        ; -- End function
	.section	.AMDGPU.csdata,"",@progbits
; Kernel info:
; codeLenInByte = 10892
; NumSgprs: 53
; NumVgprs: 40
; NumAgprs: 0
; TotalNumVgprs: 40
; ScratchSize: 0
; MemoryBound: 0
; FloatMode: 240
; IeeeMode: 1
; LDSByteSize: 4164 bytes/workgroup (compile time only)
; SGPRBlocks: 6
; VGPRBlocks: 4
; NumSGPRsForWavesPerEU: 53
; NumVGPRsForWavesPerEU: 40
; AccumOffset: 40
; Occupancy: 8
; WaveLimiterHint : 0
; COMPUTE_PGM_RSRC2:SCRATCH_EN: 0
; COMPUTE_PGM_RSRC2:USER_SGPR: 6
; COMPUTE_PGM_RSRC2:TRAP_HANDLER: 0
; COMPUTE_PGM_RSRC2:TGID_X_EN: 1
; COMPUTE_PGM_RSRC2:TGID_Y_EN: 0
; COMPUTE_PGM_RSRC2:TGID_Z_EN: 0
; COMPUTE_PGM_RSRC2:TIDIG_COMP_CNT: 0
; COMPUTE_PGM_RSRC3_GFX90A:ACCUM_OFFSET: 9
; COMPUTE_PGM_RSRC3_GFX90A:TG_SPLIT: 0
	.section	.text._ZN4vllm31rms_norm_per_block_quant_kernelIN3c104HalfENS1_15Float8_e4m3fnuzELb1ELb1ELi128EEEvPT0_PfPKT_S9_PKffiiPS7_l,"axG",@progbits,_ZN4vllm31rms_norm_per_block_quant_kernelIN3c104HalfENS1_15Float8_e4m3fnuzELb1ELb1ELi128EEEvPT0_PfPKT_S9_PKffiiPS7_l,comdat
	.protected	_ZN4vllm31rms_norm_per_block_quant_kernelIN3c104HalfENS1_15Float8_e4m3fnuzELb1ELb1ELi128EEEvPT0_PfPKT_S9_PKffiiPS7_l ; -- Begin function _ZN4vllm31rms_norm_per_block_quant_kernelIN3c104HalfENS1_15Float8_e4m3fnuzELb1ELb1ELi128EEEvPT0_PfPKT_S9_PKffiiPS7_l
	.globl	_ZN4vllm31rms_norm_per_block_quant_kernelIN3c104HalfENS1_15Float8_e4m3fnuzELb1ELb1ELi128EEEvPT0_PfPKT_S9_PKffiiPS7_l
	.p2align	8
	.type	_ZN4vllm31rms_norm_per_block_quant_kernelIN3c104HalfENS1_15Float8_e4m3fnuzELb1ELb1ELi128EEEvPT0_PfPKT_S9_PKffiiPS7_l,@function
_ZN4vllm31rms_norm_per_block_quant_kernelIN3c104HalfENS1_15Float8_e4m3fnuzELb1ELb1ELi128EEEvPT0_PfPKT_S9_PKffiiPS7_l: ; @_ZN4vllm31rms_norm_per_block_quant_kernelIN3c104HalfENS1_15Float8_e4m3fnuzELb1ELb1ELi128EEEvPT0_PfPKT_S9_PKffiiPS7_l
; %bb.0:
	s_load_dwordx4 s[16:19], s[4:5], 0x28
	s_load_dwordx8 s[8:15], s[4:5], 0x0
	s_load_dwordx2 s[0:1], s[4:5], 0x38
	s_load_dword s48, s[4:5], 0x48
	s_mov_b32 s7, 0
	s_waitcnt lgkmcnt(0)
	s_ashr_i32 s2, s18, 31
	s_mul_hi_u32 s3, s18, s6
	s_mul_i32 s2, s2, s6
	s_ashr_i32 s21, s17, 31
	s_add_i32 s3, s3, s2
	s_mul_i32 s2, s18, s6
	s_mul_hi_u32 s18, s17, s6
	s_mul_i32 s19, s21, s6
	s_add_i32 s19, s18, s19
	s_lshl_b64 s[2:3], s[2:3], 1
	s_mul_i32 s18, s17, s6
	s_add_u32 s33, s12, s2
	s_addc_u32 s44, s13, s3
	s_lshl_b64 s[2:3], s[18:19], 1
	s_add_u32 s45, s0, s2
	s_addc_u32 s46, s1, s3
	s_ashr_i32 s12, s17, 2
	s_add_u32 s22, s4, 0x48
	s_mov_b32 s20, s17
	v_cmp_gt_u32_e64 s[0:1], s12, v0
	s_addc_u32 s23, s5, 0
	v_mov_b32_e32 v1, 0
	s_and_saveexec_b64 s[2:3], s[0:1]
	s_cbranch_execz .LBB43_10
; %bb.1:
	s_cmp_lt_u32 s6, s48
	s_cselect_b32 s13, 12, 18
	s_add_u32 s24, s22, s13
	s_addc_u32 s25, s23, 0
	v_mov_b32_e32 v3, 0
	global_load_ushort v8, v3, s[24:25]
	s_mov_b64 s[24:25], 0
	v_mov_b32_e32 v9, s44
	v_mov_b32_e32 v10, s46
	;; [unrolled: 1-line block ×4, first 2 shown]
                                        ; implicit-def: $sgpr26_sgpr27
	s_waitcnt vmcnt(0)
	v_mul_lo_u32 v11, v8, 3
	v_lshlrev_b32_e32 v12, 1, v8
	s_branch .LBB43_5
.LBB43_2:                               ;   in Loop: Header=BB43_5 Depth=1
	s_or_b64 exec, exec, s[34:35]
	s_orn2_b64 s[34:35], s[36:37], exec
.LBB43_3:                               ;   in Loop: Header=BB43_5 Depth=1
	s_or_b64 exec, exec, s[30:31]
	s_andn2_b64 s[26:27], s[26:27], exec
	s_and_b64 s[30:31], s[34:35], exec
	s_or_b64 s[26:27], s[26:27], s[30:31]
.LBB43_4:                               ;   in Loop: Header=BB43_5 Depth=1
	s_or_b64 exec, exec, s[28:29]
	s_and_b64 s[28:29], exec, s[26:27]
	s_or_b64 s[24:25], s[28:29], s[24:25]
	s_andn2_b64 exec, exec, s[24:25]
	s_cbranch_execz .LBB43_9
.LBB43_5:                               ; =>This Inner Loop Header: Depth=1
	v_lshlrev_b64 v[4:5], 3, v[2:3]
	v_add_co_u32_e32 v6, vcc, s33, v4
	v_addc_co_u32_e32 v7, vcc, v9, v5, vcc
	v_add_co_u32_e32 v4, vcc, s45, v4
	v_addc_co_u32_e32 v5, vcc, v10, v5, vcc
	global_load_dwordx2 v[6:7], v[6:7], off
	s_or_b64 s[26:27], s[26:27], exec
	global_load_dwordx2 v[4:5], v[4:5], off
	s_waitcnt vmcnt(1)
	v_cvt_f32_f16_e32 v14, v6
	v_cvt_f32_f16_sdwa v15, v6 dst_sel:DWORD dst_unused:UNUSED_PAD src0_sel:WORD_1
	s_waitcnt vmcnt(0)
	v_cvt_f32_f16_e32 v16, v4
	v_cvt_f32_f16_sdwa v17, v4 dst_sel:DWORD dst_unused:UNUSED_PAD src0_sel:WORD_1
	v_cvt_f32_f16_e32 v6, v7
	v_cvt_f32_f16_sdwa v7, v7 dst_sel:DWORD dst_unused:UNUSED_PAD src0_sel:WORD_1
	;; [unrolled: 2-line block ×3, first 2 shown]
	v_pk_add_f32 v[14:15], v[14:15], v[16:17]
	v_pk_mul_f32 v[14:15], v[14:15], v[14:15]
	v_add_f32_e32 v1, v1, v14
	v_pk_add_f32 v[6:7], v[6:7], v[18:19]
	v_pk_mul_f32 v[6:7], v[6:7], v[6:7]
	v_add_f32_e32 v1, v1, v15
	v_add_u32_e32 v4, v2, v8
	v_add_f32_e32 v1, v1, v6
	v_cmp_gt_u32_e32 vcc, s12, v4
	v_add_f32_e32 v1, v1, v7
	s_and_saveexec_b64 s[28:29], vcc
	s_cbranch_execz .LBB43_4
; %bb.6:                                ;   in Loop: Header=BB43_5 Depth=1
	v_mov_b32_e32 v5, v3
	v_lshlrev_b64 v[6:7], 3, v[4:5]
	v_add_co_u32_e32 v14, vcc, s33, v6
	v_addc_co_u32_e32 v15, vcc, v9, v7, vcc
	v_add_co_u32_e32 v6, vcc, s45, v6
	v_addc_co_u32_e32 v7, vcc, v10, v7, vcc
	global_load_dwordx2 v[14:15], v[14:15], off
	s_mov_b64 s[34:35], -1
	global_load_dwordx2 v[6:7], v[6:7], off
	s_waitcnt vmcnt(1)
	v_cvt_f32_f16_e32 v16, v14
	v_cvt_f32_f16_sdwa v17, v14 dst_sel:DWORD dst_unused:UNUSED_PAD src0_sel:WORD_1
	s_waitcnt vmcnt(0)
	v_cvt_f32_f16_e32 v18, v6
	v_cvt_f32_f16_sdwa v19, v6 dst_sel:DWORD dst_unused:UNUSED_PAD src0_sel:WORD_1
	v_cvt_f32_f16_e32 v14, v15
	v_cvt_f32_f16_sdwa v15, v15 dst_sel:DWORD dst_unused:UNUSED_PAD src0_sel:WORD_1
	;; [unrolled: 2-line block ×3, first 2 shown]
	v_pk_add_f32 v[16:17], v[16:17], v[18:19]
	v_pk_mul_f32 v[16:17], v[16:17], v[16:17]
	v_add_f32_e32 v1, v1, v16
	v_pk_add_f32 v[14:15], v[14:15], v[20:21]
	v_pk_mul_f32 v[14:15], v[14:15], v[14:15]
	v_add_f32_e32 v1, v1, v17
	v_add_u32_e32 v6, v12, v2
	v_add_f32_e32 v1, v1, v14
	v_cmp_gt_u32_e32 vcc, s12, v6
	v_add_f32_e32 v1, v1, v15
	s_and_saveexec_b64 s[30:31], vcc
	s_cbranch_execz .LBB43_3
; %bb.7:                                ;   in Loop: Header=BB43_5 Depth=1
	v_mov_b32_e32 v7, v3
	v_lshlrev_b64 v[6:7], 3, v[6:7]
	v_mov_b32_e32 v5, s44
	v_add_co_u32_e32 v14, vcc, s33, v6
	v_addc_co_u32_e32 v15, vcc, v5, v7, vcc
	v_mov_b32_e32 v5, s46
	v_add_co_u32_e32 v6, vcc, s45, v6
	v_addc_co_u32_e32 v7, vcc, v5, v7, vcc
	global_load_dwordx2 v[14:15], v[14:15], off
	v_add_u32_e32 v2, v11, v2
	global_load_dwordx2 v[6:7], v[6:7], off
	v_cmp_gt_u32_e32 vcc, s12, v2
	s_mov_b64 s[36:37], -1
	s_waitcnt vmcnt(1)
	v_cvt_f32_f16_e32 v16, v14
	v_cvt_f32_f16_sdwa v17, v14 dst_sel:DWORD dst_unused:UNUSED_PAD src0_sel:WORD_1
	s_waitcnt vmcnt(0)
	v_cvt_f32_f16_e32 v18, v6
	v_cvt_f32_f16_sdwa v19, v6 dst_sel:DWORD dst_unused:UNUSED_PAD src0_sel:WORD_1
	v_cvt_f32_f16_e32 v14, v15
	v_cvt_f32_f16_sdwa v15, v15 dst_sel:DWORD dst_unused:UNUSED_PAD src0_sel:WORD_1
	;; [unrolled: 2-line block ×3, first 2 shown]
	v_pk_add_f32 v[16:17], v[16:17], v[18:19]
	v_pk_add_f32 v[6:7], v[14:15], v[6:7]
	v_pk_mul_f32 v[14:15], v[16:17], v[16:17]
	v_add_f32_e32 v1, v1, v14
	v_pk_mul_f32 v[6:7], v[6:7], v[6:7]
	v_add_f32_e32 v1, v1, v15
	v_add_f32_e32 v1, v1, v6
	;; [unrolled: 1-line block ×3, first 2 shown]
	s_and_saveexec_b64 s[34:35], vcc
	s_xor_b64 s[34:35], exec, s[34:35]
	s_cbranch_execz .LBB43_2
; %bb.8:                                ;   in Loop: Header=BB43_5 Depth=1
	v_lshlrev_b64 v[6:7], 3, v[2:3]
	v_mov_b32_e32 v2, s44
	v_add_co_u32_e32 v14, vcc, s33, v6
	v_addc_co_u32_e32 v15, vcc, v2, v7, vcc
	v_mov_b32_e32 v2, s46
	v_add_co_u32_e32 v6, vcc, s45, v6
	v_addc_co_u32_e32 v7, vcc, v2, v7, vcc
	global_load_dwordx2 v[14:15], v[14:15], off
	v_add_u32_e32 v2, v8, v8
	global_load_dwordx2 v[6:7], v[6:7], off
	v_add_u32_e32 v2, v2, v8
	v_add_u32_e32 v2, v2, v4
	v_cmp_le_u32_e32 vcc, s12, v2
	s_orn2_b64 s[36:37], vcc, exec
	s_waitcnt vmcnt(1)
	v_cvt_f32_f16_e32 v16, v14
	v_cvt_f32_f16_sdwa v17, v14 dst_sel:DWORD dst_unused:UNUSED_PAD src0_sel:WORD_1
	s_waitcnt vmcnt(0)
	v_cvt_f32_f16_e32 v18, v6
	v_cvt_f32_f16_sdwa v19, v6 dst_sel:DWORD dst_unused:UNUSED_PAD src0_sel:WORD_1
	v_cvt_f32_f16_e32 v14, v15
	v_cvt_f32_f16_sdwa v15, v15 dst_sel:DWORD dst_unused:UNUSED_PAD src0_sel:WORD_1
	;; [unrolled: 2-line block ×3, first 2 shown]
	v_pk_add_f32 v[4:5], v[16:17], v[18:19]
	v_pk_mul_f32 v[4:5], v[4:5], v[4:5]
	v_add_f32_e32 v1, v1, v4
	v_pk_add_f32 v[6:7], v[14:15], v[6:7]
	v_pk_mul_f32 v[6:7], v[6:7], v[6:7]
	v_add_f32_e32 v1, v1, v5
	v_add_f32_e32 v1, v1, v6
	;; [unrolled: 1-line block ×3, first 2 shown]
	s_branch .LBB43_2
.LBB43_9:
	s_or_b64 exec, exec, s[24:25]
.LBB43_10:
	s_or_b64 exec, exec, s[2:3]
	v_mbcnt_lo_u32_b32 v2, -1, 0
	v_mbcnt_hi_u32_b32 v2, -1, v2
	v_and_b32_e32 v3, 63, v2
	v_cmp_ne_u32_e32 vcc, 63, v3
	s_load_dword s2, s[22:23], 0xc
	v_addc_co_u32_e32 v4, vcc, 0, v2, vcc
	v_lshlrev_b32_e32 v4, 2, v4
	ds_bpermute_b32 v4, v4, v1
	s_waitcnt lgkmcnt(0)
	s_and_b32 s13, s2, 0xffff
	v_and_b32_e32 v5, 0x3c0, v0
	v_sub_u32_e64 v5, s13, v5 clamp
	v_add_u32_e32 v6, 1, v2
	v_add_f32_e32 v4, v1, v4
	v_cmp_lt_u32_e32 vcc, v6, v5
	v_cndmask_b32_e32 v1, v1, v4, vcc
	v_cmp_gt_u32_e32 vcc, 62, v3
	v_cndmask_b32_e64 v4, 0, 1, vcc
	v_lshlrev_b32_e32 v4, 1, v4
	v_add_lshl_u32 v4, v4, v2, 2
	ds_bpermute_b32 v4, v4, v1
	v_add_u32_e32 v6, 2, v2
	v_cmp_lt_u32_e32 vcc, v6, v5
	v_add_u32_e32 v6, 4, v2
	s_waitcnt lgkmcnt(0)
	v_add_f32_e32 v4, v1, v4
	v_cndmask_b32_e32 v1, v1, v4, vcc
	v_cmp_gt_u32_e32 vcc, 60, v3
	v_cndmask_b32_e64 v4, 0, 1, vcc
	v_lshlrev_b32_e32 v4, 2, v4
	v_add_lshl_u32 v4, v4, v2, 2
	ds_bpermute_b32 v4, v4, v1
	v_cmp_lt_u32_e32 vcc, v6, v5
	v_add_u32_e32 v6, 8, v2
	s_waitcnt lgkmcnt(0)
	v_add_f32_e32 v4, v1, v4
	v_cndmask_b32_e32 v1, v1, v4, vcc
	v_cmp_gt_u32_e32 vcc, 56, v3
	v_cndmask_b32_e64 v4, 0, 1, vcc
	v_lshlrev_b32_e32 v4, 3, v4
	v_add_lshl_u32 v4, v4, v2, 2
	ds_bpermute_b32 v4, v4, v1
	;; [unrolled: 10-line block ×3, first 2 shown]
	v_cmp_lt_u32_e32 vcc, v6, v5
	s_waitcnt lgkmcnt(0)
	v_add_f32_e32 v4, v1, v4
	v_cndmask_b32_e32 v1, v1, v4, vcc
	v_cmp_gt_u32_e32 vcc, 32, v3
	v_cndmask_b32_e64 v3, 0, 1, vcc
	v_lshlrev_b32_e32 v3, 5, v3
	v_add_lshl_u32 v3, v3, v2, 2
	ds_bpermute_b32 v3, v3, v1
	v_add_u32_e32 v4, 32, v2
	v_cmp_lt_u32_e32 vcc, v4, v5
	s_waitcnt lgkmcnt(0)
	v_add_f32_e32 v3, v1, v3
	v_cndmask_b32_e32 v1, v1, v3, vcc
	v_cmp_eq_u32_e32 vcc, 0, v2
	s_and_saveexec_b64 s[2:3], vcc
	s_cbranch_execz .LBB43_12
; %bb.11:
	v_lshrrev_b32_e32 v3, 4, v0
	v_and_b32_e32 v3, 60, v3
	ds_write_b32 v3, v1 offset:4096
.LBB43_12:
	s_or_b64 exec, exec, s[2:3]
	v_cmp_gt_u32_e32 vcc, 16, v0
	s_waitcnt lgkmcnt(0)
	s_barrier
	s_and_saveexec_b64 s[24:25], vcc
	s_cbranch_execz .LBB43_14
; %bb.13:
	v_lshlrev_b32_e32 v1, 2, v2
	ds_read_b32 v1, v1 offset:4096
	v_and_b32_e32 v3, 15, v2
	v_cmp_ne_u32_e32 vcc, 15, v3
	v_addc_co_u32_e32 v4, vcc, 0, v2, vcc
	v_lshlrev_b32_e32 v4, 2, v4
	s_waitcnt lgkmcnt(0)
	ds_bpermute_b32 v4, v4, v1
	s_add_i32 s13, s13, 63
	s_lshr_b32 s13, s13, 6
	v_add_u32_e32 v5, 1, v3
	v_cmp_gt_u32_e64 s[2:3], 14, v3
	v_cmp_gt_u32_e32 vcc, s13, v5
	v_cndmask_b32_e64 v5, 0, 1, s[2:3]
	s_waitcnt lgkmcnt(0)
	v_add_f32_e32 v4, v1, v4
	v_lshlrev_b32_e32 v5, 1, v5
	v_cndmask_b32_e32 v4, v1, v4, vcc
	v_add_lshl_u32 v5, v5, v2, 2
	ds_bpermute_b32 v5, v5, v4
	v_add_u32_e32 v6, 2, v3
	v_cmp_gt_u32_e64 s[2:3], s13, v6
	v_add_u32_e32 v6, 4, v3
	s_waitcnt lgkmcnt(0)
	v_add_f32_e32 v5, v4, v5
	v_cndmask_b32_e64 v4, v4, v5, s[2:3]
	v_cmp_gt_u32_e64 s[2:3], 12, v3
	v_cndmask_b32_e64 v5, 0, 1, s[2:3]
	v_lshlrev_b32_e32 v5, 2, v5
	v_add_lshl_u32 v5, v5, v2, 2
	ds_bpermute_b32 v5, v5, v4
	v_cmp_gt_u32_e64 s[2:3], s13, v6
	s_waitcnt lgkmcnt(0)
	v_add_f32_e32 v5, v4, v5
	v_cndmask_b32_e64 v4, v4, v5, s[2:3]
	v_cmp_gt_u32_e64 s[2:3], 8, v3
	v_cndmask_b32_e64 v5, 0, 1, s[2:3]
	v_lshlrev_b32_e32 v5, 3, v5
	v_add_lshl_u32 v2, v5, v2, 2
	ds_bpermute_b32 v2, v2, v4
	v_add_u32_e32 v3, 8, v3
	v_cmp_gt_u32_e64 s[2:3], s13, v3
	s_waitcnt lgkmcnt(0)
	v_add_f32_e32 v2, v4, v2
	v_cndmask_b32_e64 v2, v4, v2, s[2:3]
	v_cndmask_b32_e32 v1, v1, v2, vcc
.LBB43_14:
	s_or_b64 exec, exec, s[24:25]
	v_cmp_eq_u32_e32 vcc, 0, v0
	s_and_saveexec_b64 s[2:3], vcc
	s_cbranch_execz .LBB43_16
; %bb.15:
	v_cvt_f32_i32_e32 v2, s20
	s_mov_b32 s13, 0x800000
	v_div_scale_f32 v3, s[24:25], v2, v2, v1
	v_rcp_f32_e32 v4, v3
	v_div_scale_f32 v5, vcc, v1, v2, v1
	v_fma_f32 v6, -v3, v4, 1.0
	v_fmac_f32_e32 v4, v6, v4
	v_mul_f32_e32 v6, v5, v4
	v_fma_f32 v7, -v3, v6, v5
	v_fmac_f32_e32 v6, v7, v4
	v_fma_f32 v3, -v3, v6, v5
	v_div_fmas_f32 v3, v3, v4, v6
	v_div_fixup_f32 v1, v3, v2, v1
	v_add_f32_e32 v1, s16, v1
	v_mul_f32_e32 v2, 0x4b800000, v1
	v_cmp_gt_f32_e32 vcc, s13, v1
	v_cndmask_b32_e32 v1, v1, v2, vcc
	v_rsq_f32_e32 v1, v1
	v_mul_f32_e32 v2, 0x45800000, v1
	v_cndmask_b32_e32 v1, v1, v2, vcc
	v_mov_b32_e32 v2, 0
	ds_write_b32 v2, v1 offset:4160
.LBB43_16:
	s_or_b64 exec, exec, s[2:3]
	s_ashr_i32 s2, s20, 31
	s_lshr_b32 s2, s2, 25
	s_add_i32 s3, s20, s2
	s_ashr_i32 s2, s3, 7
	s_cmp_lt_u32 s6, s48
	s_cselect_b32 s13, 12, 18
	s_add_u32 s16, s22, s13
	v_mov_b32_e32 v5, 0
	s_addc_u32 s17, s23, 0
	s_waitcnt lgkmcnt(0)
	s_barrier
	global_load_ushort v1, v5, s[16:17]
	ds_read_b32 v36, v5 offset:4160
	s_abs_i32 s13, s2
	v_cvt_f32_u32_e32 v2, s13
	s_sub_i32 s16, 0, s13
	s_ashr_i32 s3, s3, 31
	v_mov_b32_e32 v10, s12
	v_rcp_iflag_f32_e32 v2, v2
	v_mul_f32_e32 v2, 0x4f7ffffe, v2
	v_cvt_u32_f32_e32 v2, v2
	v_readfirstlane_b32 s17, v2
	s_mul_i32 s16, s16, s17
	s_mul_hi_u32 s16, s17, s16
	s_add_i32 s17, s17, s16
	s_waitcnt vmcnt(0)
	v_readfirstlane_b32 s47, v1
	s_mul_hi_u32 s16, s47, s17
	s_mul_i32 s17, s16, s13
	s_sub_i32 s17, s47, s17
	s_add_i32 s22, s16, 1
	s_sub_i32 s23, s17, s13
	s_cmp_ge_u32 s17, s13
	s_cselect_b32 s16, s22, s16
	s_cselect_b32 s17, s23, s17
	s_add_i32 s22, s16, 1
	s_cmp_ge_u32 s17, s13
	s_cselect_b32 s13, s22, s16
	s_xor_b32 s13, s13, s3
	s_sub_i32 s16, s13, s3
	s_abs_i32 s3, s16
	v_cvt_f32_u32_e32 v1, s3
	s_sub_i32 s22, 0, s3
	s_ashr_i32 s17, s16, 31
	s_ashr_i32 s13, s12, 31
	v_rcp_iflag_f32_e32 v1, v1
	v_mov_b32_e32 v11, s13
	v_mul_f32_e32 v1, 0x4f7ffffe, v1
	v_cvt_u32_f32_e32 v1, v1
	v_mul_lo_u32 v2, s22, v1
	v_mul_hi_u32 v2, v1, v2
	v_add_u32_e32 v1, v1, v2
	v_mul_hi_u32 v1, v0, v1
	v_mul_lo_u32 v2, v1, s3
	v_sub_u32_e32 v2, v0, v2
	v_add_u32_e32 v3, 1, v1
	v_cmp_le_u32_e32 vcc, s3, v2
	v_cndmask_b32_e32 v1, v1, v3, vcc
	v_subrev_u32_e32 v3, s3, v2
	v_cndmask_b32_e32 v2, v2, v3, vcc
	v_add_u32_e32 v3, 1, v1
	v_cmp_le_u32_e32 vcc, s3, v2
	v_cndmask_b32_e32 v1, v1, v3, vcc
	v_xor_b32_e32 v1, s17, v1
	v_subrev_u32_e32 v2, s17, v1
	v_mul_lo_u32 v1, v2, s16
	v_ashrrev_i32_e32 v3, 31, v2
	v_sub_u32_e32 v4, v0, v1
	v_lshlrev_b64 v[8:9], 5, v[2:3]
	v_add_co_u32_e32 v6, vcc, v8, v4
	v_addc_co_u32_e32 v7, vcc, 0, v9, vcc
	v_add_co_u32_e32 v8, vcc, 32, v8
	v_addc_co_u32_e32 v9, vcc, 0, v9, vcc
	v_cmp_gt_i64_e32 vcc, s[12:13], v[8:9]
	v_cndmask_b32_e32 v8, v10, v8, vcc
	v_cndmask_b32_e32 v9, v11, v9, vcc
	v_ashrrev_i32_e32 v11, 31, v8
	v_mov_b32_e32 v10, v8
	v_cmp_lt_i64_e32 vcc, v[6:7], v[10:11]
	s_and_saveexec_b64 s[22:23], vcc
	s_cbranch_execz .LBB43_26
; %bb.17:
	v_lshlrev_b64 v[12:13], 8, v[2:3]
	v_lshlrev_b64 v[14:15], 3, v[4:5]
	v_add_co_u32_e32 v12, vcc, v12, v14
	v_addc_co_u32_e32 v1, vcc, v13, v15, vcc
	s_lshl_b64 s[24:25], s[16:17], 5
	s_mul_hi_i32 s3, s16, 3
	s_mul_i32 s13, s16, 3
	s_lshl_b64 s[26:27], s[16:17], 1
	s_lshl_b64 s[30:31], s[16:17], 3
	s_mov_b64 s[28:29], 0
	v_mov_b32_e32 v5, 0
	v_mov_b32_e32 v13, s44
	;; [unrolled: 1-line block ×5, first 2 shown]
	v_pk_mov_b32 v[14:15], v[6:7], v[6:7] op_sel:[0,1]
                                        ; implicit-def: $sgpr34_sgpr35
	s_branch .LBB43_21
.LBB43_18:                              ;   in Loop: Header=BB43_21 Depth=1
	s_or_b64 exec, exec, s[40:41]
	s_orn2_b64 s[40:41], s[42:43], exec
.LBB43_19:                              ;   in Loop: Header=BB43_21 Depth=1
	s_or_b64 exec, exec, s[38:39]
	s_andn2_b64 s[34:35], s[34:35], exec
	s_and_b64 s[38:39], s[40:41], exec
	s_or_b64 s[34:35], s[34:35], s[38:39]
.LBB43_20:                              ;   in Loop: Header=BB43_21 Depth=1
	s_or_b64 exec, exec, s[36:37]
	s_and_b64 s[36:37], exec, s[34:35]
	s_or_b64 s[28:29], s[36:37], s[28:29]
	s_andn2_b64 exec, exec, s[28:29]
	s_cbranch_execz .LBB43_25
.LBB43_21:                              ; =>This Inner Loop Header: Depth=1
	v_add_co_u32_e32 v18, vcc, s33, v12
	v_addc_co_u32_e32 v19, vcc, v13, v1, vcc
	v_add_co_u32_e32 v22, vcc, s45, v12
	v_addc_co_u32_e32 v23, vcc, v25, v1, vcc
	global_load_dwordx2 v[16:17], v[18:19], off
	global_load_dwordx2 v[28:29], v[22:23], off
	v_add_co_u32_e32 v20, vcc, s14, v12
	v_addc_co_u32_e32 v21, vcc, v24, v1, vcc
	global_load_dwordx2 v[30:31], v[20:21], off
	s_or_b64 s[34:35], s[34:35], exec
	s_waitcnt vmcnt(2)
	v_cvt_f32_f16_e32 v27, v16
	v_cvt_f32_f16_sdwa v16, v16 dst_sel:DWORD dst_unused:UNUSED_PAD src0_sel:WORD_1
	s_waitcnt vmcnt(1)
	v_cvt_f32_f16_e32 v33, v28
	v_cvt_f32_f16_sdwa v28, v28 dst_sel:DWORD dst_unused:UNUSED_PAD src0_sel:WORD_1
	v_cvt_f32_f16_e32 v32, v17
	v_cvt_f32_f16_sdwa v17, v17 dst_sel:DWORD dst_unused:UNUSED_PAD src0_sel:WORD_1
	;; [unrolled: 2-line block ×3, first 2 shown]
	v_add_f32_e32 v27, v27, v33
	v_add_f32_e32 v16, v16, v28
	;; [unrolled: 1-line block ×4, first 2 shown]
	s_waitcnt lgkmcnt(0)
	v_fma_mixlo_f16 v27, v36, v27, 0
	v_fma_mixlo_f16 v16, v36, v16, 0
	;; [unrolled: 1-line block ×4, first 2 shown]
	s_waitcnt vmcnt(0)
	v_mul_f16_e32 v27, v30, v27
	v_mul_f16_sdwa v16, v30, v16 dst_sel:DWORD dst_unused:UNUSED_PAD src0_sel:WORD_1 src1_sel:DWORD
	v_mul_f16_e32 v28, v31, v28
	v_mul_f16_sdwa v17, v31, v17 dst_sel:DWORD dst_unused:UNUSED_PAD src0_sel:WORD_1 src1_sel:DWORD
	v_cvt_f32_f16_e64 v27, |v27|
	v_cvt_f32_f16_e64 v29, |v16|
	;; [unrolled: 1-line block ×4, first 2 shown]
	v_add_co_u32_e32 v16, vcc, s16, v14
	v_addc_co_u32_e32 v17, vcc, v15, v26, vcc
	v_max3_f32 v5, v5, v27, v29
	v_cmp_lt_i64_e32 vcc, v[16:17], v[10:11]
	v_max3_f32 v5, v5, v28, v30
	s_and_saveexec_b64 s[36:37], vcc
	s_cbranch_execz .LBB43_20
; %bb.22:                               ;   in Loop: Header=BB43_21 Depth=1
	v_mov_b32_e32 v27, s31
	v_add_co_u32_e32 v18, vcc, s30, v18
	v_addc_co_u32_e32 v19, vcc, v19, v27, vcc
	v_add_co_u32_e32 v22, vcc, s30, v22
	v_addc_co_u32_e32 v23, vcc, v23, v27, vcc
	global_load_dwordx2 v[28:29], v[18:19], off
	global_load_dwordx2 v[30:31], v[22:23], off
	v_add_co_u32_e32 v20, vcc, s30, v20
	v_addc_co_u32_e32 v21, vcc, v21, v27, vcc
	global_load_dwordx2 v[32:33], v[20:21], off
	v_mov_b32_e32 v27, s27
	s_mov_b64 s[40:41], -1
	s_waitcnt vmcnt(2)
	v_cvt_f32_f16_e32 v34, v28
	v_cvt_f32_f16_sdwa v28, v28 dst_sel:DWORD dst_unused:UNUSED_PAD src0_sel:WORD_1
	s_waitcnt vmcnt(1)
	v_cvt_f32_f16_e32 v37, v30
	v_cvt_f32_f16_sdwa v30, v30 dst_sel:DWORD dst_unused:UNUSED_PAD src0_sel:WORD_1
	v_cvt_f32_f16_e32 v35, v29
	v_cvt_f32_f16_sdwa v29, v29 dst_sel:DWORD dst_unused:UNUSED_PAD src0_sel:WORD_1
	;; [unrolled: 2-line block ×3, first 2 shown]
	v_add_f32_e32 v34, v34, v37
	v_add_f32_e32 v28, v28, v30
	;; [unrolled: 1-line block ×4, first 2 shown]
	v_fma_mixlo_f16 v31, v36, v34, 0
	v_fma_mixlo_f16 v28, v36, v28, 0
	;; [unrolled: 1-line block ×4, first 2 shown]
	s_waitcnt vmcnt(0)
	v_mul_f16_e32 v31, v32, v31
	v_mul_f16_sdwa v28, v32, v28 dst_sel:DWORD dst_unused:UNUSED_PAD src0_sel:WORD_1 src1_sel:DWORD
	v_mul_f16_e32 v30, v33, v30
	v_mul_f16_sdwa v29, v33, v29 dst_sel:DWORD dst_unused:UNUSED_PAD src0_sel:WORD_1 src1_sel:DWORD
	v_cvt_f32_f16_e64 v31, |v31|
	v_cvt_f32_f16_e64 v32, |v28|
	;; [unrolled: 1-line block ×4, first 2 shown]
	v_add_co_u32_e32 v28, vcc, s26, v14
	v_addc_co_u32_e32 v29, vcc, v27, v15, vcc
	v_max3_f32 v5, v5, v31, v32
	v_cmp_lt_i64_e32 vcc, v[28:29], v[10:11]
	v_max3_f32 v5, v5, v30, v33
	s_and_saveexec_b64 s[38:39], vcc
	s_cbranch_execz .LBB43_19
; %bb.23:                               ;   in Loop: Header=BB43_21 Depth=1
	v_mov_b32_e32 v27, s31
	v_add_co_u32_e32 v18, vcc, s30, v18
	v_addc_co_u32_e32 v19, vcc, v19, v27, vcc
	v_add_co_u32_e32 v22, vcc, s30, v22
	v_addc_co_u32_e32 v23, vcc, v23, v27, vcc
	global_load_dwordx2 v[28:29], v[18:19], off
	global_load_dwordx2 v[30:31], v[22:23], off
	v_add_co_u32_e32 v20, vcc, s30, v20
	v_addc_co_u32_e32 v21, vcc, v21, v27, vcc
	global_load_dwordx2 v[32:33], v[20:21], off
	v_mov_b32_e32 v27, s3
	v_add_co_u32_e32 v14, vcc, s13, v14
	v_addc_co_u32_e32 v15, vcc, v27, v15, vcc
	v_cmp_lt_i64_e32 vcc, v[14:15], v[10:11]
	s_mov_b64 s[42:43], -1
                                        ; implicit-def: $vgpr14_vgpr15
	s_waitcnt vmcnt(2)
	v_cvt_f32_f16_e32 v34, v28
	v_cvt_f32_f16_sdwa v28, v28 dst_sel:DWORD dst_unused:UNUSED_PAD src0_sel:WORD_1
	s_waitcnt vmcnt(1)
	v_cvt_f32_f16_e32 v37, v30
	v_cvt_f32_f16_sdwa v30, v30 dst_sel:DWORD dst_unused:UNUSED_PAD src0_sel:WORD_1
	v_cvt_f32_f16_e32 v35, v29
	v_cvt_f32_f16_sdwa v29, v29 dst_sel:DWORD dst_unused:UNUSED_PAD src0_sel:WORD_1
	;; [unrolled: 2-line block ×3, first 2 shown]
	v_add_f32_e32 v34, v34, v37
	v_add_f32_e32 v28, v28, v30
	;; [unrolled: 1-line block ×4, first 2 shown]
	v_fma_mixlo_f16 v31, v36, v34, 0
	v_fma_mixlo_f16 v28, v36, v28, 0
	;; [unrolled: 1-line block ×4, first 2 shown]
	s_waitcnt vmcnt(0)
	v_mul_f16_e32 v31, v32, v31
	v_mul_f16_sdwa v28, v32, v28 dst_sel:DWORD dst_unused:UNUSED_PAD src0_sel:WORD_1 src1_sel:DWORD
	v_mul_f16_e32 v30, v33, v30
	v_mul_f16_sdwa v29, v33, v29 dst_sel:DWORD dst_unused:UNUSED_PAD src0_sel:WORD_1 src1_sel:DWORD
	v_cvt_f32_f16_e64 v31, |v31|
	v_cvt_f32_f16_e64 v28, |v28|
	;; [unrolled: 1-line block ×4, first 2 shown]
	v_max3_f32 v5, v5, v31, v28
	v_max3_f32 v5, v5, v30, v29
	s_and_saveexec_b64 s[40:41], vcc
	s_xor_b64 s[40:41], exec, s[40:41]
	s_cbranch_execz .LBB43_18
; %bb.24:                               ;   in Loop: Header=BB43_21 Depth=1
	v_mov_b32_e32 v27, s31
	v_add_co_u32_e32 v14, vcc, s30, v18
	v_addc_co_u32_e32 v15, vcc, v19, v27, vcc
	v_add_co_u32_e32 v18, vcc, s30, v22
	v_addc_co_u32_e32 v19, vcc, v23, v27, vcc
	global_load_dwordx2 v[14:15], v[14:15], off
	v_add_co_u32_e32 v20, vcc, s30, v20
	global_load_dwordx2 v[18:19], v[18:19], off
	v_addc_co_u32_e32 v21, vcc, v21, v27, vcc
	global_load_dwordx2 v[20:21], v[20:21], off
	s_add_u32 s42, s16, s16
	s_addc_u32 s43, s17, s17
	v_mov_b32_e32 v22, s25
	v_add_co_u32_e32 v12, vcc, s24, v12
	s_add_u32 s42, s42, s16
	v_addc_co_u32_e32 v1, vcc, v1, v22, vcc
	s_addc_u32 s43, s43, s17
	v_mov_b32_e32 v22, s43
	s_waitcnt vmcnt(2)
	v_cvt_f32_f16_e32 v23, v14
	v_cvt_f32_f16_sdwa v14, v14 dst_sel:DWORD dst_unused:UNUSED_PAD src0_sel:WORD_1
	v_cvt_f32_f16_e32 v27, v15
	s_waitcnt vmcnt(1)
	v_cvt_f32_f16_e32 v28, v18
	v_cvt_f32_f16_sdwa v18, v18 dst_sel:DWORD dst_unused:UNUSED_PAD src0_sel:WORD_1
	v_cvt_f32_f16_sdwa v15, v15 dst_sel:DWORD dst_unused:UNUSED_PAD src0_sel:WORD_1
	v_cvt_f32_f16_e32 v29, v19
	v_cvt_f32_f16_sdwa v19, v19 dst_sel:DWORD dst_unused:UNUSED_PAD src0_sel:WORD_1
	v_add_f32_e32 v23, v23, v28
	v_add_f32_e32 v14, v14, v18
	;; [unrolled: 1-line block ×4, first 2 shown]
	v_fma_mixlo_f16 v19, v36, v23, 0
	v_fma_mixlo_f16 v14, v36, v14, 0
	;; [unrolled: 1-line block ×4, first 2 shown]
	s_waitcnt vmcnt(0)
	v_mul_f16_e32 v19, v20, v19
	v_mul_f16_sdwa v14, v20, v14 dst_sel:DWORD dst_unused:UNUSED_PAD src0_sel:WORD_1 src1_sel:DWORD
	v_mul_f16_e32 v18, v21, v18
	v_mul_f16_sdwa v15, v21, v15 dst_sel:DWORD dst_unused:UNUSED_PAD src0_sel:WORD_1 src1_sel:DWORD
	v_cvt_f32_f16_e64 v19, |v19|
	v_cvt_f32_f16_e64 v20, |v14|
	;; [unrolled: 1-line block ×4, first 2 shown]
	v_add_co_u32_e32 v14, vcc, s42, v16
	v_addc_co_u32_e32 v15, vcc, v22, v17, vcc
	v_cmp_ge_i64_e32 vcc, v[14:15], v[10:11]
	v_max3_f32 v5, v5, v19, v20
	v_max3_f32 v5, v5, v18, v21
	s_orn2_b64 s[42:43], vcc, exec
	s_branch .LBB43_18
.LBB43_25:
	s_or_b64 exec, exec, s[28:29]
.LBB43_26:
	s_or_b64 exec, exec, s[22:23]
	s_lshr_b32 s13, s47, 6
	v_cvt_f32_u32_e32 v10, s13
	v_lshlrev_b32_e32 v1, 2, v0
	ds_write_b32 v1, v5
	s_sub_i32 s23, 0, s13
	v_rcp_iflag_f32_e32 v5, v10
	s_add_i32 s3, s2, s13
	s_add_i32 s3, s3, -1
	s_ashr_i32 s22, s3, 31
	v_mul_f32_e32 v5, 0x4f7ffffe, v5
	v_cvt_u32_f32_e32 v5, v5
	s_abs_i32 s3, s3
	s_waitcnt lgkmcnt(0)
	s_barrier
	v_readfirstlane_b32 s24, v5
	s_mul_i32 s23, s23, s24
	s_mul_hi_u32 s23, s24, s23
	s_add_i32 s24, s24, s23
	s_mul_hi_u32 s23, s3, s24
	s_mul_i32 s24, s23, s13
	s_sub_i32 s3, s3, s24
	s_add_i32 s24, s23, 1
	s_sub_i32 s25, s3, s13
	s_cmp_ge_u32 s3, s13
	s_cselect_b32 s23, s24, s23
	s_cselect_b32 s3, s25, s3
	s_add_i32 s24, s23, 1
	s_cmp_ge_u32 s3, s13
	s_cselect_b32 s3, s24, s23
	s_xor_b32 s3, s3, s22
	s_sub_i32 s22, s3, s22
	s_ashr_i32 s23, s22, 31
	v_cmp_lt_i64_e64 s[24:25], s[22:23], 1
	s_and_b64 vcc, exec, s[24:25]
	s_cbranch_vccnz .LBB43_48
; %bb.27:
	v_and_b32_e32 v12, 63, v0
	v_add_co_u32_e32 v14, vcc, 32, v12
	v_addc_co_u32_e64 v15, s[24:25], 0, 0, vcc
	v_add_co_u32_e32 v16, vcc, 16, v12
	v_addc_co_u32_e64 v17, s[24:25], 0, 0, vcc
	;; [unrolled: 2-line block ×4, first 2 shown]
	v_add_co_u32_e32 v22, vcc, 2, v12
	v_lshrrev_b32_e32 v10, 6, v0
	v_addc_co_u32_e64 v23, s[24:25], 0, 0, vcc
	v_add_co_u32_e32 v24, vcc, 1, v12
	v_addc_co_u32_e64 v25, s[24:25], 0, 0, vcc
	v_mul_lo_u32 v5, s16, v10
	v_lshlrev_b32_e32 v5, 2, v5
	v_lshlrev_b32_e32 v26, 2, v12
	s_movk_i32 s24, 0x100
	v_mov_b32_e32 v11, 0
	v_add3_u32 v5, v5, v26, s24
	s_mul_i32 s24, s16, s13
	s_ashr_i32 s3, s2, 31
	v_mov_b32_e32 v13, v11
	s_lshl_b32 s36, s24, 2
	s_mov_b64 s[24:25], 0
	v_mov_b32_e32 v37, s13
	s_mov_b64 s[26:27], src_shared_base
	s_branch .LBB43_30
.LBB43_28:                              ;   in Loop: Header=BB43_30 Depth=1
	s_or_b64 exec, exec, s[30:31]
	v_mov_b32_e32 v27, s27
	flat_load_dword v26, v[26:27] glc
	s_waitcnt vmcnt(0)
.LBB43_29:                              ;   in Loop: Header=BB43_30 Depth=1
	s_or_b64 exec, exec, s[28:29]
	s_add_u32 s24, s24, 1
	s_addc_u32 s25, s25, 0
	s_cmp_eq_u64 s[24:25], s[22:23]
	v_add_u32_e32 v5, s36, v5
	s_cbranch_scc1 .LBB43_48
.LBB43_30:                              ; =>This Loop Header: Depth=1
                                        ;     Child Loop BB43_33 Depth 2
	v_mad_u64_u32 v[30:31], s[28:29], s24, v37, v[10:11]
	s_mul_i32 s26, s25, s13
	v_add_u32_e32 v31, s26, v31
	v_cmp_gt_i64_e32 vcc, s[2:3], v[30:31]
	s_and_saveexec_b64 s[28:29], vcc
	s_cbranch_execz .LBB43_29
; %bb.31:                               ;   in Loop: Header=BB43_30 Depth=1
	v_pk_mov_b32 v[32:33], s[16:17], s[16:17] op_sel:[0,1]
	v_mul_lo_u32 v29, v31, s16
	v_mul_lo_u32 v38, v30, s17
	v_mad_u64_u32 v[32:33], s[30:31], v30, s16, v[32:33]
	v_add3_u32 v33, v29, v33, v38
	v_mov_b32_e32 v28, s21
	v_cmp_gt_i64_e32 vcc, s[20:21], v[32:33]
	s_waitcnt lgkmcnt(0)
	v_mad_u64_u32 v[26:27], s[30:31], v30, s16, v[12:13]
	v_cndmask_b32_e32 v33, v28, v33, vcc
	v_mov_b32_e32 v28, s20
	v_add3_u32 v27, v29, v27, v38
	v_cndmask_b32_e32 v32, v28, v32, vcc
	v_add_co_u32_e32 v34, vcc, 64, v26
	v_addc_co_u32_e32 v35, vcc, 0, v27, vcc
	v_cmp_lt_i64_e32 vcc, v[34:35], v[32:33]
	v_lshlrev_b32_e32 v28, 2, v26
	s_and_saveexec_b64 s[30:31], vcc
	s_cbranch_execz .LBB43_34
; %bb.32:                               ;   in Loop: Header=BB43_30 Depth=1
	ds_read_b32 v31, v28
	s_mov_b64 s[34:35], 0
	v_mov_b32_e32 v27, v5
.LBB43_33:                              ;   Parent Loop BB43_30 Depth=1
                                        ; =>  This Inner Loop Header: Depth=2
	ds_read_b32 v39, v27
	v_add_co_u32_e32 v34, vcc, 64, v34
	v_addc_co_u32_e32 v35, vcc, 0, v35, vcc
	s_waitcnt lgkmcnt(1)
	v_max_f32_e32 v31, v31, v31
	v_cmp_ge_i64_e32 vcc, v[34:35], v[32:33]
	s_waitcnt lgkmcnt(0)
	v_max_f32_e32 v39, v39, v39
	v_add_u32_e32 v27, 0x100, v27
	s_or_b64 s[34:35], vcc, s[34:35]
	v_max_f32_e32 v31, v31, v39
	ds_write_b32 v28, v31
	s_andn2_b64 exec, exec, s[34:35]
	s_cbranch_execnz .LBB43_33
.LBB43_34:                              ;   in Loop: Header=BB43_30 Depth=1
	s_or_b64 exec, exec, s[30:31]
	v_mad_u64_u32 v[30:31], s[30:31], v30, s16, 0
	v_add3_u32 v27, v31, v38, v29
	v_sub_co_u32_e32 v30, vcc, v32, v30
	v_subb_co_u32_e32 v31, vcc, v33, v27, vcc
	v_cmp_gt_i64_e32 vcc, 64, v[30:31]
	v_cndmask_b32_e32 v31, 0, v31, vcc
	v_cndmask_b32_e32 v30, 64, v30, vcc
	v_cmp_lt_i64_e32 vcc, v[14:15], v[30:31]
	s_and_saveexec_b64 s[30:31], vcc
	s_cbranch_execnz .LBB43_46
; %bb.35:                               ;   in Loop: Header=BB43_30 Depth=1
	s_or_b64 exec, exec, s[30:31]
	v_cmp_lt_i64_e32 vcc, v[16:17], v[30:31]
	s_and_saveexec_b64 s[30:31], vcc
	s_cbranch_execnz .LBB43_47
.LBB43_36:                              ;   in Loop: Header=BB43_30 Depth=1
	s_or_b64 exec, exec, s[30:31]
	v_cmp_lt_i64_e32 vcc, v[18:19], v[30:31]
	s_and_saveexec_b64 s[30:31], vcc
	s_cbranch_execz .LBB43_38
.LBB43_37:                              ;   in Loop: Header=BB43_30 Depth=1
	v_mov_b32_e32 v29, s27
	v_add_u32_e32 v32, 32, v28
	v_mov_b32_e32 v33, s27
	flat_load_dword v27, v[28:29] glc
	s_waitcnt vmcnt(0)
	flat_load_dword v34, v[32:33] glc
	s_waitcnt vmcnt(0) lgkmcnt(0)
	v_max_f32_e32 v27, v27, v27
	v_max_f32_e32 v32, v34, v34
	;; [unrolled: 1-line block ×3, first 2 shown]
	flat_store_dword v[28:29], v27
	s_waitcnt vmcnt(0)
.LBB43_38:                              ;   in Loop: Header=BB43_30 Depth=1
	s_or_b64 exec, exec, s[30:31]
	v_cmp_ge_i64_e32 vcc, v[20:21], v[30:31]
	s_and_saveexec_b64 s[30:31], vcc
	s_xor_b64 s[30:31], exec, s[30:31]
; %bb.39:                               ;   in Loop: Header=BB43_30 Depth=1
                                        ; implicit-def: $vgpr28
; %bb.40:                               ;   in Loop: Header=BB43_30 Depth=1
	s_andn2_saveexec_b64 s[30:31], s[30:31]
	s_cbranch_execz .LBB43_42
; %bb.41:                               ;   in Loop: Header=BB43_30 Depth=1
	v_mov_b32_e32 v29, s27
	v_add_u32_e32 v32, 16, v28
	v_mov_b32_e32 v33, s27
	flat_load_dword v27, v[28:29] glc
	s_waitcnt vmcnt(0)
	flat_load_dword v34, v[32:33] glc
	s_waitcnt vmcnt(0) lgkmcnt(0)
	v_max_f32_e32 v27, v27, v27
	v_max_f32_e32 v32, v34, v34
	;; [unrolled: 1-line block ×3, first 2 shown]
	flat_store_dword v[28:29], v27
	s_waitcnt vmcnt(0)
.LBB43_42:                              ;   in Loop: Header=BB43_30 Depth=1
	s_or_b64 exec, exec, s[30:31]
	v_cmp_lt_i64_e32 vcc, v[22:23], v[30:31]
	v_lshlrev_b32_e32 v26, 2, v26
	s_and_saveexec_b64 s[30:31], vcc
	s_cbranch_execz .LBB43_44
; %bb.43:                               ;   in Loop: Header=BB43_30 Depth=1
	v_mov_b32_e32 v27, s27
	v_add_u32_e32 v28, 8, v26
	v_mov_b32_e32 v29, s27
	flat_load_dword v32, v[26:27] glc
	s_waitcnt vmcnt(0)
	flat_load_dword v33, v[28:29] glc
	s_waitcnt vmcnt(0) lgkmcnt(0)
	v_max_f32_e32 v28, v32, v32
	v_max_f32_e32 v29, v33, v33
	;; [unrolled: 1-line block ×3, first 2 shown]
	flat_store_dword v[26:27], v28
	s_waitcnt vmcnt(0)
.LBB43_44:                              ;   in Loop: Header=BB43_30 Depth=1
	s_or_b64 exec, exec, s[30:31]
	v_cmp_lt_i64_e32 vcc, v[24:25], v[30:31]
	s_and_saveexec_b64 s[30:31], vcc
	s_cbranch_execz .LBB43_28
; %bb.45:                               ;   in Loop: Header=BB43_30 Depth=1
	v_mov_b32_e32 v27, s27
	v_add_u32_e32 v28, 4, v26
	v_mov_b32_e32 v29, s27
	flat_load_dword v30, v[26:27] glc
	s_waitcnt vmcnt(0)
	flat_load_dword v31, v[28:29] glc
	s_waitcnt vmcnt(0) lgkmcnt(0)
	v_max_f32_e32 v28, v30, v30
	v_max_f32_e32 v29, v31, v31
	v_max_f32_e32 v28, v28, v29
	flat_store_dword v[26:27], v28
	s_waitcnt vmcnt(0)
	s_branch .LBB43_28
.LBB43_46:                              ;   in Loop: Header=BB43_30 Depth=1
	v_mov_b32_e32 v29, s27
	v_add_u32_e32 v32, 0x80, v28
	v_mov_b32_e32 v33, s27
	flat_load_dword v27, v[28:29] glc
	s_waitcnt vmcnt(0)
	flat_load_dword v34, v[32:33] glc
	s_waitcnt vmcnt(0) lgkmcnt(0)
	v_max_f32_e32 v27, v27, v27
	v_max_f32_e32 v32, v34, v34
	;; [unrolled: 1-line block ×3, first 2 shown]
	flat_store_dword v[28:29], v27
	s_waitcnt vmcnt(0)
	s_or_b64 exec, exec, s[30:31]
	v_cmp_lt_i64_e32 vcc, v[16:17], v[30:31]
	s_and_saveexec_b64 s[30:31], vcc
	s_cbranch_execz .LBB43_36
.LBB43_47:                              ;   in Loop: Header=BB43_30 Depth=1
	v_mov_b32_e32 v29, s27
	v_add_u32_e32 v32, 64, v28
	v_mov_b32_e32 v33, s27
	flat_load_dword v27, v[28:29] glc
	s_waitcnt vmcnt(0)
	flat_load_dword v34, v[32:33] glc
	s_waitcnt vmcnt(0) lgkmcnt(0)
	v_max_f32_e32 v27, v27, v27
	v_max_f32_e32 v32, v34, v34
	;; [unrolled: 1-line block ×3, first 2 shown]
	flat_store_dword v[28:29], v27
	s_waitcnt vmcnt(0)
	s_or_b64 exec, exec, s[30:31]
	v_cmp_lt_i64_e32 vcc, v[18:19], v[30:31]
	s_and_saveexec_b64 s[30:31], vcc
	s_cbranch_execnz .LBB43_37
	s_branch .LBB43_38
.LBB43_48:
	s_load_dwordx2 s[16:17], s[4:5], 0x40
	v_cmp_eq_u32_e32 vcc, 0, v4
	v_cmp_lt_i64_e64 s[2:3], v[6:7], v[8:9]
	s_and_b64 s[2:3], vcc, s[2:3]
	s_waitcnt lgkmcnt(0)
	s_barrier
	s_and_saveexec_b64 s[20:21], s[2:3]
	s_cbranch_execz .LBB43_55
; %bb.49:
	s_load_dwordx2 s[2:3], s[4:5], 0x20
	ds_read_b32 v1, v1
	s_waitcnt lgkmcnt(0)
	s_cmp_eq_u64 s[2:3], 0
	s_cbranch_scc1 .LBB43_51
; %bb.50:
	s_load_dword s2, s[2:3], 0x0
	v_max_f32_e32 v1, v1, v1
	s_waitcnt lgkmcnt(0)
	v_max_f32_e64 v4, s2, s2
	v_min_f32_e32 v1, v1, v4
.LBB43_51:
	s_add_u32 s3, s16, s48
	s_addc_u32 s4, s17, 0
	s_add_u32 s22, s3, -1
	s_addc_u32 s23, s4, -1
	s_or_b64 s[4:5], s[22:23], s[16:17]
	s_mov_b32 s2, 0
	s_mov_b32 s3, s5
	s_cmp_lg_u64 s[2:3], 0
	s_mov_b64 s[24:25], -1
	s_cbranch_scc0 .LBB43_196
; %bb.52:
	s_ashr_i32 s2, s17, 31
	s_add_u32 s4, s16, s2
	s_mov_b32 s3, s2
	s_addc_u32 s5, s17, s2
	s_xor_b64 s[26:27], s[4:5], s[2:3]
	v_cvt_f32_u32_e32 v4, s26
	v_cvt_f32_u32_e32 v5, s27
	s_sub_u32 s2, 0, s26
	s_subb_u32 s3, 0, s27
	v_madmk_f32 v4, v5, 0x4f800000, v4
	v_rcp_f32_e32 v4, v4
	v_mul_f32_e32 v4, 0x5f7ffffc, v4
	v_mul_f32_e32 v5, 0x2f800000, v4
	v_trunc_f32_e32 v5, v5
	v_madmk_f32 v4, v5, 0xcf800000, v4
	v_cvt_u32_f32_e32 v5, v5
	v_cvt_u32_f32_e32 v4, v4
	v_readfirstlane_b32 s4, v5
	v_readfirstlane_b32 s5, v4
	s_mul_i32 s13, s2, s4
	s_mul_hi_u32 s29, s2, s5
	s_mul_i32 s28, s3, s5
	s_add_i32 s13, s29, s13
	s_add_i32 s13, s13, s28
	s_mul_i32 s30, s2, s5
	s_mul_hi_u32 s28, s5, s13
	s_mul_i32 s29, s5, s13
	s_mul_hi_u32 s5, s5, s30
	s_add_u32 s5, s5, s29
	s_addc_u32 s28, 0, s28
	s_mul_hi_u32 s31, s4, s30
	s_mul_i32 s30, s4, s30
	s_add_u32 s5, s5, s30
	s_mul_hi_u32 s29, s4, s13
	s_addc_u32 s5, s28, s31
	s_addc_u32 s28, s29, 0
	s_mul_i32 s13, s4, s13
	s_add_u32 s5, s5, s13
	s_addc_u32 s13, 0, s28
	v_add_co_u32_e32 v4, vcc, s5, v4
	s_cmp_lg_u64 vcc, 0
	s_addc_u32 s4, s4, s13
	v_readfirstlane_b32 s13, v4
	s_mul_i32 s5, s2, s4
	s_mul_hi_u32 s28, s2, s13
	s_add_i32 s5, s28, s5
	s_mul_i32 s3, s3, s13
	s_add_i32 s5, s5, s3
	s_mul_i32 s2, s2, s13
	s_mul_hi_u32 s28, s4, s2
	s_mul_i32 s29, s4, s2
	s_mul_i32 s31, s13, s5
	s_mul_hi_u32 s2, s13, s2
	s_mul_hi_u32 s30, s13, s5
	s_add_u32 s2, s2, s31
	s_addc_u32 s13, 0, s30
	s_add_u32 s2, s2, s29
	s_mul_hi_u32 s3, s4, s5
	s_addc_u32 s2, s13, s28
	s_addc_u32 s3, s3, 0
	s_mul_i32 s5, s4, s5
	s_add_u32 s2, s2, s5
	s_addc_u32 s3, 0, s3
	v_add_co_u32_e32 v4, vcc, s2, v4
	s_cmp_lg_u64 vcc, 0
	s_addc_u32 s4, s4, s3
	s_ashr_i32 s28, s23, 31
	s_add_u32 s2, s22, s28
	s_mov_b32 s29, s28
	s_addc_u32 s3, s23, s28
	s_xor_b64 s[30:31], s[2:3], s[28:29]
	v_readfirstlane_b32 s5, v4
	s_mul_i32 s3, s30, s4
	s_mul_hi_u32 s13, s30, s5
	s_mul_hi_u32 s2, s30, s4
	s_add_u32 s3, s13, s3
	s_addc_u32 s2, 0, s2
	s_mul_hi_u32 s29, s31, s5
	s_mul_i32 s5, s31, s5
	s_add_u32 s3, s3, s5
	s_mul_hi_u32 s13, s31, s4
	s_addc_u32 s2, s2, s29
	s_addc_u32 s3, s13, 0
	s_mul_i32 s4, s31, s4
	s_add_u32 s2, s2, s4
	s_addc_u32 s3, 0, s3
	s_mul_i32 s3, s26, s3
	s_mul_hi_u32 s4, s26, s2
	s_add_i32 s3, s4, s3
	s_mul_i32 s4, s27, s2
	s_mul_i32 s2, s26, s2
	s_add_i32 s13, s3, s4
	v_mov_b32_e32 v4, s2
	s_sub_i32 s3, s31, s13
	v_sub_co_u32_e32 v4, vcc, s30, v4
	s_cmp_lg_u64 vcc, 0
	s_subb_u32 s29, s3, s27
	v_subrev_co_u32_e64 v5, s[2:3], s26, v4
	s_cmp_lg_u64 s[2:3], 0
	s_subb_u32 s30, s29, 0
	s_cmp_ge_u32 s30, s27
	s_cselect_b32 s34, -1, 0
	v_cmp_le_u32_e64 s[4:5], s26, v5
	s_cmp_eq_u32 s30, s27
	v_cndmask_b32_e64 v6, 0, -1, s[4:5]
	v_mov_b32_e32 v7, s34
	s_cselect_b64 s[4:5], -1, 0
	s_cmp_lg_u64 s[2:3], 0
	v_cndmask_b32_e64 v6, v7, v6, s[4:5]
	s_subb_u32 s4, s29, s27
	v_subrev_co_u32_e64 v7, s[2:3], s26, v5
	s_cmp_lg_u64 s[2:3], 0
	s_subb_u32 s4, s4, 0
	v_cmp_ne_u32_e64 s[2:3], 0, v6
	v_cndmask_b32_e64 v5, v5, v7, s[2:3]
	v_mov_b32_e32 v6, s30
	v_mov_b32_e32 v7, s4
	s_cmp_lg_u64 vcc, 0
	v_cndmask_b32_e64 v6, v6, v7, s[2:3]
	s_subb_u32 s2, s31, s13
	s_cmp_ge_u32 s2, s27
	s_cselect_b32 s3, -1, 0
	v_cmp_le_u32_e32 vcc, s26, v4
	s_cmp_eq_u32 s2, s27
	v_cndmask_b32_e64 v7, 0, -1, vcc
	v_mov_b32_e32 v8, s3
	s_cselect_b64 vcc, -1, 0
	v_cndmask_b32_e32 v7, v8, v7, vcc
	v_cmp_ne_u32_e32 vcc, 0, v7
	v_mov_b32_e32 v8, s2
	v_cndmask_b32_e32 v4, v4, v5, vcc
	v_cndmask_b32_e32 v6, v8, v6, vcc
	v_xor_b32_e32 v4, s28, v4
	v_xor_b32_e32 v5, s28, v6
	v_mov_b32_e32 v6, s28
	v_subrev_co_u32_e32 v4, vcc, s28, v4
	v_subb_co_u32_e32 v5, vcc, v5, v6, vcc
	s_cbranch_execnz .LBB43_54
.LBB43_53:
	v_cvt_f32_u32_e32 v4, s16
	s_sub_i32 s2, 0, s16
	v_rcp_iflag_f32_e32 v4, v4
	v_mul_f32_e32 v4, 0x4f7ffffe, v4
	v_cvt_u32_f32_e32 v4, v4
	v_mul_lo_u32 v5, s2, v4
	v_mul_hi_u32 v5, v4, v5
	v_add_u32_e32 v4, v4, v5
	v_mul_hi_u32 v4, s22, v4
	v_mul_lo_u32 v4, v4, s16
	v_sub_u32_e32 v4, s22, v4
	v_subrev_u32_e32 v5, s16, v4
	v_cmp_le_u32_e32 vcc, s16, v4
	v_cndmask_b32_e32 v4, v4, v5, vcc
	v_subrev_u32_e32 v5, s16, v4
	v_cmp_le_u32_e32 vcc, s16, v4
	v_cndmask_b32_e32 v4, v4, v5, vcc
	v_mov_b32_e32 v5, 0
.LBB43_54:
	s_mov_b32 s4, 0x43600000
	v_div_scale_f32 v6, s[2:3], s4, s4, v1
	v_rcp_f32_e32 v7, v6
	v_div_scale_f32 v8, vcc, v1, s4, v1
	v_fma_f32 v9, -v6, v7, 1.0
	v_fmac_f32_e32 v7, v9, v7
	v_mul_f32_e32 v9, v8, v7
	v_fma_f32 v10, -v6, v9, v8
	v_fmac_f32_e32 v9, v10, v7
	v_fma_f32 v6, -v6, v9, v8
	v_div_fmas_f32 v6, v6, v7, v9
	v_div_fixup_f32 v1, v6, s4, v1
	v_mov_b32_e32 v6, s23
	v_sub_co_u32_e32 v4, vcc, s22, v4
	v_subb_co_u32_e32 v5, vcc, v6, v5, vcc
	v_mul_lo_u32 v5, v5, v2
	v_mul_lo_u32 v6, v4, v3
	v_mad_u64_u32 v[2:3], s[2:3], v4, v2, 0
	s_lshl_b64 s[2:3], s[6:7], 2
	v_add3_u32 v3, v3, v6, v5
	s_add_u32 s2, s2, s10
	v_lshlrev_b64 v[2:3], 2, v[2:3]
	s_addc_u32 s3, s3, s11
	v_mov_b32_e32 v4, s3
	v_add_co_u32_e32 v2, vcc, s2, v2
	v_max_f32_e32 v1, 0x37124925, v1
	v_addc_co_u32_e32 v3, vcc, v4, v3, vcc
	global_store_dword v[2:3], v1, off
.LBB43_55:
	s_or_b64 exec, exec, s[20:21]
	s_barrier
	s_and_saveexec_b64 s[2:3], s[0:1]
	s_cbranch_execz .LBB43_195
; %bb.56:
	s_add_u32 s1, s16, s48
	s_addc_u32 s2, s17, 0
	s_add_u32 s4, s1, -1
	s_addc_u32 s5, s2, -1
	s_or_b64 s[2:3], s[4:5], s[16:17]
	s_mov_b32 s0, 0
	s_mov_b32 s1, s3
	s_cmp_lg_u64 s[0:1], 0
	s_mov_b64 s[20:21], -1
	s_cbranch_scc0 .LBB43_197
; %bb.57:
	s_ashr_i32 s0, s17, 31
	s_add_u32 s2, s16, s0
	s_mov_b32 s1, s0
	s_addc_u32 s3, s17, s0
	s_xor_b64 s[22:23], s[2:3], s[0:1]
	v_cvt_f32_u32_e32 v1, s22
	v_cvt_f32_u32_e32 v2, s23
	s_sub_u32 s0, 0, s22
	s_subb_u32 s1, 0, s23
	v_madmk_f32 v1, v2, 0x4f800000, v1
	v_rcp_f32_e32 v1, v1
	v_mul_f32_e32 v1, 0x5f7ffffc, v1
	v_mul_f32_e32 v2, 0x2f800000, v1
	v_trunc_f32_e32 v2, v2
	v_madmk_f32 v1, v2, 0xcf800000, v1
	v_cvt_u32_f32_e32 v2, v2
	v_cvt_u32_f32_e32 v1, v1
	v_readfirstlane_b32 s2, v2
	v_readfirstlane_b32 s3, v1
	s_mul_i32 s13, s0, s2
	s_mul_hi_u32 s24, s0, s3
	s_mul_i32 s17, s1, s3
	s_add_i32 s13, s24, s13
	s_add_i32 s13, s13, s17
	s_mul_i32 s25, s0, s3
	s_mul_hi_u32 s17, s3, s13
	s_mul_i32 s24, s3, s13
	s_mul_hi_u32 s3, s3, s25
	s_add_u32 s3, s3, s24
	s_addc_u32 s17, 0, s17
	s_mul_hi_u32 s26, s2, s25
	s_mul_i32 s25, s2, s25
	s_add_u32 s3, s3, s25
	s_mul_hi_u32 s24, s2, s13
	s_addc_u32 s3, s17, s26
	s_addc_u32 s17, s24, 0
	s_mul_i32 s13, s2, s13
	s_add_u32 s3, s3, s13
	s_addc_u32 s13, 0, s17
	v_add_co_u32_e32 v1, vcc, s3, v1
	s_cmp_lg_u64 vcc, 0
	s_addc_u32 s2, s2, s13
	v_readfirstlane_b32 s13, v1
	s_mul_i32 s3, s0, s2
	s_mul_hi_u32 s17, s0, s13
	s_add_i32 s3, s17, s3
	s_mul_i32 s1, s1, s13
	s_add_i32 s3, s3, s1
	s_mul_i32 s0, s0, s13
	s_mul_hi_u32 s17, s2, s0
	s_mul_i32 s24, s2, s0
	s_mul_i32 s26, s13, s3
	s_mul_hi_u32 s0, s13, s0
	s_mul_hi_u32 s25, s13, s3
	s_add_u32 s0, s0, s26
	s_addc_u32 s13, 0, s25
	s_add_u32 s0, s0, s24
	s_mul_hi_u32 s1, s2, s3
	s_addc_u32 s0, s13, s17
	s_addc_u32 s1, s1, 0
	s_mul_i32 s3, s2, s3
	s_add_u32 s0, s0, s3
	s_addc_u32 s1, 0, s1
	v_add_co_u32_e32 v1, vcc, s0, v1
	s_cmp_lg_u64 vcc, 0
	s_addc_u32 s2, s2, s1
	s_ashr_i32 s24, s5, 31
	s_add_u32 s0, s4, s24
	s_mov_b32 s25, s24
	s_addc_u32 s1, s5, s24
	s_xor_b64 s[26:27], s[0:1], s[24:25]
	v_readfirstlane_b32 s3, v1
	s_mul_i32 s1, s26, s2
	s_mul_hi_u32 s13, s26, s3
	s_mul_hi_u32 s0, s26, s2
	s_add_u32 s1, s13, s1
	s_addc_u32 s0, 0, s0
	s_mul_hi_u32 s17, s27, s3
	s_mul_i32 s3, s27, s3
	s_add_u32 s1, s1, s3
	s_mul_hi_u32 s13, s27, s2
	s_addc_u32 s0, s0, s17
	s_addc_u32 s1, s13, 0
	s_mul_i32 s2, s27, s2
	s_add_u32 s0, s0, s2
	s_addc_u32 s1, 0, s1
	s_mul_i32 s1, s22, s1
	s_mul_hi_u32 s2, s22, s0
	s_add_i32 s1, s2, s1
	s_mul_i32 s2, s23, s0
	s_mul_i32 s0, s22, s0
	s_add_i32 s13, s1, s2
	v_mov_b32_e32 v1, s0
	s_sub_i32 s1, s27, s13
	v_sub_co_u32_e32 v1, vcc, s26, v1
	s_cmp_lg_u64 vcc, 0
	s_subb_u32 s17, s1, s23
	v_subrev_co_u32_e64 v2, s[0:1], s22, v1
	s_cmp_lg_u64 s[0:1], 0
	s_subb_u32 s25, s17, 0
	s_cmp_ge_u32 s25, s23
	s_cselect_b32 s26, -1, 0
	v_cmp_le_u32_e64 s[2:3], s22, v2
	s_cmp_eq_u32 s25, s23
	v_cndmask_b32_e64 v3, 0, -1, s[2:3]
	v_mov_b32_e32 v4, s26
	s_cselect_b64 s[2:3], -1, 0
	s_cmp_lg_u64 s[0:1], 0
	v_cndmask_b32_e64 v3, v4, v3, s[2:3]
	s_subb_u32 s2, s17, s23
	v_subrev_co_u32_e64 v4, s[0:1], s22, v2
	s_cmp_lg_u64 s[0:1], 0
	s_subb_u32 s2, s2, 0
	v_cmp_ne_u32_e64 s[0:1], 0, v3
	v_cndmask_b32_e64 v2, v2, v4, s[0:1]
	v_mov_b32_e32 v3, s25
	v_mov_b32_e32 v4, s2
	s_cmp_lg_u64 vcc, 0
	v_cndmask_b32_e64 v3, v3, v4, s[0:1]
	s_subb_u32 s0, s27, s13
	s_cmp_ge_u32 s0, s23
	s_cselect_b32 s1, -1, 0
	v_cmp_le_u32_e32 vcc, s22, v1
	s_cmp_eq_u32 s0, s23
	v_cndmask_b32_e64 v4, 0, -1, vcc
	v_mov_b32_e32 v5, s1
	s_cselect_b64 vcc, -1, 0
	v_cndmask_b32_e32 v4, v5, v4, vcc
	v_cmp_ne_u32_e32 vcc, 0, v4
	v_mov_b32_e32 v5, s0
	v_cndmask_b32_e32 v1, v1, v2, vcc
	v_cndmask_b32_e32 v3, v5, v3, vcc
	v_xor_b32_e32 v1, s24, v1
	v_xor_b32_e32 v3, s24, v3
	v_mov_b32_e32 v4, s24
	v_subrev_co_u32_e32 v2, vcc, s24, v1
	v_subb_co_u32_e32 v3, vcc, v3, v4, vcc
	s_cbranch_execnz .LBB43_59
.LBB43_58:
	v_cvt_f32_u32_e32 v1, s16
	s_sub_i32 s0, 0, s16
	v_mov_b32_e32 v3, 0
	v_rcp_iflag_f32_e32 v1, v1
	v_mul_f32_e32 v1, 0x4f7ffffe, v1
	v_cvt_u32_f32_e32 v1, v1
	v_mul_lo_u32 v2, s0, v1
	v_mul_hi_u32 v2, v1, v2
	v_add_u32_e32 v1, v1, v2
	v_mul_hi_u32 v1, s4, v1
	v_mul_lo_u32 v1, v1, s16
	v_sub_u32_e32 v1, s4, v1
	v_subrev_u32_e32 v2, s16, v1
	v_cmp_le_u32_e32 vcc, s16, v1
	v_cndmask_b32_e32 v1, v1, v2, vcc
	v_subrev_u32_e32 v2, s16, v1
	v_cmp_le_u32_e32 vcc, s16, v1
	v_cndmask_b32_e32 v2, v1, v2, vcc
.LBB43_59:
	s_add_u32 s13, s8, s18
	s_addc_u32 s18, s9, s19
	s_lshl_b64 s[0:1], s[6:7], 2
	s_add_u32 s19, s10, s0
	s_addc_u32 s20, s11, s1
	v_mov_b32_e32 v1, s5
	v_sub_co_u32_e32 v12, vcc, s4, v2
	v_subb_co_u32_e32 v13, vcc, v1, v3, vcc
	s_mul_i32 s21, s47, 3
	s_lshl_b32 s22, s47, 1
	s_mov_b64 s[0:1], 0
	v_mov_b32_e32 v1, 0
	v_mov_b32_e32 v14, s44
	;; [unrolled: 1-line block ×5, first 2 shown]
	s_mov_b32 s23, 0x43800000
	s_mov_b32 s24, 0x3bffffff
	;; [unrolled: 1-line block ×4, first 2 shown]
	s_movk_i32 s27, 0x80
	s_mov_b32 s28, 0x4020c0c
	s_branch .LBB43_65
.LBB43_60:                              ;   in Loop: Header=BB43_65 Depth=1
	s_or_b64 exec, exec, s[16:17]
.LBB43_61:                              ;   in Loop: Header=BB43_65 Depth=1
	s_or_b64 exec, exec, s[8:9]
	v_lshlrev_b64 v[10:11], 2, v[0:1]
	v_mov_b32_e32 v0, s18
	v_add_co_u32_e32 v10, vcc, s13, v10
	v_addc_co_u32_e32 v11, vcc, v0, v11, vcc
	v_lshlrev_b32_e32 v0, 16, v6
	v_lshlrev_b32_e32 v3, 8, v3
	v_perm_b32 v0, v4, v0, s28
	v_and_b32_e32 v3, 0xff00, v3
	v_and_b32_e32 v4, 0xff, v8
	s_add_i32 s8, s47, s47
	v_or3_b32 v0, v0, v3, v4
	s_add_i32 s8, s8, s47
	global_store_dword v[10:11], v0, off
	v_add_u32_e32 v0, s8, v2
	v_cmp_le_u32_e32 vcc, s12, v0
	s_orn2_b64 s[8:9], vcc, exec
.LBB43_62:                              ;   in Loop: Header=BB43_65 Depth=1
	s_or_b64 exec, exec, s[6:7]
	s_orn2_b64 s[6:7], s[8:9], exec
.LBB43_63:                              ;   in Loop: Header=BB43_65 Depth=1
	s_or_b64 exec, exec, s[4:5]
	s_orn2_b64 s[4:5], s[6:7], exec
.LBB43_64:                              ;   in Loop: Header=BB43_65 Depth=1
	s_or_b64 exec, exec, s[2:3]
	s_and_b64 s[2:3], exec, s[4:5]
	s_or_b64 s[0:1], s[2:3], s[0:1]
	s_andn2_b64 exec, exec, s[0:1]
	s_cbranch_execz .LBB43_195
.LBB43_65:                              ; =>This Inner Loop Header: Depth=1
	v_lshlrev_b64 v[2:3], 3, v[0:1]
	v_add_co_u32_e32 v4, vcc, s33, v2
	v_addc_co_u32_e32 v5, vcc, v14, v3, vcc
	v_add_co_u32_e32 v10, vcc, s45, v2
	v_addc_co_u32_e32 v11, vcc, v16, v3, vcc
	global_load_dwordx2 v[4:5], v[4:5], off
	v_bfe_u32 v19, v0, 5, 25
	global_load_dwordx2 v[6:7], v[10:11], off
	v_add_co_u32_e32 v2, vcc, s14, v2
	v_mad_u64_u32 v[8:9], s[2:3], v12, v19, 0
	v_addc_co_u32_e32 v3, vcc, v15, v3, vcc
	v_mov_b32_e32 v18, v9
	global_load_dwordx2 v[2:3], v[2:3], off
	v_mad_u64_u32 v[18:19], s[2:3], v13, v19, v[18:19]
	v_mov_b32_e32 v9, v18
	v_lshlrev_b64 v[8:9], 2, v[8:9]
	v_add_co_u32_e32 v8, vcc, s19, v8
	v_addc_co_u32_e32 v9, vcc, v17, v9, vcc
	global_load_dword v9, v[8:9], off
	v_mov_b32_e32 v8, 0x80
	s_waitcnt vmcnt(3)
	v_cvt_f32_f16_e32 v20, v4
	v_cvt_f32_f16_sdwa v21, v4 dst_sel:DWORD dst_unused:UNUSED_PAD src0_sel:WORD_1
	s_waitcnt vmcnt(2)
	v_cvt_f32_f16_e32 v22, v6
	v_cvt_f32_f16_sdwa v23, v6 dst_sel:DWORD dst_unused:UNUSED_PAD src0_sel:WORD_1
	v_cvt_f32_f16_e32 v18, v5
	v_cvt_f32_f16_sdwa v19, v5 dst_sel:DWORD dst_unused:UNUSED_PAD src0_sel:WORD_1
	;; [unrolled: 2-line block ×3, first 2 shown]
	v_pk_add_f32 v[6:7], v[20:21], v[22:23]
	v_cvt_f16_f32_e32 v21, v6
	v_fma_mixlo_f16 v6, v36, v6, 0
	v_pk_add_f32 v[4:5], v[18:19], v[4:5]
	s_waitcnt vmcnt(1)
	v_mul_f16_e32 v6, v2, v6
	v_cvt_f16_f32_e32 v18, v5
	v_cvt_f16_f32_e32 v19, v4
	v_cvt_f16_f32_e32 v20, v7
	v_cvt_f32_f16_e32 v6, v6
	v_pack_b32_f16 v19, v19, v18
	v_pack_b32_f16 v18, v21, v20
	s_waitcnt vmcnt(0)
	v_div_scale_f32 v20, s[2:3], v9, v9, v6
	v_rcp_f32_e32 v21, v20
	global_store_dwordx2 v[10:11], v[18:19], off
	v_div_scale_f32 v10, vcc, v6, v9, v6
	v_fma_f32 v11, -v20, v21, 1.0
	v_fmac_f32_e32 v21, v11, v21
	v_mul_f32_e32 v11, v10, v21
	v_fma_f32 v18, -v20, v11, v10
	v_fmac_f32_e32 v11, v18, v21
	v_fma_f32 v10, -v20, v11, v10
	v_div_fmas_f32 v10, v10, v21, v11
	v_div_fixup_f32 v6, v10, v9, v6
	v_min_f32_e32 v6, 0x43600000, v6
	v_max_f32_e32 v10, 0xc3600000, v6
	v_and_b32_e32 v11, 0x7fffffff, v10
	v_cmp_gt_u32_e32 vcc, s23, v11
	v_mov_b32_e32 v6, 0x80
	s_and_saveexec_b64 s[2:3], vcc
	s_cbranch_execz .LBB43_71
; %bb.66:                               ;   in Loop: Header=BB43_65 Depth=1
	v_cmp_lt_u32_e32 vcc, s24, v11
	s_mov_b64 s[4:5], 0
                                        ; implicit-def: $vgpr11
	s_and_saveexec_b64 s[6:7], vcc
	s_xor_b64 s[6:7], exec, s[6:7]
	s_cbranch_execnz .LBB43_162
; %bb.67:                               ;   in Loop: Header=BB43_65 Depth=1
	s_or_saveexec_b64 s[6:7], s[6:7]
                                        ; implicit-def: $sgpr8
	s_xor_b64 exec, exec, s[6:7]
	s_cbranch_execnz .LBB43_163
.LBB43_68:                              ;   in Loop: Header=BB43_65 Depth=1
	s_or_b64 exec, exec, s[6:7]
	v_mov_b32_e32 v6, s8
	s_and_saveexec_b64 s[6:7], s[4:5]
.LBB43_69:                              ;   in Loop: Header=BB43_65 Depth=1
	v_lshrrev_b32_e32 v6, 24, v10
	v_and_or_b32 v6, v6, s27, v11
.LBB43_70:                              ;   in Loop: Header=BB43_65 Depth=1
	s_or_b64 exec, exec, s[6:7]
.LBB43_71:                              ;   in Loop: Header=BB43_65 Depth=1
	s_or_b64 exec, exec, s[2:3]
	v_fma_mixlo_f16 v7, v36, v7, 0
	v_mul_f16_sdwa v2, v2, v7 dst_sel:DWORD dst_unused:UNUSED_PAD src0_sel:WORD_1 src1_sel:DWORD
	v_cvt_f32_f16_e32 v2, v2
	v_div_scale_f32 v7, s[2:3], v9, v9, v2
	v_rcp_f32_e32 v10, v7
	v_div_scale_f32 v11, vcc, v2, v9, v2
	v_fma_f32 v18, -v7, v10, 1.0
	v_fmac_f32_e32 v10, v18, v10
	v_mul_f32_e32 v18, v11, v10
	v_fma_f32 v19, -v7, v18, v11
	v_fmac_f32_e32 v18, v19, v10
	v_fma_f32 v7, -v7, v18, v11
	v_div_fmas_f32 v7, v7, v10, v18
	v_div_fixup_f32 v2, v7, v9, v2
	v_min_f32_e32 v2, 0x43600000, v2
	v_max_f32_e32 v2, 0xc3600000, v2
	v_and_b32_e32 v7, 0x7fffffff, v2
	v_cmp_gt_u32_e32 vcc, s23, v7
	s_and_saveexec_b64 s[2:3], vcc
	s_cbranch_execz .LBB43_77
; %bb.72:                               ;   in Loop: Header=BB43_65 Depth=1
	v_cmp_lt_u32_e32 vcc, s24, v7
	s_mov_b64 s[4:5], 0
                                        ; implicit-def: $vgpr7
	s_and_saveexec_b64 s[6:7], vcc
	s_xor_b64 s[6:7], exec, s[6:7]
	s_cbranch_execnz .LBB43_164
; %bb.73:                               ;   in Loop: Header=BB43_65 Depth=1
	s_or_saveexec_b64 s[6:7], s[6:7]
                                        ; implicit-def: $sgpr8
	s_xor_b64 exec, exec, s[6:7]
	s_cbranch_execnz .LBB43_165
.LBB43_74:                              ;   in Loop: Header=BB43_65 Depth=1
	s_or_b64 exec, exec, s[6:7]
	v_mov_b32_e32 v8, s8
	s_and_saveexec_b64 s[6:7], s[4:5]
.LBB43_75:                              ;   in Loop: Header=BB43_65 Depth=1
	v_lshrrev_b32_e32 v2, 24, v2
	v_and_or_b32 v8, v2, s27, v7
.LBB43_76:                              ;   in Loop: Header=BB43_65 Depth=1
	s_or_b64 exec, exec, s[6:7]
.LBB43_77:                              ;   in Loop: Header=BB43_65 Depth=1
	s_or_b64 exec, exec, s[2:3]
	v_fma_mixlo_f16 v2, v36, v4, 0
	v_mul_f16_e32 v2, v3, v2
	v_cvt_f32_f16_e32 v4, v2
	v_mov_b32_e32 v2, 0x80
	v_div_scale_f32 v7, s[2:3], v9, v9, v4
	v_rcp_f32_e32 v10, v7
	v_div_scale_f32 v11, vcc, v4, v9, v4
	v_fma_f32 v18, -v7, v10, 1.0
	v_fmac_f32_e32 v10, v18, v10
	v_mul_f32_e32 v18, v11, v10
	v_fma_f32 v19, -v7, v18, v11
	v_fmac_f32_e32 v18, v19, v10
	v_fma_f32 v7, -v7, v18, v11
	v_div_fmas_f32 v7, v7, v10, v18
	v_div_fixup_f32 v4, v7, v9, v4
	v_min_f32_e32 v4, 0x43600000, v4
	v_max_f32_e32 v7, 0xc3600000, v4
	v_and_b32_e32 v10, 0x7fffffff, v7
	v_cmp_gt_u32_e32 vcc, s23, v10
	v_mov_b32_e32 v4, 0x80
	s_and_saveexec_b64 s[2:3], vcc
	s_cbranch_execz .LBB43_83
; %bb.78:                               ;   in Loop: Header=BB43_65 Depth=1
	v_cmp_lt_u32_e32 vcc, s24, v10
	s_mov_b64 s[4:5], 0
                                        ; implicit-def: $vgpr10
	s_and_saveexec_b64 s[6:7], vcc
	s_xor_b64 s[6:7], exec, s[6:7]
	s_cbranch_execnz .LBB43_166
; %bb.79:                               ;   in Loop: Header=BB43_65 Depth=1
	s_or_saveexec_b64 s[6:7], s[6:7]
                                        ; implicit-def: $sgpr8
	s_xor_b64 exec, exec, s[6:7]
	s_cbranch_execnz .LBB43_167
.LBB43_80:                              ;   in Loop: Header=BB43_65 Depth=1
	s_or_b64 exec, exec, s[6:7]
	v_mov_b32_e32 v4, s8
	s_and_saveexec_b64 s[6:7], s[4:5]
.LBB43_81:                              ;   in Loop: Header=BB43_65 Depth=1
	v_lshrrev_b32_e32 v4, 24, v7
	v_and_or_b32 v4, v4, s27, v10
.LBB43_82:                              ;   in Loop: Header=BB43_65 Depth=1
	s_or_b64 exec, exec, s[6:7]
.LBB43_83:                              ;   in Loop: Header=BB43_65 Depth=1
	s_or_b64 exec, exec, s[2:3]
	v_fma_mixlo_f16 v5, v36, v5, 0
	v_mul_f16_sdwa v3, v3, v5 dst_sel:DWORD dst_unused:UNUSED_PAD src0_sel:WORD_1 src1_sel:DWORD
	v_cvt_f32_f16_e32 v3, v3
	v_div_scale_f32 v5, s[2:3], v9, v9, v3
	v_rcp_f32_e32 v7, v5
	v_div_scale_f32 v10, vcc, v3, v9, v3
	v_fma_f32 v11, -v5, v7, 1.0
	v_fmac_f32_e32 v7, v11, v7
	v_mul_f32_e32 v11, v10, v7
	v_fma_f32 v18, -v5, v11, v10
	v_fmac_f32_e32 v11, v18, v7
	v_fma_f32 v5, -v5, v11, v10
	v_div_fmas_f32 v5, v5, v7, v11
	v_div_fixup_f32 v3, v5, v9, v3
	v_min_f32_e32 v3, 0x43600000, v3
	v_max_f32_e32 v3, 0xc3600000, v3
	v_and_b32_e32 v5, 0x7fffffff, v3
	v_cmp_gt_u32_e32 vcc, s23, v5
	s_and_saveexec_b64 s[2:3], vcc
	s_cbranch_execz .LBB43_89
; %bb.84:                               ;   in Loop: Header=BB43_65 Depth=1
	v_cmp_lt_u32_e32 vcc, s24, v5
	s_mov_b64 s[4:5], 0
                                        ; implicit-def: $vgpr5
	s_and_saveexec_b64 s[6:7], vcc
	s_xor_b64 s[6:7], exec, s[6:7]
	s_cbranch_execnz .LBB43_168
; %bb.85:                               ;   in Loop: Header=BB43_65 Depth=1
	s_or_saveexec_b64 s[6:7], s[6:7]
                                        ; implicit-def: $sgpr8
	s_xor_b64 exec, exec, s[6:7]
	s_cbranch_execnz .LBB43_169
.LBB43_86:                              ;   in Loop: Header=BB43_65 Depth=1
	s_or_b64 exec, exec, s[6:7]
	v_mov_b32_e32 v2, s8
	s_and_saveexec_b64 s[6:7], s[4:5]
.LBB43_87:                              ;   in Loop: Header=BB43_65 Depth=1
	v_lshrrev_b32_e32 v2, 24, v3
	v_and_or_b32 v2, v2, s27, v5
.LBB43_88:                              ;   in Loop: Header=BB43_65 Depth=1
	s_or_b64 exec, exec, s[6:7]
.LBB43_89:                              ;   in Loop: Header=BB43_65 Depth=1
	s_or_b64 exec, exec, s[2:3]
	v_lshlrev_b64 v[10:11], 2, v[0:1]
	v_mov_b32_e32 v3, s18
	v_add_co_u32_e32 v10, vcc, s13, v10
	v_addc_co_u32_e32 v11, vcc, v3, v11, vcc
	v_lshlrev_b32_e32 v3, 16, v4
	v_perm_b32 v2, v2, v3, s28
	v_lshlrev_b32_e32 v3, 8, v8
	v_and_b32_e32 v3, 0xff00, v3
	v_and_b32_e32 v4, 0xff, v6
	v_or3_b32 v2, v2, v3, v4
	global_store_dword v[10:11], v2, off
	v_add_u32_e32 v2, s47, v0
	v_cmp_gt_u32_e32 vcc, s12, v2
	s_mov_b64 s[4:5], -1
	s_and_saveexec_b64 s[2:3], vcc
	s_cbranch_execz .LBB43_64
; %bb.90:                               ;   in Loop: Header=BB43_65 Depth=1
	v_mov_b32_e32 v3, v1
	v_lshlrev_b64 v[4:5], 3, v[2:3]
	v_mov_b32_e32 v7, s44
	v_add_co_u32_e32 v6, vcc, s33, v4
	v_addc_co_u32_e32 v7, vcc, v7, v5, vcc
	v_mov_b32_e32 v8, s46
	v_add_co_u32_e32 v18, vcc, s45, v4
	v_addc_co_u32_e32 v19, vcc, v8, v5, vcc
	global_load_dwordx2 v[6:7], v[6:7], off
	v_mov_b32_e32 v10, s15
	global_load_dwordx2 v[8:9], v[18:19], off
	v_add_co_u32_e32 v4, vcc, s14, v4
	v_bfe_u32 v21, v2, 5, 25
	v_addc_co_u32_e32 v5, vcc, v10, v5, vcc
	v_mad_u64_u32 v[10:11], s[4:5], v12, v21, 0
	v_mov_b32_e32 v20, v11
	global_load_dwordx2 v[4:5], v[4:5], off
	v_mad_u64_u32 v[20:21], s[4:5], v13, v21, v[20:21]
	v_mov_b32_e32 v11, v20
	v_lshlrev_b64 v[10:11], 2, v[10:11]
	v_mov_b32_e32 v20, s20
	v_add_co_u32_e32 v10, vcc, s19, v10
	v_addc_co_u32_e32 v11, vcc, v20, v11, vcc
	global_load_dword v11, v[10:11], off
	v_mov_b32_e32 v10, 0x80
	s_waitcnt vmcnt(3)
	v_cvt_f32_f16_e32 v22, v6
	v_cvt_f32_f16_sdwa v23, v6 dst_sel:DWORD dst_unused:UNUSED_PAD src0_sel:WORD_1
	s_waitcnt vmcnt(2)
	v_cvt_f32_f16_e32 v24, v8
	v_cvt_f32_f16_sdwa v25, v8 dst_sel:DWORD dst_unused:UNUSED_PAD src0_sel:WORD_1
	v_cvt_f32_f16_e32 v20, v7
	v_cvt_f32_f16_sdwa v21, v7 dst_sel:DWORD dst_unused:UNUSED_PAD src0_sel:WORD_1
	;; [unrolled: 2-line block ×3, first 2 shown]
	v_pk_add_f32 v[8:9], v[22:23], v[24:25]
	v_cvt_f16_f32_e32 v23, v8
	v_fma_mixlo_f16 v8, v36, v8, 0
	v_pk_add_f32 v[6:7], v[20:21], v[6:7]
	s_waitcnt vmcnt(1)
	v_mul_f16_e32 v8, v4, v8
	v_cvt_f16_f32_e32 v20, v7
	v_cvt_f16_f32_e32 v21, v6
	;; [unrolled: 1-line block ×3, first 2 shown]
	v_cvt_f32_f16_e32 v8, v8
	v_pack_b32_f16 v21, v21, v20
	v_pack_b32_f16 v20, v23, v22
	global_store_dwordx2 v[18:19], v[20:21], off
	s_waitcnt vmcnt(1)
	v_div_scale_f32 v22, s[4:5], v11, v11, v8
	v_rcp_f32_e32 v23, v22
	v_div_scale_f32 v18, vcc, v8, v11, v8
	v_fma_f32 v19, -v22, v23, 1.0
	v_fmac_f32_e32 v23, v19, v23
	v_mul_f32_e32 v19, v18, v23
	v_fma_f32 v20, -v22, v19, v18
	v_fmac_f32_e32 v19, v20, v23
	v_fma_f32 v18, -v22, v19, v18
	v_div_fmas_f32 v18, v18, v23, v19
	v_div_fixup_f32 v8, v18, v11, v8
	v_min_f32_e32 v8, 0x43600000, v8
	v_max_f32_e32 v18, 0xc3600000, v8
	v_and_b32_e32 v19, 0x7fffffff, v18
	v_cmp_gt_u32_e32 vcc, s23, v19
	v_mov_b32_e32 v8, 0x80
	s_and_saveexec_b64 s[4:5], vcc
	s_cbranch_execz .LBB43_96
; %bb.91:                               ;   in Loop: Header=BB43_65 Depth=1
	v_cmp_lt_u32_e32 vcc, s24, v19
	s_mov_b64 s[6:7], 0
                                        ; implicit-def: $vgpr19
	s_and_saveexec_b64 s[8:9], vcc
	s_xor_b64 s[8:9], exec, s[8:9]
	s_cbranch_execnz .LBB43_170
; %bb.92:                               ;   in Loop: Header=BB43_65 Depth=1
	s_or_saveexec_b64 s[8:9], s[8:9]
                                        ; implicit-def: $sgpr10
	s_xor_b64 exec, exec, s[8:9]
	s_cbranch_execnz .LBB43_171
.LBB43_93:                              ;   in Loop: Header=BB43_65 Depth=1
	s_or_b64 exec, exec, s[8:9]
	v_mov_b32_e32 v8, s10
	s_and_saveexec_b64 s[8:9], s[6:7]
.LBB43_94:                              ;   in Loop: Header=BB43_65 Depth=1
	v_lshrrev_b32_e32 v8, 24, v18
	v_and_or_b32 v8, v8, s27, v19
.LBB43_95:                              ;   in Loop: Header=BB43_65 Depth=1
	s_or_b64 exec, exec, s[8:9]
.LBB43_96:                              ;   in Loop: Header=BB43_65 Depth=1
	s_or_b64 exec, exec, s[4:5]
	v_fma_mixlo_f16 v9, v36, v9, 0
	v_mul_f16_sdwa v4, v4, v9 dst_sel:DWORD dst_unused:UNUSED_PAD src0_sel:WORD_1 src1_sel:DWORD
	v_cvt_f32_f16_e32 v4, v4
	v_div_scale_f32 v9, s[4:5], v11, v11, v4
	v_rcp_f32_e32 v18, v9
	v_div_scale_f32 v19, vcc, v4, v11, v4
	v_fma_f32 v20, -v9, v18, 1.0
	v_fmac_f32_e32 v18, v20, v18
	v_mul_f32_e32 v20, v19, v18
	v_fma_f32 v21, -v9, v20, v19
	v_fmac_f32_e32 v20, v21, v18
	v_fma_f32 v9, -v9, v20, v19
	v_div_fmas_f32 v9, v9, v18, v20
	v_div_fixup_f32 v4, v9, v11, v4
	v_min_f32_e32 v4, 0x43600000, v4
	v_max_f32_e32 v4, 0xc3600000, v4
	v_and_b32_e32 v9, 0x7fffffff, v4
	v_cmp_gt_u32_e32 vcc, s23, v9
	s_and_saveexec_b64 s[4:5], vcc
	s_cbranch_execz .LBB43_102
; %bb.97:                               ;   in Loop: Header=BB43_65 Depth=1
	v_cmp_lt_u32_e32 vcc, s24, v9
	s_mov_b64 s[6:7], 0
                                        ; implicit-def: $vgpr9
	s_and_saveexec_b64 s[8:9], vcc
	s_xor_b64 s[8:9], exec, s[8:9]
	s_cbranch_execnz .LBB43_172
; %bb.98:                               ;   in Loop: Header=BB43_65 Depth=1
	s_or_saveexec_b64 s[8:9], s[8:9]
                                        ; implicit-def: $sgpr10
	s_xor_b64 exec, exec, s[8:9]
	s_cbranch_execnz .LBB43_173
.LBB43_99:                              ;   in Loop: Header=BB43_65 Depth=1
	s_or_b64 exec, exec, s[8:9]
	v_mov_b32_e32 v10, s10
	s_and_saveexec_b64 s[8:9], s[6:7]
.LBB43_100:                             ;   in Loop: Header=BB43_65 Depth=1
	v_lshrrev_b32_e32 v4, 24, v4
	v_and_or_b32 v10, v4, s27, v9
.LBB43_101:                             ;   in Loop: Header=BB43_65 Depth=1
	s_or_b64 exec, exec, s[8:9]
.LBB43_102:                             ;   in Loop: Header=BB43_65 Depth=1
	s_or_b64 exec, exec, s[4:5]
	v_fma_mixlo_f16 v4, v36, v6, 0
	v_mul_f16_e32 v4, v5, v4
	v_cvt_f32_f16_e32 v6, v4
	v_mov_b32_e32 v4, 0x80
	v_div_scale_f32 v9, s[4:5], v11, v11, v6
	v_rcp_f32_e32 v18, v9
	v_div_scale_f32 v19, vcc, v6, v11, v6
	v_fma_f32 v20, -v9, v18, 1.0
	v_fmac_f32_e32 v18, v20, v18
	v_mul_f32_e32 v20, v19, v18
	v_fma_f32 v21, -v9, v20, v19
	v_fmac_f32_e32 v20, v21, v18
	v_fma_f32 v9, -v9, v20, v19
	v_div_fmas_f32 v9, v9, v18, v20
	v_div_fixup_f32 v6, v9, v11, v6
	v_min_f32_e32 v6, 0x43600000, v6
	v_max_f32_e32 v9, 0xc3600000, v6
	v_and_b32_e32 v18, 0x7fffffff, v9
	v_cmp_gt_u32_e32 vcc, s23, v18
	v_mov_b32_e32 v6, 0x80
	s_and_saveexec_b64 s[4:5], vcc
	s_cbranch_execz .LBB43_108
; %bb.103:                              ;   in Loop: Header=BB43_65 Depth=1
	v_cmp_lt_u32_e32 vcc, s24, v18
	s_mov_b64 s[6:7], 0
                                        ; implicit-def: $vgpr18
	s_and_saveexec_b64 s[8:9], vcc
	s_xor_b64 s[8:9], exec, s[8:9]
	s_cbranch_execnz .LBB43_174
; %bb.104:                              ;   in Loop: Header=BB43_65 Depth=1
	s_or_saveexec_b64 s[8:9], s[8:9]
                                        ; implicit-def: $sgpr10
	s_xor_b64 exec, exec, s[8:9]
	s_cbranch_execnz .LBB43_175
.LBB43_105:                             ;   in Loop: Header=BB43_65 Depth=1
	s_or_b64 exec, exec, s[8:9]
	v_mov_b32_e32 v6, s10
	s_and_saveexec_b64 s[8:9], s[6:7]
.LBB43_106:                             ;   in Loop: Header=BB43_65 Depth=1
	v_lshrrev_b32_e32 v6, 24, v9
	v_and_or_b32 v6, v6, s27, v18
.LBB43_107:                             ;   in Loop: Header=BB43_65 Depth=1
	s_or_b64 exec, exec, s[8:9]
.LBB43_108:                             ;   in Loop: Header=BB43_65 Depth=1
	s_or_b64 exec, exec, s[4:5]
	v_fma_mixlo_f16 v7, v36, v7, 0
	v_mul_f16_sdwa v5, v5, v7 dst_sel:DWORD dst_unused:UNUSED_PAD src0_sel:WORD_1 src1_sel:DWORD
	v_cvt_f32_f16_e32 v5, v5
	v_div_scale_f32 v7, s[4:5], v11, v11, v5
	v_rcp_f32_e32 v9, v7
	v_div_scale_f32 v18, vcc, v5, v11, v5
	v_fma_f32 v19, -v7, v9, 1.0
	v_fmac_f32_e32 v9, v19, v9
	v_mul_f32_e32 v19, v18, v9
	v_fma_f32 v20, -v7, v19, v18
	v_fmac_f32_e32 v19, v20, v9
	v_fma_f32 v7, -v7, v19, v18
	v_div_fmas_f32 v7, v7, v9, v19
	v_div_fixup_f32 v5, v7, v11, v5
	v_min_f32_e32 v5, 0x43600000, v5
	v_max_f32_e32 v5, 0xc3600000, v5
	v_and_b32_e32 v7, 0x7fffffff, v5
	v_cmp_gt_u32_e32 vcc, s23, v7
	s_and_saveexec_b64 s[4:5], vcc
	s_cbranch_execz .LBB43_114
; %bb.109:                              ;   in Loop: Header=BB43_65 Depth=1
	v_cmp_lt_u32_e32 vcc, s24, v7
	s_mov_b64 s[6:7], 0
                                        ; implicit-def: $vgpr7
	s_and_saveexec_b64 s[8:9], vcc
	s_xor_b64 s[8:9], exec, s[8:9]
	s_cbranch_execnz .LBB43_176
; %bb.110:                              ;   in Loop: Header=BB43_65 Depth=1
	s_or_saveexec_b64 s[8:9], s[8:9]
                                        ; implicit-def: $sgpr10
	s_xor_b64 exec, exec, s[8:9]
	s_cbranch_execnz .LBB43_177
.LBB43_111:                             ;   in Loop: Header=BB43_65 Depth=1
	s_or_b64 exec, exec, s[8:9]
	v_mov_b32_e32 v4, s10
	s_and_saveexec_b64 s[8:9], s[6:7]
.LBB43_112:                             ;   in Loop: Header=BB43_65 Depth=1
	v_lshrrev_b32_e32 v4, 24, v5
	v_and_or_b32 v4, v4, s27, v7
.LBB43_113:                             ;   in Loop: Header=BB43_65 Depth=1
	s_or_b64 exec, exec, s[8:9]
.LBB43_114:                             ;   in Loop: Header=BB43_65 Depth=1
	s_or_b64 exec, exec, s[4:5]
	v_lshlrev_b64 v[18:19], 2, v[2:3]
	v_mov_b32_e32 v3, s18
	v_add_co_u32_e32 v18, vcc, s13, v18
	v_addc_co_u32_e32 v19, vcc, v3, v19, vcc
	v_lshlrev_b32_e32 v3, 16, v6
	v_perm_b32 v3, v4, v3, s28
	v_lshlrev_b32_e32 v4, 8, v10
	v_and_b32_e32 v4, 0xff00, v4
	v_and_b32_e32 v5, 0xff, v8
	v_or3_b32 v3, v3, v4, v5
	v_add_u32_e32 v4, s22, v0
	v_cmp_gt_u32_e32 vcc, s12, v4
	s_mov_b64 s[6:7], -1
	global_store_dword v[18:19], v3, off
	s_and_saveexec_b64 s[4:5], vcc
	s_cbranch_execz .LBB43_63
; %bb.115:                              ;   in Loop: Header=BB43_65 Depth=1
	v_mov_b32_e32 v5, v1
	v_lshlrev_b64 v[6:7], 3, v[4:5]
	v_mov_b32_e32 v3, s44
	v_add_co_u32_e32 v8, vcc, s33, v6
	v_addc_co_u32_e32 v9, vcc, v3, v7, vcc
	v_mov_b32_e32 v10, s46
	v_add_co_u32_e32 v20, vcc, s45, v6
	v_addc_co_u32_e32 v21, vcc, v10, v7, vcc
	global_load_dwordx2 v[8:9], v[8:9], off
	v_mov_b32_e32 v3, s15
	global_load_dwordx2 v[10:11], v[20:21], off
	v_add_co_u32_e32 v6, vcc, s14, v6
	v_addc_co_u32_e32 v7, vcc, v3, v7, vcc
	v_bfe_u32 v3, v4, 5, 25
	v_mad_u64_u32 v[18:19], s[6:7], v12, v3, 0
	v_mov_b32_e32 v22, v19
	global_load_dwordx2 v[6:7], v[6:7], off
	v_mad_u64_u32 v[22:23], s[6:7], v13, v3, v[22:23]
	v_mov_b32_e32 v19, v22
	v_lshlrev_b64 v[18:19], 2, v[18:19]
	v_mov_b32_e32 v3, s20
	v_add_co_u32_e32 v18, vcc, s19, v18
	v_addc_co_u32_e32 v19, vcc, v3, v19, vcc
	global_load_dword v18, v[18:19], off
	v_mov_b32_e32 v3, 0x80
	s_waitcnt vmcnt(3)
	v_cvt_f32_f16_e32 v24, v8
	v_cvt_f32_f16_sdwa v25, v8 dst_sel:DWORD dst_unused:UNUSED_PAD src0_sel:WORD_1
	s_waitcnt vmcnt(2)
	v_cvt_f32_f16_e32 v26, v10
	v_cvt_f32_f16_sdwa v27, v10 dst_sel:DWORD dst_unused:UNUSED_PAD src0_sel:WORD_1
	v_cvt_f32_f16_e32 v22, v9
	v_cvt_f32_f16_sdwa v23, v9 dst_sel:DWORD dst_unused:UNUSED_PAD src0_sel:WORD_1
	;; [unrolled: 2-line block ×3, first 2 shown]
	v_pk_add_f32 v[10:11], v[24:25], v[26:27]
	v_cvt_f16_f32_e32 v25, v10
	v_fma_mixlo_f16 v10, v36, v10, 0
	v_pk_add_f32 v[8:9], v[22:23], v[8:9]
	s_waitcnt vmcnt(1)
	v_mul_f16_e32 v10, v6, v10
	v_cvt_f16_f32_e32 v19, v9
	v_cvt_f16_f32_e32 v22, v8
	v_cvt_f32_f16_e32 v10, v10
	v_cvt_f16_f32_e32 v24, v11
	v_pack_b32_f16 v23, v22, v19
	v_pack_b32_f16 v22, v25, v24
	s_waitcnt vmcnt(0)
	v_div_scale_f32 v19, s[6:7], v18, v18, v10
	v_rcp_f32_e32 v24, v19
	global_store_dwordx2 v[20:21], v[22:23], off
	v_div_scale_f32 v20, vcc, v10, v18, v10
	v_fma_f32 v21, -v19, v24, 1.0
	v_fmac_f32_e32 v24, v21, v24
	v_mul_f32_e32 v21, v20, v24
	v_fma_f32 v22, -v19, v21, v20
	v_fmac_f32_e32 v21, v22, v24
	v_fma_f32 v19, -v19, v21, v20
	v_div_fmas_f32 v19, v19, v24, v21
	v_div_fixup_f32 v10, v19, v18, v10
	v_min_f32_e32 v10, 0x43600000, v10
	v_max_f32_e32 v19, 0xc3600000, v10
	v_and_b32_e32 v20, 0x7fffffff, v19
	v_cmp_gt_u32_e32 vcc, s23, v20
	v_mov_b32_e32 v10, 0x80
	s_and_saveexec_b64 s[6:7], vcc
	s_cbranch_execz .LBB43_121
; %bb.116:                              ;   in Loop: Header=BB43_65 Depth=1
	v_cmp_lt_u32_e32 vcc, s24, v20
	s_mov_b64 s[8:9], 0
                                        ; implicit-def: $vgpr20
	s_and_saveexec_b64 s[10:11], vcc
	s_xor_b64 s[10:11], exec, s[10:11]
	s_cbranch_execnz .LBB43_178
; %bb.117:                              ;   in Loop: Header=BB43_65 Depth=1
	s_or_saveexec_b64 s[10:11], s[10:11]
                                        ; implicit-def: $sgpr16
	s_xor_b64 exec, exec, s[10:11]
	s_cbranch_execnz .LBB43_179
.LBB43_118:                             ;   in Loop: Header=BB43_65 Depth=1
	s_or_b64 exec, exec, s[10:11]
	v_mov_b32_e32 v10, s16
	s_and_saveexec_b64 s[10:11], s[8:9]
.LBB43_119:                             ;   in Loop: Header=BB43_65 Depth=1
	v_lshrrev_b32_e32 v10, 24, v19
	v_and_or_b32 v10, v10, s27, v20
.LBB43_120:                             ;   in Loop: Header=BB43_65 Depth=1
	s_or_b64 exec, exec, s[10:11]
.LBB43_121:                             ;   in Loop: Header=BB43_65 Depth=1
	s_or_b64 exec, exec, s[6:7]
	v_fma_mixlo_f16 v11, v36, v11, 0
	v_mul_f16_sdwa v6, v6, v11 dst_sel:DWORD dst_unused:UNUSED_PAD src0_sel:WORD_1 src1_sel:DWORD
	v_cvt_f32_f16_e32 v6, v6
	v_div_scale_f32 v11, s[6:7], v18, v18, v6
	v_rcp_f32_e32 v19, v11
	v_div_scale_f32 v20, vcc, v6, v18, v6
	v_fma_f32 v21, -v11, v19, 1.0
	v_fmac_f32_e32 v19, v21, v19
	v_mul_f32_e32 v21, v20, v19
	v_fma_f32 v22, -v11, v21, v20
	v_fmac_f32_e32 v21, v22, v19
	v_fma_f32 v11, -v11, v21, v20
	v_div_fmas_f32 v11, v11, v19, v21
	v_div_fixup_f32 v6, v11, v18, v6
	v_min_f32_e32 v6, 0x43600000, v6
	v_max_f32_e32 v6, 0xc3600000, v6
	v_and_b32_e32 v11, 0x7fffffff, v6
	v_cmp_gt_u32_e32 vcc, s23, v11
	s_and_saveexec_b64 s[6:7], vcc
	s_cbranch_execz .LBB43_127
; %bb.122:                              ;   in Loop: Header=BB43_65 Depth=1
	v_cmp_lt_u32_e32 vcc, s24, v11
	s_mov_b64 s[8:9], 0
                                        ; implicit-def: $vgpr11
	s_and_saveexec_b64 s[10:11], vcc
	s_xor_b64 s[10:11], exec, s[10:11]
	s_cbranch_execnz .LBB43_180
; %bb.123:                              ;   in Loop: Header=BB43_65 Depth=1
	s_or_saveexec_b64 s[10:11], s[10:11]
                                        ; implicit-def: $sgpr16
	s_xor_b64 exec, exec, s[10:11]
	s_cbranch_execnz .LBB43_181
.LBB43_124:                             ;   in Loop: Header=BB43_65 Depth=1
	s_or_b64 exec, exec, s[10:11]
	v_mov_b32_e32 v3, s16
	s_and_saveexec_b64 s[10:11], s[8:9]
.LBB43_125:                             ;   in Loop: Header=BB43_65 Depth=1
	v_lshrrev_b32_e32 v3, 24, v6
	v_and_or_b32 v3, v3, s27, v11
.LBB43_126:                             ;   in Loop: Header=BB43_65 Depth=1
	s_or_b64 exec, exec, s[10:11]
.LBB43_127:                             ;   in Loop: Header=BB43_65 Depth=1
	s_or_b64 exec, exec, s[6:7]
	v_fma_mixlo_f16 v6, v36, v8, 0
	v_mul_f16_e32 v6, v7, v6
	v_cvt_f32_f16_e32 v8, v6
	v_mov_b32_e32 v6, 0x80
	v_div_scale_f32 v11, s[6:7], v18, v18, v8
	v_rcp_f32_e32 v19, v11
	v_div_scale_f32 v20, vcc, v8, v18, v8
	v_fma_f32 v21, -v11, v19, 1.0
	v_fmac_f32_e32 v19, v21, v19
	v_mul_f32_e32 v21, v20, v19
	v_fma_f32 v22, -v11, v21, v20
	v_fmac_f32_e32 v21, v22, v19
	v_fma_f32 v11, -v11, v21, v20
	v_div_fmas_f32 v11, v11, v19, v21
	v_div_fixup_f32 v8, v11, v18, v8
	v_min_f32_e32 v8, 0x43600000, v8
	v_max_f32_e32 v11, 0xc3600000, v8
	v_and_b32_e32 v19, 0x7fffffff, v11
	v_cmp_gt_u32_e32 vcc, s23, v19
	v_mov_b32_e32 v8, 0x80
	s_and_saveexec_b64 s[6:7], vcc
	s_cbranch_execz .LBB43_133
; %bb.128:                              ;   in Loop: Header=BB43_65 Depth=1
	v_cmp_lt_u32_e32 vcc, s24, v19
	s_mov_b64 s[8:9], 0
                                        ; implicit-def: $vgpr19
	s_and_saveexec_b64 s[10:11], vcc
	s_xor_b64 s[10:11], exec, s[10:11]
	s_cbranch_execnz .LBB43_182
; %bb.129:                              ;   in Loop: Header=BB43_65 Depth=1
	s_or_saveexec_b64 s[10:11], s[10:11]
                                        ; implicit-def: $sgpr16
	s_xor_b64 exec, exec, s[10:11]
	s_cbranch_execnz .LBB43_183
.LBB43_130:                             ;   in Loop: Header=BB43_65 Depth=1
	s_or_b64 exec, exec, s[10:11]
	v_mov_b32_e32 v8, s16
	s_and_saveexec_b64 s[10:11], s[8:9]
.LBB43_131:                             ;   in Loop: Header=BB43_65 Depth=1
	v_lshrrev_b32_e32 v8, 24, v11
	v_and_or_b32 v8, v8, s27, v19
.LBB43_132:                             ;   in Loop: Header=BB43_65 Depth=1
	s_or_b64 exec, exec, s[10:11]
.LBB43_133:                             ;   in Loop: Header=BB43_65 Depth=1
	s_or_b64 exec, exec, s[6:7]
	v_fma_mixlo_f16 v9, v36, v9, 0
	v_mul_f16_sdwa v7, v7, v9 dst_sel:DWORD dst_unused:UNUSED_PAD src0_sel:WORD_1 src1_sel:DWORD
	v_cvt_f32_f16_e32 v7, v7
	v_div_scale_f32 v9, s[6:7], v18, v18, v7
	v_rcp_f32_e32 v11, v9
	v_div_scale_f32 v19, vcc, v7, v18, v7
	v_fma_f32 v20, -v9, v11, 1.0
	v_fmac_f32_e32 v11, v20, v11
	v_mul_f32_e32 v20, v19, v11
	v_fma_f32 v21, -v9, v20, v19
	v_fmac_f32_e32 v20, v21, v11
	v_fma_f32 v9, -v9, v20, v19
	v_div_fmas_f32 v9, v9, v11, v20
	v_div_fixup_f32 v7, v9, v18, v7
	v_min_f32_e32 v7, 0x43600000, v7
	v_max_f32_e32 v7, 0xc3600000, v7
	v_and_b32_e32 v9, 0x7fffffff, v7
	v_cmp_gt_u32_e32 vcc, s23, v9
	s_and_saveexec_b64 s[6:7], vcc
	s_cbranch_execz .LBB43_139
; %bb.134:                              ;   in Loop: Header=BB43_65 Depth=1
	v_cmp_lt_u32_e32 vcc, s24, v9
	s_mov_b64 s[8:9], 0
                                        ; implicit-def: $vgpr9
	s_and_saveexec_b64 s[10:11], vcc
	s_xor_b64 s[10:11], exec, s[10:11]
	s_cbranch_execnz .LBB43_184
; %bb.135:                              ;   in Loop: Header=BB43_65 Depth=1
	s_or_saveexec_b64 s[10:11], s[10:11]
                                        ; implicit-def: $sgpr16
	s_xor_b64 exec, exec, s[10:11]
	s_cbranch_execnz .LBB43_185
.LBB43_136:                             ;   in Loop: Header=BB43_65 Depth=1
	s_or_b64 exec, exec, s[10:11]
	v_mov_b32_e32 v6, s16
	s_and_saveexec_b64 s[10:11], s[8:9]
.LBB43_137:                             ;   in Loop: Header=BB43_65 Depth=1
	v_lshrrev_b32_e32 v6, 24, v7
	v_and_or_b32 v6, v6, s27, v9
.LBB43_138:                             ;   in Loop: Header=BB43_65 Depth=1
	s_or_b64 exec, exec, s[10:11]
.LBB43_139:                             ;   in Loop: Header=BB43_65 Depth=1
	s_or_b64 exec, exec, s[6:7]
	v_lshlrev_b64 v[4:5], 2, v[4:5]
	v_mov_b32_e32 v7, s18
	v_add_co_u32_e32 v4, vcc, s13, v4
	v_addc_co_u32_e32 v5, vcc, v7, v5, vcc
	v_lshlrev_b32_e32 v7, 16, v8
	v_lshlrev_b32_e32 v3, 8, v3
	v_perm_b32 v6, v6, v7, s28
	v_and_b32_e32 v3, 0xff00, v3
	v_and_b32_e32 v7, 0xff, v10
	v_add_u32_e32 v0, s21, v0
	v_or3_b32 v3, v6, v3, v7
	v_cmp_gt_u32_e32 vcc, s12, v0
	s_mov_b64 s[8:9], -1
	global_store_dword v[4:5], v3, off
	s_and_saveexec_b64 s[6:7], vcc
	s_cbranch_execz .LBB43_62
; %bb.140:                              ;   in Loop: Header=BB43_65 Depth=1
	v_lshlrev_b64 v[4:5], 3, v[0:1]
	v_mov_b32_e32 v3, s44
	v_add_co_u32_e32 v6, vcc, s33, v4
	v_addc_co_u32_e32 v7, vcc, v3, v5, vcc
	v_mov_b32_e32 v8, s46
	v_add_co_u32_e32 v18, vcc, s45, v4
	v_addc_co_u32_e32 v19, vcc, v8, v5, vcc
	global_load_dwordx2 v[6:7], v[6:7], off
	v_mov_b32_e32 v3, s15
	global_load_dwordx2 v[8:9], v[18:19], off
	v_add_co_u32_e32 v4, vcc, s14, v4
	v_addc_co_u32_e32 v5, vcc, v3, v5, vcc
	v_bfe_u32 v3, v0, 5, 25
	v_mad_u64_u32 v[10:11], s[8:9], v12, v3, 0
	v_mov_b32_e32 v20, v11
	global_load_dwordx2 v[4:5], v[4:5], off
	v_mad_u64_u32 v[20:21], s[8:9], v13, v3, v[20:21]
	v_mov_b32_e32 v11, v20
	v_lshlrev_b64 v[10:11], 2, v[10:11]
	v_mov_b32_e32 v3, s20
	v_add_co_u32_e32 v10, vcc, s19, v10
	v_addc_co_u32_e32 v11, vcc, v3, v11, vcc
	global_load_dword v10, v[10:11], off
	v_mov_b32_e32 v3, 0x80
	s_waitcnt vmcnt(3)
	v_cvt_f32_f16_e32 v22, v6
	v_cvt_f32_f16_sdwa v23, v6 dst_sel:DWORD dst_unused:UNUSED_PAD src0_sel:WORD_1
	s_waitcnt vmcnt(2)
	v_cvt_f32_f16_e32 v24, v8
	v_cvt_f32_f16_sdwa v25, v8 dst_sel:DWORD dst_unused:UNUSED_PAD src0_sel:WORD_1
	v_cvt_f32_f16_e32 v20, v7
	v_cvt_f32_f16_sdwa v21, v7 dst_sel:DWORD dst_unused:UNUSED_PAD src0_sel:WORD_1
	;; [unrolled: 2-line block ×3, first 2 shown]
	v_pk_add_f32 v[8:9], v[22:23], v[24:25]
	v_cvt_f16_f32_e32 v23, v8
	v_fma_mixlo_f16 v8, v36, v8, 0
	v_pk_add_f32 v[6:7], v[20:21], v[6:7]
	s_waitcnt vmcnt(1)
	v_mul_f16_e32 v8, v4, v8
	v_cvt_f16_f32_e32 v11, v7
	v_cvt_f16_f32_e32 v20, v6
	v_cvt_f32_f16_e32 v8, v8
	v_cvt_f16_f32_e32 v22, v9
	v_pack_b32_f16 v21, v20, v11
	v_pack_b32_f16 v20, v23, v22
	s_waitcnt vmcnt(0)
	v_div_scale_f32 v11, s[8:9], v10, v10, v8
	v_rcp_f32_e32 v22, v11
	global_store_dwordx2 v[18:19], v[20:21], off
	v_div_scale_f32 v18, vcc, v8, v10, v8
	v_fma_f32 v19, -v11, v22, 1.0
	v_fmac_f32_e32 v22, v19, v22
	v_mul_f32_e32 v19, v18, v22
	v_fma_f32 v20, -v11, v19, v18
	v_fmac_f32_e32 v19, v20, v22
	v_fma_f32 v11, -v11, v19, v18
	v_div_fmas_f32 v11, v11, v22, v19
	v_div_fixup_f32 v8, v11, v10, v8
	v_min_f32_e32 v8, 0x43600000, v8
	v_max_f32_e32 v11, 0xc3600000, v8
	v_and_b32_e32 v18, 0x7fffffff, v11
	v_cmp_gt_u32_e32 vcc, s23, v18
	v_mov_b32_e32 v8, 0x80
	s_and_saveexec_b64 s[8:9], vcc
	s_cbranch_execz .LBB43_146
; %bb.141:                              ;   in Loop: Header=BB43_65 Depth=1
	v_cmp_lt_u32_e32 vcc, s24, v18
	s_mov_b64 s[10:11], 0
                                        ; implicit-def: $vgpr18
	s_and_saveexec_b64 s[16:17], vcc
	s_xor_b64 s[16:17], exec, s[16:17]
	s_cbranch_execnz .LBB43_186
; %bb.142:                              ;   in Loop: Header=BB43_65 Depth=1
	s_or_saveexec_b64 s[16:17], s[16:17]
                                        ; implicit-def: $sgpr29
	s_xor_b64 exec, exec, s[16:17]
	s_cbranch_execnz .LBB43_187
.LBB43_143:                             ;   in Loop: Header=BB43_65 Depth=1
	s_or_b64 exec, exec, s[16:17]
	v_mov_b32_e32 v8, s29
	s_and_saveexec_b64 s[16:17], s[10:11]
.LBB43_144:                             ;   in Loop: Header=BB43_65 Depth=1
	v_lshrrev_b32_e32 v8, 24, v11
	v_and_or_b32 v8, v8, s27, v18
.LBB43_145:                             ;   in Loop: Header=BB43_65 Depth=1
	s_or_b64 exec, exec, s[16:17]
.LBB43_146:                             ;   in Loop: Header=BB43_65 Depth=1
	s_or_b64 exec, exec, s[8:9]
	v_fma_mixlo_f16 v9, v36, v9, 0
	v_mul_f16_sdwa v4, v4, v9 dst_sel:DWORD dst_unused:UNUSED_PAD src0_sel:WORD_1 src1_sel:DWORD
	v_cvt_f32_f16_e32 v4, v4
	v_div_scale_f32 v9, s[8:9], v10, v10, v4
	v_rcp_f32_e32 v11, v9
	v_div_scale_f32 v18, vcc, v4, v10, v4
	v_fma_f32 v19, -v9, v11, 1.0
	v_fmac_f32_e32 v11, v19, v11
	v_mul_f32_e32 v19, v18, v11
	v_fma_f32 v20, -v9, v19, v18
	v_fmac_f32_e32 v19, v20, v11
	v_fma_f32 v9, -v9, v19, v18
	v_div_fmas_f32 v9, v9, v11, v19
	v_div_fixup_f32 v4, v9, v10, v4
	v_min_f32_e32 v4, 0x43600000, v4
	v_max_f32_e32 v4, 0xc3600000, v4
	v_and_b32_e32 v9, 0x7fffffff, v4
	v_cmp_gt_u32_e32 vcc, s23, v9
	s_and_saveexec_b64 s[8:9], vcc
	s_cbranch_execz .LBB43_152
; %bb.147:                              ;   in Loop: Header=BB43_65 Depth=1
	v_cmp_lt_u32_e32 vcc, s24, v9
	s_mov_b64 s[10:11], 0
                                        ; implicit-def: $vgpr9
	s_and_saveexec_b64 s[16:17], vcc
	s_xor_b64 s[16:17], exec, s[16:17]
	s_cbranch_execnz .LBB43_188
; %bb.148:                              ;   in Loop: Header=BB43_65 Depth=1
	s_or_saveexec_b64 s[16:17], s[16:17]
                                        ; implicit-def: $sgpr29
	s_xor_b64 exec, exec, s[16:17]
	s_cbranch_execnz .LBB43_189
.LBB43_149:                             ;   in Loop: Header=BB43_65 Depth=1
	s_or_b64 exec, exec, s[16:17]
	v_mov_b32_e32 v3, s29
	s_and_saveexec_b64 s[16:17], s[10:11]
.LBB43_150:                             ;   in Loop: Header=BB43_65 Depth=1
	v_lshrrev_b32_e32 v3, 24, v4
	v_and_or_b32 v3, v3, s27, v9
.LBB43_151:                             ;   in Loop: Header=BB43_65 Depth=1
	s_or_b64 exec, exec, s[16:17]
.LBB43_152:                             ;   in Loop: Header=BB43_65 Depth=1
	s_or_b64 exec, exec, s[8:9]
	v_fma_mixlo_f16 v4, v36, v6, 0
	v_mul_f16_e32 v4, v5, v4
	v_cvt_f32_f16_e32 v6, v4
	v_mov_b32_e32 v4, 0x80
	v_div_scale_f32 v9, s[8:9], v10, v10, v6
	v_rcp_f32_e32 v11, v9
	v_div_scale_f32 v18, vcc, v6, v10, v6
	v_fma_f32 v19, -v9, v11, 1.0
	v_fmac_f32_e32 v11, v19, v11
	v_mul_f32_e32 v19, v18, v11
	v_fma_f32 v20, -v9, v19, v18
	v_fmac_f32_e32 v19, v20, v11
	v_fma_f32 v9, -v9, v19, v18
	v_div_fmas_f32 v9, v9, v11, v19
	v_div_fixup_f32 v6, v9, v10, v6
	v_min_f32_e32 v6, 0x43600000, v6
	v_max_f32_e32 v9, 0xc3600000, v6
	v_and_b32_e32 v11, 0x7fffffff, v9
	v_cmp_gt_u32_e32 vcc, s23, v11
	v_mov_b32_e32 v6, 0x80
	s_and_saveexec_b64 s[8:9], vcc
	s_cbranch_execz .LBB43_158
; %bb.153:                              ;   in Loop: Header=BB43_65 Depth=1
	v_cmp_lt_u32_e32 vcc, s24, v11
	s_mov_b64 s[10:11], 0
                                        ; implicit-def: $vgpr11
	s_and_saveexec_b64 s[16:17], vcc
	s_xor_b64 s[16:17], exec, s[16:17]
	s_cbranch_execnz .LBB43_190
; %bb.154:                              ;   in Loop: Header=BB43_65 Depth=1
	s_or_saveexec_b64 s[16:17], s[16:17]
                                        ; implicit-def: $sgpr29
	s_xor_b64 exec, exec, s[16:17]
	s_cbranch_execnz .LBB43_191
.LBB43_155:                             ;   in Loop: Header=BB43_65 Depth=1
	s_or_b64 exec, exec, s[16:17]
	v_mov_b32_e32 v6, s29
	s_and_saveexec_b64 s[16:17], s[10:11]
.LBB43_156:                             ;   in Loop: Header=BB43_65 Depth=1
	v_lshrrev_b32_e32 v6, 24, v9
	v_and_or_b32 v6, v6, s27, v11
.LBB43_157:                             ;   in Loop: Header=BB43_65 Depth=1
	s_or_b64 exec, exec, s[16:17]
.LBB43_158:                             ;   in Loop: Header=BB43_65 Depth=1
	s_or_b64 exec, exec, s[8:9]
	v_fma_mixlo_f16 v7, v36, v7, 0
	v_mul_f16_sdwa v5, v5, v7 dst_sel:DWORD dst_unused:UNUSED_PAD src0_sel:WORD_1 src1_sel:DWORD
	v_cvt_f32_f16_e32 v5, v5
	v_div_scale_f32 v7, s[8:9], v10, v10, v5
	v_rcp_f32_e32 v9, v7
	v_div_scale_f32 v11, vcc, v5, v10, v5
	v_fma_f32 v18, -v7, v9, 1.0
	v_fmac_f32_e32 v9, v18, v9
	v_mul_f32_e32 v18, v11, v9
	v_fma_f32 v19, -v7, v18, v11
	v_fmac_f32_e32 v18, v19, v9
	v_fma_f32 v7, -v7, v18, v11
	v_div_fmas_f32 v7, v7, v9, v18
	v_div_fixup_f32 v5, v7, v10, v5
	v_min_f32_e32 v5, 0x43600000, v5
	v_max_f32_e32 v5, 0xc3600000, v5
	v_and_b32_e32 v7, 0x7fffffff, v5
	v_cmp_gt_u32_e32 vcc, s23, v7
	s_and_saveexec_b64 s[8:9], vcc
	s_cbranch_execz .LBB43_61
; %bb.159:                              ;   in Loop: Header=BB43_65 Depth=1
	v_cmp_lt_u32_e32 vcc, s24, v7
	s_mov_b64 s[10:11], 0
                                        ; implicit-def: $vgpr7
	s_and_saveexec_b64 s[16:17], vcc
	s_xor_b64 s[16:17], exec, s[16:17]
	s_cbranch_execnz .LBB43_192
; %bb.160:                              ;   in Loop: Header=BB43_65 Depth=1
	s_or_saveexec_b64 s[16:17], s[16:17]
                                        ; implicit-def: $sgpr29
	s_xor_b64 exec, exec, s[16:17]
	s_cbranch_execnz .LBB43_193
.LBB43_161:                             ;   in Loop: Header=BB43_65 Depth=1
	s_or_b64 exec, exec, s[16:17]
	v_mov_b32_e32 v4, s29
	s_and_saveexec_b64 s[16:17], s[10:11]
	s_cbranch_execz .LBB43_60
	s_branch .LBB43_194
.LBB43_162:                             ;   in Loop: Header=BB43_65 Depth=1
	v_bfe_u32 v6, v10, 20, 1
	v_add3_u32 v6, v10, v6, s25
	s_mov_b64 s[4:5], exec
	v_lshrrev_b32_e32 v11, 20, v6
	s_or_saveexec_b64 s[6:7], s[6:7]
                                        ; implicit-def: $sgpr8
	s_xor_b64 exec, exec, s[6:7]
	s_cbranch_execz .LBB43_68
.LBB43_163:                             ;   in Loop: Header=BB43_65 Depth=1
	v_add_f32_e64 v6, |v10|, s26
	v_and_b32_e32 v11, 0xff, v6
	v_cmp_ne_u32_e32 vcc, 0, v11
	s_andn2_b64 s[4:5], s[4:5], exec
	s_and_b64 s[10:11], vcc, exec
	s_mov_b32 s8, 0
	s_or_b64 s[4:5], s[4:5], s[10:11]
	s_or_b64 exec, exec, s[6:7]
	v_mov_b32_e32 v6, s8
	s_and_saveexec_b64 s[6:7], s[4:5]
	s_cbranch_execnz .LBB43_69
	s_branch .LBB43_70
.LBB43_164:                             ;   in Loop: Header=BB43_65 Depth=1
	v_bfe_u32 v7, v2, 20, 1
	v_add3_u32 v7, v2, v7, s25
	s_mov_b64 s[4:5], exec
	v_lshrrev_b32_e32 v7, 20, v7
	s_or_saveexec_b64 s[6:7], s[6:7]
                                        ; implicit-def: $sgpr8
	s_xor_b64 exec, exec, s[6:7]
	s_cbranch_execz .LBB43_74
.LBB43_165:                             ;   in Loop: Header=BB43_65 Depth=1
	v_add_f32_e64 v7, |v2|, s26
	v_and_b32_e32 v7, 0xff, v7
	v_cmp_ne_u32_e32 vcc, 0, v7
	s_andn2_b64 s[4:5], s[4:5], exec
	s_and_b64 s[10:11], vcc, exec
	s_mov_b32 s8, 0
	s_or_b64 s[4:5], s[4:5], s[10:11]
	s_or_b64 exec, exec, s[6:7]
	v_mov_b32_e32 v8, s8
	s_and_saveexec_b64 s[6:7], s[4:5]
	s_cbranch_execnz .LBB43_75
	s_branch .LBB43_76
.LBB43_166:                             ;   in Loop: Header=BB43_65 Depth=1
	v_bfe_u32 v4, v7, 20, 1
	v_add3_u32 v4, v7, v4, s25
	s_mov_b64 s[4:5], exec
	v_lshrrev_b32_e32 v10, 20, v4
	s_or_saveexec_b64 s[6:7], s[6:7]
                                        ; implicit-def: $sgpr8
	s_xor_b64 exec, exec, s[6:7]
	s_cbranch_execz .LBB43_80
.LBB43_167:                             ;   in Loop: Header=BB43_65 Depth=1
	v_add_f32_e64 v4, |v7|, s26
	v_and_b32_e32 v10, 0xff, v4
	v_cmp_ne_u32_e32 vcc, 0, v10
	s_andn2_b64 s[4:5], s[4:5], exec
	s_and_b64 s[10:11], vcc, exec
	s_mov_b32 s8, 0
	s_or_b64 s[4:5], s[4:5], s[10:11]
	s_or_b64 exec, exec, s[6:7]
	v_mov_b32_e32 v4, s8
	s_and_saveexec_b64 s[6:7], s[4:5]
	s_cbranch_execnz .LBB43_81
	s_branch .LBB43_82
.LBB43_168:                             ;   in Loop: Header=BB43_65 Depth=1
	v_bfe_u32 v2, v3, 20, 1
	v_add3_u32 v2, v3, v2, s25
	s_mov_b64 s[4:5], exec
	v_lshrrev_b32_e32 v5, 20, v2
	s_or_saveexec_b64 s[6:7], s[6:7]
                                        ; implicit-def: $sgpr8
	s_xor_b64 exec, exec, s[6:7]
	s_cbranch_execz .LBB43_86
.LBB43_169:                             ;   in Loop: Header=BB43_65 Depth=1
	v_add_f32_e64 v2, |v3|, s26
	v_and_b32_e32 v5, 0xff, v2
	v_cmp_ne_u32_e32 vcc, 0, v5
	s_andn2_b64 s[4:5], s[4:5], exec
	s_and_b64 s[10:11], vcc, exec
	s_mov_b32 s8, 0
	s_or_b64 s[4:5], s[4:5], s[10:11]
	s_or_b64 exec, exec, s[6:7]
	v_mov_b32_e32 v2, s8
	s_and_saveexec_b64 s[6:7], s[4:5]
	s_cbranch_execnz .LBB43_87
	s_branch .LBB43_88
.LBB43_170:                             ;   in Loop: Header=BB43_65 Depth=1
	v_bfe_u32 v8, v18, 20, 1
	v_add3_u32 v8, v18, v8, s25
	s_mov_b64 s[6:7], exec
	v_lshrrev_b32_e32 v19, 20, v8
	s_or_saveexec_b64 s[8:9], s[8:9]
                                        ; implicit-def: $sgpr10
	s_xor_b64 exec, exec, s[8:9]
	s_cbranch_execz .LBB43_93
.LBB43_171:                             ;   in Loop: Header=BB43_65 Depth=1
	v_add_f32_e64 v8, |v18|, s26
	v_and_b32_e32 v19, 0xff, v8
	v_cmp_ne_u32_e32 vcc, 0, v19
	s_andn2_b64 s[6:7], s[6:7], exec
	s_and_b64 s[16:17], vcc, exec
	s_mov_b32 s10, 0
	s_or_b64 s[6:7], s[6:7], s[16:17]
	s_or_b64 exec, exec, s[8:9]
	v_mov_b32_e32 v8, s10
	s_and_saveexec_b64 s[8:9], s[6:7]
	s_cbranch_execnz .LBB43_94
	s_branch .LBB43_95
.LBB43_172:                             ;   in Loop: Header=BB43_65 Depth=1
	v_bfe_u32 v9, v4, 20, 1
	v_add3_u32 v9, v4, v9, s25
	s_mov_b64 s[6:7], exec
	v_lshrrev_b32_e32 v9, 20, v9
	s_or_saveexec_b64 s[8:9], s[8:9]
                                        ; implicit-def: $sgpr10
	s_xor_b64 exec, exec, s[8:9]
	s_cbranch_execz .LBB43_99
.LBB43_173:                             ;   in Loop: Header=BB43_65 Depth=1
	v_add_f32_e64 v9, |v4|, s26
	v_and_b32_e32 v9, 0xff, v9
	v_cmp_ne_u32_e32 vcc, 0, v9
	s_andn2_b64 s[6:7], s[6:7], exec
	s_and_b64 s[16:17], vcc, exec
	s_mov_b32 s10, 0
	s_or_b64 s[6:7], s[6:7], s[16:17]
	s_or_b64 exec, exec, s[8:9]
	v_mov_b32_e32 v10, s10
	s_and_saveexec_b64 s[8:9], s[6:7]
	s_cbranch_execnz .LBB43_100
	s_branch .LBB43_101
.LBB43_174:                             ;   in Loop: Header=BB43_65 Depth=1
	v_bfe_u32 v6, v9, 20, 1
	v_add3_u32 v6, v9, v6, s25
	s_mov_b64 s[6:7], exec
	v_lshrrev_b32_e32 v18, 20, v6
	s_or_saveexec_b64 s[8:9], s[8:9]
                                        ; implicit-def: $sgpr10
	s_xor_b64 exec, exec, s[8:9]
	s_cbranch_execz .LBB43_105
.LBB43_175:                             ;   in Loop: Header=BB43_65 Depth=1
	v_add_f32_e64 v6, |v9|, s26
	v_and_b32_e32 v18, 0xff, v6
	v_cmp_ne_u32_e32 vcc, 0, v18
	s_andn2_b64 s[6:7], s[6:7], exec
	s_and_b64 s[16:17], vcc, exec
	s_mov_b32 s10, 0
	s_or_b64 s[6:7], s[6:7], s[16:17]
	s_or_b64 exec, exec, s[8:9]
	v_mov_b32_e32 v6, s10
	s_and_saveexec_b64 s[8:9], s[6:7]
	s_cbranch_execnz .LBB43_106
	s_branch .LBB43_107
.LBB43_176:                             ;   in Loop: Header=BB43_65 Depth=1
	v_bfe_u32 v4, v5, 20, 1
	v_add3_u32 v4, v5, v4, s25
	s_mov_b64 s[6:7], exec
	v_lshrrev_b32_e32 v7, 20, v4
	s_or_saveexec_b64 s[8:9], s[8:9]
                                        ; implicit-def: $sgpr10
	s_xor_b64 exec, exec, s[8:9]
	s_cbranch_execz .LBB43_111
.LBB43_177:                             ;   in Loop: Header=BB43_65 Depth=1
	v_add_f32_e64 v4, |v5|, s26
	v_and_b32_e32 v7, 0xff, v4
	v_cmp_ne_u32_e32 vcc, 0, v7
	s_andn2_b64 s[6:7], s[6:7], exec
	s_and_b64 s[16:17], vcc, exec
	s_mov_b32 s10, 0
	s_or_b64 s[6:7], s[6:7], s[16:17]
	s_or_b64 exec, exec, s[8:9]
	v_mov_b32_e32 v4, s10
	s_and_saveexec_b64 s[8:9], s[6:7]
	s_cbranch_execnz .LBB43_112
	s_branch .LBB43_113
.LBB43_178:                             ;   in Loop: Header=BB43_65 Depth=1
	v_bfe_u32 v10, v19, 20, 1
	v_add3_u32 v10, v19, v10, s25
	s_mov_b64 s[8:9], exec
	v_lshrrev_b32_e32 v20, 20, v10
	s_or_saveexec_b64 s[10:11], s[10:11]
                                        ; implicit-def: $sgpr16
	s_xor_b64 exec, exec, s[10:11]
	s_cbranch_execz .LBB43_118
.LBB43_179:                             ;   in Loop: Header=BB43_65 Depth=1
	v_add_f32_e64 v10, |v19|, s26
	v_and_b32_e32 v20, 0xff, v10
	v_cmp_ne_u32_e32 vcc, 0, v20
	s_andn2_b64 s[8:9], s[8:9], exec
	s_and_b64 s[30:31], vcc, exec
	s_mov_b32 s16, 0
	s_or_b64 s[8:9], s[8:9], s[30:31]
	s_or_b64 exec, exec, s[10:11]
	v_mov_b32_e32 v10, s16
	s_and_saveexec_b64 s[10:11], s[8:9]
	s_cbranch_execnz .LBB43_119
	s_branch .LBB43_120
.LBB43_180:                             ;   in Loop: Header=BB43_65 Depth=1
	v_bfe_u32 v3, v6, 20, 1
	v_add3_u32 v3, v6, v3, s25
	s_mov_b64 s[8:9], exec
	v_lshrrev_b32_e32 v11, 20, v3
	s_or_saveexec_b64 s[10:11], s[10:11]
                                        ; implicit-def: $sgpr16
	s_xor_b64 exec, exec, s[10:11]
	s_cbranch_execz .LBB43_124
.LBB43_181:                             ;   in Loop: Header=BB43_65 Depth=1
	v_add_f32_e64 v3, |v6|, s26
	v_and_b32_e32 v11, 0xff, v3
	v_cmp_ne_u32_e32 vcc, 0, v11
	s_andn2_b64 s[8:9], s[8:9], exec
	s_and_b64 s[30:31], vcc, exec
	s_mov_b32 s16, 0
	s_or_b64 s[8:9], s[8:9], s[30:31]
	s_or_b64 exec, exec, s[10:11]
	v_mov_b32_e32 v3, s16
	s_and_saveexec_b64 s[10:11], s[8:9]
	s_cbranch_execnz .LBB43_125
	s_branch .LBB43_126
.LBB43_182:                             ;   in Loop: Header=BB43_65 Depth=1
	v_bfe_u32 v8, v11, 20, 1
	v_add3_u32 v8, v11, v8, s25
	s_mov_b64 s[8:9], exec
	v_lshrrev_b32_e32 v19, 20, v8
	s_or_saveexec_b64 s[10:11], s[10:11]
                                        ; implicit-def: $sgpr16
	s_xor_b64 exec, exec, s[10:11]
	s_cbranch_execz .LBB43_130
.LBB43_183:                             ;   in Loop: Header=BB43_65 Depth=1
	v_add_f32_e64 v8, |v11|, s26
	v_and_b32_e32 v19, 0xff, v8
	v_cmp_ne_u32_e32 vcc, 0, v19
	s_andn2_b64 s[8:9], s[8:9], exec
	s_and_b64 s[30:31], vcc, exec
	s_mov_b32 s16, 0
	s_or_b64 s[8:9], s[8:9], s[30:31]
	s_or_b64 exec, exec, s[10:11]
	v_mov_b32_e32 v8, s16
	s_and_saveexec_b64 s[10:11], s[8:9]
	s_cbranch_execnz .LBB43_131
	s_branch .LBB43_132
.LBB43_184:                             ;   in Loop: Header=BB43_65 Depth=1
	v_bfe_u32 v6, v7, 20, 1
	v_add3_u32 v6, v7, v6, s25
	s_mov_b64 s[8:9], exec
	v_lshrrev_b32_e32 v9, 20, v6
	s_or_saveexec_b64 s[10:11], s[10:11]
                                        ; implicit-def: $sgpr16
	s_xor_b64 exec, exec, s[10:11]
	s_cbranch_execz .LBB43_136
.LBB43_185:                             ;   in Loop: Header=BB43_65 Depth=1
	v_add_f32_e64 v6, |v7|, s26
	v_and_b32_e32 v9, 0xff, v6
	v_cmp_ne_u32_e32 vcc, 0, v9
	s_andn2_b64 s[8:9], s[8:9], exec
	s_and_b64 s[30:31], vcc, exec
	s_mov_b32 s16, 0
	s_or_b64 s[8:9], s[8:9], s[30:31]
	s_or_b64 exec, exec, s[10:11]
	v_mov_b32_e32 v6, s16
	s_and_saveexec_b64 s[10:11], s[8:9]
	s_cbranch_execnz .LBB43_137
	s_branch .LBB43_138
.LBB43_186:                             ;   in Loop: Header=BB43_65 Depth=1
	v_bfe_u32 v8, v11, 20, 1
	v_add3_u32 v8, v11, v8, s25
	s_mov_b64 s[10:11], exec
	v_lshrrev_b32_e32 v18, 20, v8
	s_or_saveexec_b64 s[16:17], s[16:17]
                                        ; implicit-def: $sgpr29
	s_xor_b64 exec, exec, s[16:17]
	s_cbranch_execz .LBB43_143
.LBB43_187:                             ;   in Loop: Header=BB43_65 Depth=1
	v_add_f32_e64 v8, |v11|, s26
	v_and_b32_e32 v18, 0xff, v8
	v_cmp_ne_u32_e32 vcc, 0, v18
	s_andn2_b64 s[10:11], s[10:11], exec
	s_and_b64 s[30:31], vcc, exec
	s_mov_b32 s29, 0
	s_or_b64 s[10:11], s[10:11], s[30:31]
	s_or_b64 exec, exec, s[16:17]
	v_mov_b32_e32 v8, s29
	s_and_saveexec_b64 s[16:17], s[10:11]
	s_cbranch_execnz .LBB43_144
	s_branch .LBB43_145
.LBB43_188:                             ;   in Loop: Header=BB43_65 Depth=1
	v_bfe_u32 v3, v4, 20, 1
	v_add3_u32 v3, v4, v3, s25
	s_mov_b64 s[10:11], exec
	v_lshrrev_b32_e32 v9, 20, v3
	s_or_saveexec_b64 s[16:17], s[16:17]
                                        ; implicit-def: $sgpr29
	s_xor_b64 exec, exec, s[16:17]
	s_cbranch_execz .LBB43_149
.LBB43_189:                             ;   in Loop: Header=BB43_65 Depth=1
	v_add_f32_e64 v3, |v4|, s26
	v_and_b32_e32 v9, 0xff, v3
	v_cmp_ne_u32_e32 vcc, 0, v9
	s_andn2_b64 s[10:11], s[10:11], exec
	s_and_b64 s[30:31], vcc, exec
	s_mov_b32 s29, 0
	s_or_b64 s[10:11], s[10:11], s[30:31]
	s_or_b64 exec, exec, s[16:17]
	v_mov_b32_e32 v3, s29
	s_and_saveexec_b64 s[16:17], s[10:11]
	s_cbranch_execnz .LBB43_150
	s_branch .LBB43_151
.LBB43_190:                             ;   in Loop: Header=BB43_65 Depth=1
	v_bfe_u32 v6, v9, 20, 1
	v_add3_u32 v6, v9, v6, s25
	s_mov_b64 s[10:11], exec
	v_lshrrev_b32_e32 v11, 20, v6
	s_or_saveexec_b64 s[16:17], s[16:17]
                                        ; implicit-def: $sgpr29
	s_xor_b64 exec, exec, s[16:17]
	s_cbranch_execz .LBB43_155
.LBB43_191:                             ;   in Loop: Header=BB43_65 Depth=1
	v_add_f32_e64 v6, |v9|, s26
	v_and_b32_e32 v11, 0xff, v6
	v_cmp_ne_u32_e32 vcc, 0, v11
	s_andn2_b64 s[10:11], s[10:11], exec
	s_and_b64 s[30:31], vcc, exec
	s_mov_b32 s29, 0
	s_or_b64 s[10:11], s[10:11], s[30:31]
	s_or_b64 exec, exec, s[16:17]
	v_mov_b32_e32 v6, s29
	s_and_saveexec_b64 s[16:17], s[10:11]
	s_cbranch_execnz .LBB43_156
	s_branch .LBB43_157
.LBB43_192:                             ;   in Loop: Header=BB43_65 Depth=1
	v_bfe_u32 v4, v5, 20, 1
	v_add3_u32 v4, v5, v4, s25
	s_mov_b64 s[10:11], exec
	v_lshrrev_b32_e32 v7, 20, v4
	s_or_saveexec_b64 s[16:17], s[16:17]
                                        ; implicit-def: $sgpr29
	s_xor_b64 exec, exec, s[16:17]
	s_cbranch_execz .LBB43_161
.LBB43_193:                             ;   in Loop: Header=BB43_65 Depth=1
	v_add_f32_e64 v4, |v5|, s26
	v_and_b32_e32 v7, 0xff, v4
	v_cmp_ne_u32_e32 vcc, 0, v7
	s_andn2_b64 s[10:11], s[10:11], exec
	s_and_b64 s[30:31], vcc, exec
	s_mov_b32 s29, 0
	s_or_b64 s[10:11], s[10:11], s[30:31]
	s_or_b64 exec, exec, s[16:17]
	v_mov_b32_e32 v4, s29
	s_and_saveexec_b64 s[16:17], s[10:11]
	s_cbranch_execz .LBB43_60
.LBB43_194:                             ;   in Loop: Header=BB43_65 Depth=1
	v_lshrrev_b32_e32 v4, 24, v5
	v_and_or_b32 v4, v4, s27, v7
	s_branch .LBB43_60
.LBB43_195:
	s_endpgm
.LBB43_196:
                                        ; implicit-def: $vgpr4_vgpr5
	s_andn2_b64 vcc, exec, s[24:25]
	s_cbranch_vccz .LBB43_53
	s_branch .LBB43_54
.LBB43_197:
                                        ; implicit-def: $vgpr2_vgpr3
	s_andn2_b64 vcc, exec, s[20:21]
	s_cbranch_vccz .LBB43_58
	s_branch .LBB43_59
	.section	.rodata,"a",@progbits
	.p2align	6, 0x0
	.amdhsa_kernel _ZN4vllm31rms_norm_per_block_quant_kernelIN3c104HalfENS1_15Float8_e4m3fnuzELb1ELb1ELi128EEEvPT0_PfPKT_S9_PKffiiPS7_l
		.amdhsa_group_segment_fixed_size 4164
		.amdhsa_private_segment_fixed_size 0
		.amdhsa_kernarg_size 328
		.amdhsa_user_sgpr_count 6
		.amdhsa_user_sgpr_private_segment_buffer 1
		.amdhsa_user_sgpr_dispatch_ptr 0
		.amdhsa_user_sgpr_queue_ptr 0
		.amdhsa_user_sgpr_kernarg_segment_ptr 1
		.amdhsa_user_sgpr_dispatch_id 0
		.amdhsa_user_sgpr_flat_scratch_init 0
		.amdhsa_user_sgpr_kernarg_preload_length 0
		.amdhsa_user_sgpr_kernarg_preload_offset 0
		.amdhsa_user_sgpr_private_segment_size 0
		.amdhsa_uses_dynamic_stack 0
		.amdhsa_system_sgpr_private_segment_wavefront_offset 0
		.amdhsa_system_sgpr_workgroup_id_x 1
		.amdhsa_system_sgpr_workgroup_id_y 0
		.amdhsa_system_sgpr_workgroup_id_z 0
		.amdhsa_system_sgpr_workgroup_info 0
		.amdhsa_system_vgpr_workitem_id 0
		.amdhsa_next_free_vgpr 40
		.amdhsa_next_free_sgpr 49
		.amdhsa_accum_offset 40
		.amdhsa_reserve_vcc 1
		.amdhsa_reserve_flat_scratch 0
		.amdhsa_float_round_mode_32 0
		.amdhsa_float_round_mode_16_64 0
		.amdhsa_float_denorm_mode_32 3
		.amdhsa_float_denorm_mode_16_64 3
		.amdhsa_dx10_clamp 1
		.amdhsa_ieee_mode 1
		.amdhsa_fp16_overflow 0
		.amdhsa_tg_split 0
		.amdhsa_exception_fp_ieee_invalid_op 0
		.amdhsa_exception_fp_denorm_src 0
		.amdhsa_exception_fp_ieee_div_zero 0
		.amdhsa_exception_fp_ieee_overflow 0
		.amdhsa_exception_fp_ieee_underflow 0
		.amdhsa_exception_fp_ieee_inexact 0
		.amdhsa_exception_int_div_zero 0
	.end_amdhsa_kernel
	.section	.text._ZN4vllm31rms_norm_per_block_quant_kernelIN3c104HalfENS1_15Float8_e4m3fnuzELb1ELb1ELi128EEEvPT0_PfPKT_S9_PKffiiPS7_l,"axG",@progbits,_ZN4vllm31rms_norm_per_block_quant_kernelIN3c104HalfENS1_15Float8_e4m3fnuzELb1ELb1ELi128EEEvPT0_PfPKT_S9_PKffiiPS7_l,comdat
.Lfunc_end43:
	.size	_ZN4vllm31rms_norm_per_block_quant_kernelIN3c104HalfENS1_15Float8_e4m3fnuzELb1ELb1ELi128EEEvPT0_PfPKT_S9_PKffiiPS7_l, .Lfunc_end43-_ZN4vllm31rms_norm_per_block_quant_kernelIN3c104HalfENS1_15Float8_e4m3fnuzELb1ELb1ELi128EEEvPT0_PfPKT_S9_PKffiiPS7_l
                                        ; -- End function
	.section	.AMDGPU.csdata,"",@progbits
; Kernel info:
; codeLenInByte = 12368
; NumSgprs: 53
; NumVgprs: 40
; NumAgprs: 0
; TotalNumVgprs: 40
; ScratchSize: 0
; MemoryBound: 0
; FloatMode: 240
; IeeeMode: 1
; LDSByteSize: 4164 bytes/workgroup (compile time only)
; SGPRBlocks: 6
; VGPRBlocks: 4
; NumSGPRsForWavesPerEU: 53
; NumVGPRsForWavesPerEU: 40
; AccumOffset: 40
; Occupancy: 8
; WaveLimiterHint : 0
; COMPUTE_PGM_RSRC2:SCRATCH_EN: 0
; COMPUTE_PGM_RSRC2:USER_SGPR: 6
; COMPUTE_PGM_RSRC2:TRAP_HANDLER: 0
; COMPUTE_PGM_RSRC2:TGID_X_EN: 1
; COMPUTE_PGM_RSRC2:TGID_Y_EN: 0
; COMPUTE_PGM_RSRC2:TGID_Z_EN: 0
; COMPUTE_PGM_RSRC2:TIDIG_COMP_CNT: 0
; COMPUTE_PGM_RSRC3_GFX90A:ACCUM_OFFSET: 9
; COMPUTE_PGM_RSRC3_GFX90A:TG_SPLIT: 0
	.section	.text._ZN4vllm31rms_norm_per_block_quant_kernelIN3c104HalfEaLb1ELb1ELi128EEEvPT0_PfPKT_S8_PKffiiPS6_l,"axG",@progbits,_ZN4vllm31rms_norm_per_block_quant_kernelIN3c104HalfEaLb1ELb1ELi128EEEvPT0_PfPKT_S8_PKffiiPS6_l,comdat
	.protected	_ZN4vllm31rms_norm_per_block_quant_kernelIN3c104HalfEaLb1ELb1ELi128EEEvPT0_PfPKT_S8_PKffiiPS6_l ; -- Begin function _ZN4vllm31rms_norm_per_block_quant_kernelIN3c104HalfEaLb1ELb1ELi128EEEvPT0_PfPKT_S8_PKffiiPS6_l
	.globl	_ZN4vllm31rms_norm_per_block_quant_kernelIN3c104HalfEaLb1ELb1ELi128EEEvPT0_PfPKT_S8_PKffiiPS6_l
	.p2align	8
	.type	_ZN4vllm31rms_norm_per_block_quant_kernelIN3c104HalfEaLb1ELb1ELi128EEEvPT0_PfPKT_S8_PKffiiPS6_l,@function
_ZN4vllm31rms_norm_per_block_quant_kernelIN3c104HalfEaLb1ELb1ELi128EEEvPT0_PfPKT_S8_PKffiiPS6_l: ; @_ZN4vllm31rms_norm_per_block_quant_kernelIN3c104HalfEaLb1ELb1ELi128EEEvPT0_PfPKT_S8_PKffiiPS6_l
; %bb.0:
	s_load_dwordx4 s[16:19], s[4:5], 0x28
	s_load_dwordx8 s[8:15], s[4:5], 0x0
	s_load_dwordx2 s[0:1], s[4:5], 0x38
	s_load_dword s48, s[4:5], 0x48
	s_mov_b32 s7, 0
	s_waitcnt lgkmcnt(0)
	s_ashr_i32 s2, s18, 31
	s_mul_hi_u32 s3, s18, s6
	s_mul_i32 s2, s2, s6
	s_ashr_i32 s21, s17, 31
	s_add_i32 s3, s3, s2
	s_mul_i32 s2, s18, s6
	s_mul_hi_u32 s18, s17, s6
	s_mul_i32 s19, s21, s6
	s_add_i32 s19, s18, s19
	s_lshl_b64 s[2:3], s[2:3], 1
	s_mul_i32 s18, s17, s6
	s_add_u32 s33, s12, s2
	s_addc_u32 s44, s13, s3
	s_lshl_b64 s[2:3], s[18:19], 1
	s_add_u32 s45, s0, s2
	s_addc_u32 s46, s1, s3
	s_ashr_i32 s12, s17, 2
	s_add_u32 s22, s4, 0x48
	s_mov_b32 s20, s17
	v_cmp_gt_u32_e64 s[0:1], s12, v0
	s_addc_u32 s23, s5, 0
	v_mov_b32_e32 v1, 0
	s_and_saveexec_b64 s[2:3], s[0:1]
	s_cbranch_execz .LBB44_10
; %bb.1:
	s_cmp_lt_u32 s6, s48
	s_cselect_b32 s13, 12, 18
	s_add_u32 s24, s22, s13
	s_addc_u32 s25, s23, 0
	v_mov_b32_e32 v3, 0
	global_load_ushort v8, v3, s[24:25]
	s_mov_b64 s[24:25], 0
	v_mov_b32_e32 v9, s44
	v_mov_b32_e32 v10, s46
	;; [unrolled: 1-line block ×4, first 2 shown]
                                        ; implicit-def: $sgpr26_sgpr27
	s_waitcnt vmcnt(0)
	v_mul_lo_u32 v11, v8, 3
	v_lshlrev_b32_e32 v12, 1, v8
	s_branch .LBB44_5
.LBB44_2:                               ;   in Loop: Header=BB44_5 Depth=1
	s_or_b64 exec, exec, s[34:35]
	s_orn2_b64 s[34:35], s[36:37], exec
.LBB44_3:                               ;   in Loop: Header=BB44_5 Depth=1
	s_or_b64 exec, exec, s[30:31]
	s_andn2_b64 s[26:27], s[26:27], exec
	s_and_b64 s[30:31], s[34:35], exec
	s_or_b64 s[26:27], s[26:27], s[30:31]
.LBB44_4:                               ;   in Loop: Header=BB44_5 Depth=1
	s_or_b64 exec, exec, s[28:29]
	s_and_b64 s[28:29], exec, s[26:27]
	s_or_b64 s[24:25], s[28:29], s[24:25]
	s_andn2_b64 exec, exec, s[24:25]
	s_cbranch_execz .LBB44_9
.LBB44_5:                               ; =>This Inner Loop Header: Depth=1
	v_lshlrev_b64 v[4:5], 3, v[2:3]
	v_add_co_u32_e32 v6, vcc, s33, v4
	v_addc_co_u32_e32 v7, vcc, v9, v5, vcc
	v_add_co_u32_e32 v4, vcc, s45, v4
	v_addc_co_u32_e32 v5, vcc, v10, v5, vcc
	global_load_dwordx2 v[6:7], v[6:7], off
	s_or_b64 s[26:27], s[26:27], exec
	global_load_dwordx2 v[4:5], v[4:5], off
	s_waitcnt vmcnt(1)
	v_cvt_f32_f16_e32 v14, v6
	v_cvt_f32_f16_sdwa v15, v6 dst_sel:DWORD dst_unused:UNUSED_PAD src0_sel:WORD_1
	s_waitcnt vmcnt(0)
	v_cvt_f32_f16_e32 v16, v4
	v_cvt_f32_f16_sdwa v17, v4 dst_sel:DWORD dst_unused:UNUSED_PAD src0_sel:WORD_1
	v_cvt_f32_f16_e32 v6, v7
	v_cvt_f32_f16_sdwa v7, v7 dst_sel:DWORD dst_unused:UNUSED_PAD src0_sel:WORD_1
	;; [unrolled: 2-line block ×3, first 2 shown]
	v_pk_add_f32 v[14:15], v[14:15], v[16:17]
	v_pk_mul_f32 v[14:15], v[14:15], v[14:15]
	v_add_f32_e32 v1, v1, v14
	v_pk_add_f32 v[6:7], v[6:7], v[18:19]
	v_pk_mul_f32 v[6:7], v[6:7], v[6:7]
	v_add_f32_e32 v1, v1, v15
	v_add_u32_e32 v4, v2, v8
	v_add_f32_e32 v1, v1, v6
	v_cmp_gt_u32_e32 vcc, s12, v4
	v_add_f32_e32 v1, v1, v7
	s_and_saveexec_b64 s[28:29], vcc
	s_cbranch_execz .LBB44_4
; %bb.6:                                ;   in Loop: Header=BB44_5 Depth=1
	v_mov_b32_e32 v5, v3
	v_lshlrev_b64 v[6:7], 3, v[4:5]
	v_add_co_u32_e32 v14, vcc, s33, v6
	v_addc_co_u32_e32 v15, vcc, v9, v7, vcc
	v_add_co_u32_e32 v6, vcc, s45, v6
	v_addc_co_u32_e32 v7, vcc, v10, v7, vcc
	global_load_dwordx2 v[14:15], v[14:15], off
	s_mov_b64 s[34:35], -1
	global_load_dwordx2 v[6:7], v[6:7], off
	s_waitcnt vmcnt(1)
	v_cvt_f32_f16_e32 v16, v14
	v_cvt_f32_f16_sdwa v17, v14 dst_sel:DWORD dst_unused:UNUSED_PAD src0_sel:WORD_1
	s_waitcnt vmcnt(0)
	v_cvt_f32_f16_e32 v18, v6
	v_cvt_f32_f16_sdwa v19, v6 dst_sel:DWORD dst_unused:UNUSED_PAD src0_sel:WORD_1
	v_cvt_f32_f16_e32 v14, v15
	v_cvt_f32_f16_sdwa v15, v15 dst_sel:DWORD dst_unused:UNUSED_PAD src0_sel:WORD_1
	;; [unrolled: 2-line block ×3, first 2 shown]
	v_pk_add_f32 v[16:17], v[16:17], v[18:19]
	v_pk_mul_f32 v[16:17], v[16:17], v[16:17]
	v_add_f32_e32 v1, v1, v16
	v_pk_add_f32 v[14:15], v[14:15], v[20:21]
	v_pk_mul_f32 v[14:15], v[14:15], v[14:15]
	v_add_f32_e32 v1, v1, v17
	v_add_u32_e32 v6, v12, v2
	v_add_f32_e32 v1, v1, v14
	v_cmp_gt_u32_e32 vcc, s12, v6
	v_add_f32_e32 v1, v1, v15
	s_and_saveexec_b64 s[30:31], vcc
	s_cbranch_execz .LBB44_3
; %bb.7:                                ;   in Loop: Header=BB44_5 Depth=1
	v_mov_b32_e32 v7, v3
	v_lshlrev_b64 v[6:7], 3, v[6:7]
	v_mov_b32_e32 v5, s44
	v_add_co_u32_e32 v14, vcc, s33, v6
	v_addc_co_u32_e32 v15, vcc, v5, v7, vcc
	v_mov_b32_e32 v5, s46
	v_add_co_u32_e32 v6, vcc, s45, v6
	v_addc_co_u32_e32 v7, vcc, v5, v7, vcc
	global_load_dwordx2 v[14:15], v[14:15], off
	v_add_u32_e32 v2, v11, v2
	global_load_dwordx2 v[6:7], v[6:7], off
	v_cmp_gt_u32_e32 vcc, s12, v2
	s_mov_b64 s[36:37], -1
	s_waitcnt vmcnt(1)
	v_cvt_f32_f16_e32 v16, v14
	v_cvt_f32_f16_sdwa v17, v14 dst_sel:DWORD dst_unused:UNUSED_PAD src0_sel:WORD_1
	s_waitcnt vmcnt(0)
	v_cvt_f32_f16_e32 v18, v6
	v_cvt_f32_f16_sdwa v19, v6 dst_sel:DWORD dst_unused:UNUSED_PAD src0_sel:WORD_1
	v_cvt_f32_f16_e32 v14, v15
	v_cvt_f32_f16_sdwa v15, v15 dst_sel:DWORD dst_unused:UNUSED_PAD src0_sel:WORD_1
	;; [unrolled: 2-line block ×3, first 2 shown]
	v_pk_add_f32 v[16:17], v[16:17], v[18:19]
	v_pk_add_f32 v[6:7], v[14:15], v[6:7]
	v_pk_mul_f32 v[14:15], v[16:17], v[16:17]
	v_add_f32_e32 v1, v1, v14
	v_pk_mul_f32 v[6:7], v[6:7], v[6:7]
	v_add_f32_e32 v1, v1, v15
	v_add_f32_e32 v1, v1, v6
	;; [unrolled: 1-line block ×3, first 2 shown]
	s_and_saveexec_b64 s[34:35], vcc
	s_xor_b64 s[34:35], exec, s[34:35]
	s_cbranch_execz .LBB44_2
; %bb.8:                                ;   in Loop: Header=BB44_5 Depth=1
	v_lshlrev_b64 v[6:7], 3, v[2:3]
	v_mov_b32_e32 v2, s44
	v_add_co_u32_e32 v14, vcc, s33, v6
	v_addc_co_u32_e32 v15, vcc, v2, v7, vcc
	v_mov_b32_e32 v2, s46
	v_add_co_u32_e32 v6, vcc, s45, v6
	v_addc_co_u32_e32 v7, vcc, v2, v7, vcc
	global_load_dwordx2 v[14:15], v[14:15], off
	v_add_u32_e32 v2, v8, v8
	global_load_dwordx2 v[6:7], v[6:7], off
	v_add_u32_e32 v2, v2, v8
	v_add_u32_e32 v2, v2, v4
	v_cmp_le_u32_e32 vcc, s12, v2
	s_orn2_b64 s[36:37], vcc, exec
	s_waitcnt vmcnt(1)
	v_cvt_f32_f16_e32 v16, v14
	v_cvt_f32_f16_sdwa v17, v14 dst_sel:DWORD dst_unused:UNUSED_PAD src0_sel:WORD_1
	s_waitcnt vmcnt(0)
	v_cvt_f32_f16_e32 v18, v6
	v_cvt_f32_f16_sdwa v19, v6 dst_sel:DWORD dst_unused:UNUSED_PAD src0_sel:WORD_1
	v_cvt_f32_f16_e32 v14, v15
	v_cvt_f32_f16_sdwa v15, v15 dst_sel:DWORD dst_unused:UNUSED_PAD src0_sel:WORD_1
	;; [unrolled: 2-line block ×3, first 2 shown]
	v_pk_add_f32 v[4:5], v[16:17], v[18:19]
	v_pk_mul_f32 v[4:5], v[4:5], v[4:5]
	v_add_f32_e32 v1, v1, v4
	v_pk_add_f32 v[6:7], v[14:15], v[6:7]
	v_pk_mul_f32 v[6:7], v[6:7], v[6:7]
	v_add_f32_e32 v1, v1, v5
	v_add_f32_e32 v1, v1, v6
	;; [unrolled: 1-line block ×3, first 2 shown]
	s_branch .LBB44_2
.LBB44_9:
	s_or_b64 exec, exec, s[24:25]
.LBB44_10:
	s_or_b64 exec, exec, s[2:3]
	v_mbcnt_lo_u32_b32 v2, -1, 0
	v_mbcnt_hi_u32_b32 v2, -1, v2
	v_and_b32_e32 v3, 63, v2
	v_cmp_ne_u32_e32 vcc, 63, v3
	s_load_dword s2, s[22:23], 0xc
	v_addc_co_u32_e32 v4, vcc, 0, v2, vcc
	v_lshlrev_b32_e32 v4, 2, v4
	ds_bpermute_b32 v4, v4, v1
	s_waitcnt lgkmcnt(0)
	s_and_b32 s13, s2, 0xffff
	v_and_b32_e32 v5, 0x3c0, v0
	v_sub_u32_e64 v5, s13, v5 clamp
	v_add_u32_e32 v6, 1, v2
	v_add_f32_e32 v4, v1, v4
	v_cmp_lt_u32_e32 vcc, v6, v5
	v_cndmask_b32_e32 v1, v1, v4, vcc
	v_cmp_gt_u32_e32 vcc, 62, v3
	v_cndmask_b32_e64 v4, 0, 1, vcc
	v_lshlrev_b32_e32 v4, 1, v4
	v_add_lshl_u32 v4, v4, v2, 2
	ds_bpermute_b32 v4, v4, v1
	v_add_u32_e32 v6, 2, v2
	v_cmp_lt_u32_e32 vcc, v6, v5
	v_add_u32_e32 v6, 4, v2
	s_waitcnt lgkmcnt(0)
	v_add_f32_e32 v4, v1, v4
	v_cndmask_b32_e32 v1, v1, v4, vcc
	v_cmp_gt_u32_e32 vcc, 60, v3
	v_cndmask_b32_e64 v4, 0, 1, vcc
	v_lshlrev_b32_e32 v4, 2, v4
	v_add_lshl_u32 v4, v4, v2, 2
	ds_bpermute_b32 v4, v4, v1
	v_cmp_lt_u32_e32 vcc, v6, v5
	v_add_u32_e32 v6, 8, v2
	s_waitcnt lgkmcnt(0)
	v_add_f32_e32 v4, v1, v4
	v_cndmask_b32_e32 v1, v1, v4, vcc
	v_cmp_gt_u32_e32 vcc, 56, v3
	v_cndmask_b32_e64 v4, 0, 1, vcc
	v_lshlrev_b32_e32 v4, 3, v4
	v_add_lshl_u32 v4, v4, v2, 2
	ds_bpermute_b32 v4, v4, v1
	;; [unrolled: 10-line block ×3, first 2 shown]
	v_cmp_lt_u32_e32 vcc, v6, v5
	s_waitcnt lgkmcnt(0)
	v_add_f32_e32 v4, v1, v4
	v_cndmask_b32_e32 v1, v1, v4, vcc
	v_cmp_gt_u32_e32 vcc, 32, v3
	v_cndmask_b32_e64 v3, 0, 1, vcc
	v_lshlrev_b32_e32 v3, 5, v3
	v_add_lshl_u32 v3, v3, v2, 2
	ds_bpermute_b32 v3, v3, v1
	v_add_u32_e32 v4, 32, v2
	v_cmp_lt_u32_e32 vcc, v4, v5
	s_waitcnt lgkmcnt(0)
	v_add_f32_e32 v3, v1, v3
	v_cndmask_b32_e32 v1, v1, v3, vcc
	v_cmp_eq_u32_e32 vcc, 0, v2
	s_and_saveexec_b64 s[2:3], vcc
	s_cbranch_execz .LBB44_12
; %bb.11:
	v_lshrrev_b32_e32 v3, 4, v0
	v_and_b32_e32 v3, 60, v3
	ds_write_b32 v3, v1 offset:4096
.LBB44_12:
	s_or_b64 exec, exec, s[2:3]
	v_cmp_gt_u32_e32 vcc, 16, v0
	s_waitcnt lgkmcnt(0)
	s_barrier
	s_and_saveexec_b64 s[24:25], vcc
	s_cbranch_execz .LBB44_14
; %bb.13:
	v_lshlrev_b32_e32 v1, 2, v2
	ds_read_b32 v1, v1 offset:4096
	v_and_b32_e32 v3, 15, v2
	v_cmp_ne_u32_e32 vcc, 15, v3
	v_addc_co_u32_e32 v4, vcc, 0, v2, vcc
	v_lshlrev_b32_e32 v4, 2, v4
	s_waitcnt lgkmcnt(0)
	ds_bpermute_b32 v4, v4, v1
	s_add_i32 s13, s13, 63
	s_lshr_b32 s13, s13, 6
	v_add_u32_e32 v5, 1, v3
	v_cmp_gt_u32_e64 s[2:3], 14, v3
	v_cmp_gt_u32_e32 vcc, s13, v5
	v_cndmask_b32_e64 v5, 0, 1, s[2:3]
	s_waitcnt lgkmcnt(0)
	v_add_f32_e32 v4, v1, v4
	v_lshlrev_b32_e32 v5, 1, v5
	v_cndmask_b32_e32 v4, v1, v4, vcc
	v_add_lshl_u32 v5, v5, v2, 2
	ds_bpermute_b32 v5, v5, v4
	v_add_u32_e32 v6, 2, v3
	v_cmp_gt_u32_e64 s[2:3], s13, v6
	v_add_u32_e32 v6, 4, v3
	s_waitcnt lgkmcnt(0)
	v_add_f32_e32 v5, v4, v5
	v_cndmask_b32_e64 v4, v4, v5, s[2:3]
	v_cmp_gt_u32_e64 s[2:3], 12, v3
	v_cndmask_b32_e64 v5, 0, 1, s[2:3]
	v_lshlrev_b32_e32 v5, 2, v5
	v_add_lshl_u32 v5, v5, v2, 2
	ds_bpermute_b32 v5, v5, v4
	v_cmp_gt_u32_e64 s[2:3], s13, v6
	s_waitcnt lgkmcnt(0)
	v_add_f32_e32 v5, v4, v5
	v_cndmask_b32_e64 v4, v4, v5, s[2:3]
	v_cmp_gt_u32_e64 s[2:3], 8, v3
	v_cndmask_b32_e64 v5, 0, 1, s[2:3]
	v_lshlrev_b32_e32 v5, 3, v5
	v_add_lshl_u32 v2, v5, v2, 2
	ds_bpermute_b32 v2, v2, v4
	v_add_u32_e32 v3, 8, v3
	v_cmp_gt_u32_e64 s[2:3], s13, v3
	s_waitcnt lgkmcnt(0)
	v_add_f32_e32 v2, v4, v2
	v_cndmask_b32_e64 v2, v4, v2, s[2:3]
	v_cndmask_b32_e32 v1, v1, v2, vcc
.LBB44_14:
	s_or_b64 exec, exec, s[24:25]
	v_cmp_eq_u32_e32 vcc, 0, v0
	s_and_saveexec_b64 s[2:3], vcc
	s_cbranch_execz .LBB44_16
; %bb.15:
	v_cvt_f32_i32_e32 v2, s20
	s_mov_b32 s13, 0x800000
	v_div_scale_f32 v3, s[24:25], v2, v2, v1
	v_rcp_f32_e32 v4, v3
	v_div_scale_f32 v5, vcc, v1, v2, v1
	v_fma_f32 v6, -v3, v4, 1.0
	v_fmac_f32_e32 v4, v6, v4
	v_mul_f32_e32 v6, v5, v4
	v_fma_f32 v7, -v3, v6, v5
	v_fmac_f32_e32 v6, v7, v4
	v_fma_f32 v3, -v3, v6, v5
	v_div_fmas_f32 v3, v3, v4, v6
	v_div_fixup_f32 v1, v3, v2, v1
	v_add_f32_e32 v1, s16, v1
	v_mul_f32_e32 v2, 0x4b800000, v1
	v_cmp_gt_f32_e32 vcc, s13, v1
	v_cndmask_b32_e32 v1, v1, v2, vcc
	v_rsq_f32_e32 v1, v1
	v_mul_f32_e32 v2, 0x45800000, v1
	v_cndmask_b32_e32 v1, v1, v2, vcc
	v_mov_b32_e32 v2, 0
	ds_write_b32 v2, v1 offset:4160
.LBB44_16:
	s_or_b64 exec, exec, s[2:3]
	s_ashr_i32 s2, s20, 31
	s_lshr_b32 s2, s2, 25
	s_add_i32 s3, s20, s2
	s_ashr_i32 s2, s3, 7
	s_cmp_lt_u32 s6, s48
	s_cselect_b32 s13, 12, 18
	s_add_u32 s16, s22, s13
	v_mov_b32_e32 v5, 0
	s_addc_u32 s17, s23, 0
	s_waitcnt lgkmcnt(0)
	s_barrier
	global_load_ushort v1, v5, s[16:17]
	ds_read_b32 v36, v5 offset:4160
	s_abs_i32 s13, s2
	v_cvt_f32_u32_e32 v2, s13
	s_sub_i32 s16, 0, s13
	s_ashr_i32 s3, s3, 31
	v_mov_b32_e32 v10, s12
	v_rcp_iflag_f32_e32 v2, v2
	v_mul_f32_e32 v2, 0x4f7ffffe, v2
	v_cvt_u32_f32_e32 v2, v2
	v_readfirstlane_b32 s17, v2
	s_mul_i32 s16, s16, s17
	s_mul_hi_u32 s16, s17, s16
	s_add_i32 s17, s17, s16
	s_waitcnt vmcnt(0)
	v_readfirstlane_b32 s47, v1
	s_mul_hi_u32 s16, s47, s17
	s_mul_i32 s17, s16, s13
	s_sub_i32 s17, s47, s17
	s_add_i32 s22, s16, 1
	s_sub_i32 s23, s17, s13
	s_cmp_ge_u32 s17, s13
	s_cselect_b32 s16, s22, s16
	s_cselect_b32 s17, s23, s17
	s_add_i32 s22, s16, 1
	s_cmp_ge_u32 s17, s13
	s_cselect_b32 s13, s22, s16
	s_xor_b32 s13, s13, s3
	s_sub_i32 s16, s13, s3
	s_abs_i32 s3, s16
	v_cvt_f32_u32_e32 v1, s3
	s_sub_i32 s22, 0, s3
	s_ashr_i32 s17, s16, 31
	s_ashr_i32 s13, s12, 31
	v_rcp_iflag_f32_e32 v1, v1
	v_mov_b32_e32 v11, s13
	v_mul_f32_e32 v1, 0x4f7ffffe, v1
	v_cvt_u32_f32_e32 v1, v1
	v_mul_lo_u32 v2, s22, v1
	v_mul_hi_u32 v2, v1, v2
	v_add_u32_e32 v1, v1, v2
	v_mul_hi_u32 v1, v0, v1
	v_mul_lo_u32 v2, v1, s3
	v_sub_u32_e32 v2, v0, v2
	v_add_u32_e32 v3, 1, v1
	v_cmp_le_u32_e32 vcc, s3, v2
	v_cndmask_b32_e32 v1, v1, v3, vcc
	v_subrev_u32_e32 v3, s3, v2
	v_cndmask_b32_e32 v2, v2, v3, vcc
	v_add_u32_e32 v3, 1, v1
	v_cmp_le_u32_e32 vcc, s3, v2
	v_cndmask_b32_e32 v1, v1, v3, vcc
	v_xor_b32_e32 v1, s17, v1
	v_subrev_u32_e32 v2, s17, v1
	v_mul_lo_u32 v1, v2, s16
	v_ashrrev_i32_e32 v3, 31, v2
	v_sub_u32_e32 v4, v0, v1
	v_lshlrev_b64 v[8:9], 5, v[2:3]
	v_add_co_u32_e32 v6, vcc, v8, v4
	v_addc_co_u32_e32 v7, vcc, 0, v9, vcc
	v_add_co_u32_e32 v8, vcc, 32, v8
	v_addc_co_u32_e32 v9, vcc, 0, v9, vcc
	v_cmp_gt_i64_e32 vcc, s[12:13], v[8:9]
	v_cndmask_b32_e32 v8, v10, v8, vcc
	v_cndmask_b32_e32 v9, v11, v9, vcc
	v_ashrrev_i32_e32 v11, 31, v8
	v_mov_b32_e32 v10, v8
	v_cmp_lt_i64_e32 vcc, v[6:7], v[10:11]
	s_and_saveexec_b64 s[22:23], vcc
	s_cbranch_execz .LBB44_26
; %bb.17:
	v_lshlrev_b64 v[12:13], 8, v[2:3]
	v_lshlrev_b64 v[14:15], 3, v[4:5]
	v_add_co_u32_e32 v12, vcc, v12, v14
	v_addc_co_u32_e32 v1, vcc, v13, v15, vcc
	s_lshl_b64 s[24:25], s[16:17], 5
	s_mul_hi_i32 s3, s16, 3
	s_mul_i32 s13, s16, 3
	s_lshl_b64 s[26:27], s[16:17], 1
	s_lshl_b64 s[30:31], s[16:17], 3
	s_mov_b64 s[28:29], 0
	v_mov_b32_e32 v5, 0
	v_mov_b32_e32 v13, s44
	;; [unrolled: 1-line block ×5, first 2 shown]
	v_pk_mov_b32 v[14:15], v[6:7], v[6:7] op_sel:[0,1]
                                        ; implicit-def: $sgpr34_sgpr35
	s_branch .LBB44_21
.LBB44_18:                              ;   in Loop: Header=BB44_21 Depth=1
	s_or_b64 exec, exec, s[40:41]
	s_orn2_b64 s[40:41], s[42:43], exec
.LBB44_19:                              ;   in Loop: Header=BB44_21 Depth=1
	s_or_b64 exec, exec, s[38:39]
	s_andn2_b64 s[34:35], s[34:35], exec
	s_and_b64 s[38:39], s[40:41], exec
	s_or_b64 s[34:35], s[34:35], s[38:39]
.LBB44_20:                              ;   in Loop: Header=BB44_21 Depth=1
	s_or_b64 exec, exec, s[36:37]
	s_and_b64 s[36:37], exec, s[34:35]
	s_or_b64 s[28:29], s[36:37], s[28:29]
	s_andn2_b64 exec, exec, s[28:29]
	s_cbranch_execz .LBB44_25
.LBB44_21:                              ; =>This Inner Loop Header: Depth=1
	v_add_co_u32_e32 v18, vcc, s33, v12
	v_addc_co_u32_e32 v19, vcc, v13, v1, vcc
	v_add_co_u32_e32 v22, vcc, s45, v12
	v_addc_co_u32_e32 v23, vcc, v25, v1, vcc
	global_load_dwordx2 v[16:17], v[18:19], off
	global_load_dwordx2 v[28:29], v[22:23], off
	v_add_co_u32_e32 v20, vcc, s14, v12
	v_addc_co_u32_e32 v21, vcc, v24, v1, vcc
	global_load_dwordx2 v[30:31], v[20:21], off
	s_or_b64 s[34:35], s[34:35], exec
	s_waitcnt vmcnt(2)
	v_cvt_f32_f16_e32 v27, v16
	v_cvt_f32_f16_sdwa v16, v16 dst_sel:DWORD dst_unused:UNUSED_PAD src0_sel:WORD_1
	s_waitcnt vmcnt(1)
	v_cvt_f32_f16_e32 v33, v28
	v_cvt_f32_f16_sdwa v28, v28 dst_sel:DWORD dst_unused:UNUSED_PAD src0_sel:WORD_1
	v_cvt_f32_f16_e32 v32, v17
	v_cvt_f32_f16_sdwa v17, v17 dst_sel:DWORD dst_unused:UNUSED_PAD src0_sel:WORD_1
	;; [unrolled: 2-line block ×3, first 2 shown]
	v_add_f32_e32 v27, v27, v33
	v_add_f32_e32 v16, v16, v28
	;; [unrolled: 1-line block ×4, first 2 shown]
	s_waitcnt lgkmcnt(0)
	v_fma_mixlo_f16 v27, v36, v27, 0
	v_fma_mixlo_f16 v16, v36, v16, 0
	v_fma_mixlo_f16 v28, v36, v28, 0
	v_fma_mixlo_f16 v17, v36, v17, 0
	s_waitcnt vmcnt(0)
	v_mul_f16_e32 v27, v30, v27
	v_mul_f16_sdwa v16, v30, v16 dst_sel:DWORD dst_unused:UNUSED_PAD src0_sel:WORD_1 src1_sel:DWORD
	v_mul_f16_e32 v28, v31, v28
	v_mul_f16_sdwa v17, v31, v17 dst_sel:DWORD dst_unused:UNUSED_PAD src0_sel:WORD_1 src1_sel:DWORD
	v_cvt_f32_f16_e64 v27, |v27|
	v_cvt_f32_f16_e64 v29, |v16|
	;; [unrolled: 1-line block ×4, first 2 shown]
	v_add_co_u32_e32 v16, vcc, s16, v14
	v_addc_co_u32_e32 v17, vcc, v15, v26, vcc
	v_max3_f32 v5, v5, v27, v29
	v_cmp_lt_i64_e32 vcc, v[16:17], v[10:11]
	v_max3_f32 v5, v5, v28, v30
	s_and_saveexec_b64 s[36:37], vcc
	s_cbranch_execz .LBB44_20
; %bb.22:                               ;   in Loop: Header=BB44_21 Depth=1
	v_mov_b32_e32 v27, s31
	v_add_co_u32_e32 v18, vcc, s30, v18
	v_addc_co_u32_e32 v19, vcc, v19, v27, vcc
	v_add_co_u32_e32 v22, vcc, s30, v22
	v_addc_co_u32_e32 v23, vcc, v23, v27, vcc
	global_load_dwordx2 v[28:29], v[18:19], off
	global_load_dwordx2 v[30:31], v[22:23], off
	v_add_co_u32_e32 v20, vcc, s30, v20
	v_addc_co_u32_e32 v21, vcc, v21, v27, vcc
	global_load_dwordx2 v[32:33], v[20:21], off
	v_mov_b32_e32 v27, s27
	s_mov_b64 s[40:41], -1
	s_waitcnt vmcnt(2)
	v_cvt_f32_f16_e32 v34, v28
	v_cvt_f32_f16_sdwa v28, v28 dst_sel:DWORD dst_unused:UNUSED_PAD src0_sel:WORD_1
	s_waitcnt vmcnt(1)
	v_cvt_f32_f16_e32 v37, v30
	v_cvt_f32_f16_sdwa v30, v30 dst_sel:DWORD dst_unused:UNUSED_PAD src0_sel:WORD_1
	v_cvt_f32_f16_e32 v35, v29
	v_cvt_f32_f16_sdwa v29, v29 dst_sel:DWORD dst_unused:UNUSED_PAD src0_sel:WORD_1
	;; [unrolled: 2-line block ×3, first 2 shown]
	v_add_f32_e32 v34, v34, v37
	v_add_f32_e32 v28, v28, v30
	;; [unrolled: 1-line block ×4, first 2 shown]
	v_fma_mixlo_f16 v31, v36, v34, 0
	v_fma_mixlo_f16 v28, v36, v28, 0
	;; [unrolled: 1-line block ×4, first 2 shown]
	s_waitcnt vmcnt(0)
	v_mul_f16_e32 v31, v32, v31
	v_mul_f16_sdwa v28, v32, v28 dst_sel:DWORD dst_unused:UNUSED_PAD src0_sel:WORD_1 src1_sel:DWORD
	v_mul_f16_e32 v30, v33, v30
	v_mul_f16_sdwa v29, v33, v29 dst_sel:DWORD dst_unused:UNUSED_PAD src0_sel:WORD_1 src1_sel:DWORD
	v_cvt_f32_f16_e64 v31, |v31|
	v_cvt_f32_f16_e64 v32, |v28|
	;; [unrolled: 1-line block ×4, first 2 shown]
	v_add_co_u32_e32 v28, vcc, s26, v14
	v_addc_co_u32_e32 v29, vcc, v27, v15, vcc
	v_max3_f32 v5, v5, v31, v32
	v_cmp_lt_i64_e32 vcc, v[28:29], v[10:11]
	v_max3_f32 v5, v5, v30, v33
	s_and_saveexec_b64 s[38:39], vcc
	s_cbranch_execz .LBB44_19
; %bb.23:                               ;   in Loop: Header=BB44_21 Depth=1
	v_mov_b32_e32 v27, s31
	v_add_co_u32_e32 v18, vcc, s30, v18
	v_addc_co_u32_e32 v19, vcc, v19, v27, vcc
	v_add_co_u32_e32 v22, vcc, s30, v22
	v_addc_co_u32_e32 v23, vcc, v23, v27, vcc
	global_load_dwordx2 v[28:29], v[18:19], off
	global_load_dwordx2 v[30:31], v[22:23], off
	v_add_co_u32_e32 v20, vcc, s30, v20
	v_addc_co_u32_e32 v21, vcc, v21, v27, vcc
	global_load_dwordx2 v[32:33], v[20:21], off
	v_mov_b32_e32 v27, s3
	v_add_co_u32_e32 v14, vcc, s13, v14
	v_addc_co_u32_e32 v15, vcc, v27, v15, vcc
	v_cmp_lt_i64_e32 vcc, v[14:15], v[10:11]
	s_mov_b64 s[42:43], -1
                                        ; implicit-def: $vgpr14_vgpr15
	s_waitcnt vmcnt(2)
	v_cvt_f32_f16_e32 v34, v28
	v_cvt_f32_f16_sdwa v28, v28 dst_sel:DWORD dst_unused:UNUSED_PAD src0_sel:WORD_1
	s_waitcnt vmcnt(1)
	v_cvt_f32_f16_e32 v37, v30
	v_cvt_f32_f16_sdwa v30, v30 dst_sel:DWORD dst_unused:UNUSED_PAD src0_sel:WORD_1
	v_cvt_f32_f16_e32 v35, v29
	v_cvt_f32_f16_sdwa v29, v29 dst_sel:DWORD dst_unused:UNUSED_PAD src0_sel:WORD_1
	v_cvt_f32_f16_e32 v38, v31
	v_cvt_f32_f16_sdwa v31, v31 dst_sel:DWORD dst_unused:UNUSED_PAD src0_sel:WORD_1
	v_add_f32_e32 v34, v34, v37
	v_add_f32_e32 v28, v28, v30
	v_add_f32_e32 v30, v35, v38
	v_add_f32_e32 v29, v29, v31
	v_fma_mixlo_f16 v31, v36, v34, 0
	v_fma_mixlo_f16 v28, v36, v28, 0
	v_fma_mixlo_f16 v30, v36, v30, 0
	v_fma_mixlo_f16 v29, v36, v29, 0
	s_waitcnt vmcnt(0)
	v_mul_f16_e32 v31, v32, v31
	v_mul_f16_sdwa v28, v32, v28 dst_sel:DWORD dst_unused:UNUSED_PAD src0_sel:WORD_1 src1_sel:DWORD
	v_mul_f16_e32 v30, v33, v30
	v_mul_f16_sdwa v29, v33, v29 dst_sel:DWORD dst_unused:UNUSED_PAD src0_sel:WORD_1 src1_sel:DWORD
	v_cvt_f32_f16_e64 v31, |v31|
	v_cvt_f32_f16_e64 v28, |v28|
	;; [unrolled: 1-line block ×4, first 2 shown]
	v_max3_f32 v5, v5, v31, v28
	v_max3_f32 v5, v5, v30, v29
	s_and_saveexec_b64 s[40:41], vcc
	s_xor_b64 s[40:41], exec, s[40:41]
	s_cbranch_execz .LBB44_18
; %bb.24:                               ;   in Loop: Header=BB44_21 Depth=1
	v_mov_b32_e32 v27, s31
	v_add_co_u32_e32 v14, vcc, s30, v18
	v_addc_co_u32_e32 v15, vcc, v19, v27, vcc
	v_add_co_u32_e32 v18, vcc, s30, v22
	v_addc_co_u32_e32 v19, vcc, v23, v27, vcc
	global_load_dwordx2 v[14:15], v[14:15], off
	v_add_co_u32_e32 v20, vcc, s30, v20
	global_load_dwordx2 v[18:19], v[18:19], off
	v_addc_co_u32_e32 v21, vcc, v21, v27, vcc
	global_load_dwordx2 v[20:21], v[20:21], off
	s_add_u32 s42, s16, s16
	s_addc_u32 s43, s17, s17
	v_mov_b32_e32 v22, s25
	v_add_co_u32_e32 v12, vcc, s24, v12
	s_add_u32 s42, s42, s16
	v_addc_co_u32_e32 v1, vcc, v1, v22, vcc
	s_addc_u32 s43, s43, s17
	v_mov_b32_e32 v22, s43
	s_waitcnt vmcnt(2)
	v_cvt_f32_f16_e32 v23, v14
	v_cvt_f32_f16_sdwa v14, v14 dst_sel:DWORD dst_unused:UNUSED_PAD src0_sel:WORD_1
	v_cvt_f32_f16_e32 v27, v15
	s_waitcnt vmcnt(1)
	v_cvt_f32_f16_e32 v28, v18
	v_cvt_f32_f16_sdwa v18, v18 dst_sel:DWORD dst_unused:UNUSED_PAD src0_sel:WORD_1
	v_cvt_f32_f16_sdwa v15, v15 dst_sel:DWORD dst_unused:UNUSED_PAD src0_sel:WORD_1
	v_cvt_f32_f16_e32 v29, v19
	v_cvt_f32_f16_sdwa v19, v19 dst_sel:DWORD dst_unused:UNUSED_PAD src0_sel:WORD_1
	v_add_f32_e32 v23, v23, v28
	v_add_f32_e32 v14, v14, v18
	;; [unrolled: 1-line block ×4, first 2 shown]
	v_fma_mixlo_f16 v19, v36, v23, 0
	v_fma_mixlo_f16 v14, v36, v14, 0
	;; [unrolled: 1-line block ×4, first 2 shown]
	s_waitcnt vmcnt(0)
	v_mul_f16_e32 v19, v20, v19
	v_mul_f16_sdwa v14, v20, v14 dst_sel:DWORD dst_unused:UNUSED_PAD src0_sel:WORD_1 src1_sel:DWORD
	v_mul_f16_e32 v18, v21, v18
	v_mul_f16_sdwa v15, v21, v15 dst_sel:DWORD dst_unused:UNUSED_PAD src0_sel:WORD_1 src1_sel:DWORD
	v_cvt_f32_f16_e64 v19, |v19|
	v_cvt_f32_f16_e64 v20, |v14|
	;; [unrolled: 1-line block ×4, first 2 shown]
	v_add_co_u32_e32 v14, vcc, s42, v16
	v_addc_co_u32_e32 v15, vcc, v22, v17, vcc
	v_cmp_ge_i64_e32 vcc, v[14:15], v[10:11]
	v_max3_f32 v5, v5, v19, v20
	v_max3_f32 v5, v5, v18, v21
	s_orn2_b64 s[42:43], vcc, exec
	s_branch .LBB44_18
.LBB44_25:
	s_or_b64 exec, exec, s[28:29]
.LBB44_26:
	s_or_b64 exec, exec, s[22:23]
	s_lshr_b32 s13, s47, 6
	v_cvt_f32_u32_e32 v10, s13
	v_lshlrev_b32_e32 v1, 2, v0
	ds_write_b32 v1, v5
	s_sub_i32 s23, 0, s13
	v_rcp_iflag_f32_e32 v5, v10
	s_add_i32 s3, s2, s13
	s_add_i32 s3, s3, -1
	s_ashr_i32 s22, s3, 31
	v_mul_f32_e32 v5, 0x4f7ffffe, v5
	v_cvt_u32_f32_e32 v5, v5
	s_abs_i32 s3, s3
	s_waitcnt lgkmcnt(0)
	s_barrier
	v_readfirstlane_b32 s24, v5
	s_mul_i32 s23, s23, s24
	s_mul_hi_u32 s23, s24, s23
	s_add_i32 s24, s24, s23
	s_mul_hi_u32 s23, s3, s24
	s_mul_i32 s24, s23, s13
	s_sub_i32 s3, s3, s24
	s_add_i32 s24, s23, 1
	s_sub_i32 s25, s3, s13
	s_cmp_ge_u32 s3, s13
	s_cselect_b32 s23, s24, s23
	s_cselect_b32 s3, s25, s3
	s_add_i32 s24, s23, 1
	s_cmp_ge_u32 s3, s13
	s_cselect_b32 s3, s24, s23
	s_xor_b32 s3, s3, s22
	s_sub_i32 s22, s3, s22
	s_ashr_i32 s23, s22, 31
	v_cmp_lt_i64_e64 s[24:25], s[22:23], 1
	s_and_b64 vcc, exec, s[24:25]
	s_cbranch_vccnz .LBB44_48
; %bb.27:
	v_and_b32_e32 v12, 63, v0
	v_add_co_u32_e32 v14, vcc, 32, v12
	v_addc_co_u32_e64 v15, s[24:25], 0, 0, vcc
	v_add_co_u32_e32 v16, vcc, 16, v12
	v_addc_co_u32_e64 v17, s[24:25], 0, 0, vcc
	v_add_co_u32_e32 v18, vcc, 8, v12
	v_addc_co_u32_e64 v19, s[24:25], 0, 0, vcc
	v_add_co_u32_e32 v20, vcc, 4, v12
	v_addc_co_u32_e64 v21, s[24:25], 0, 0, vcc
	v_add_co_u32_e32 v22, vcc, 2, v12
	v_lshrrev_b32_e32 v10, 6, v0
	v_addc_co_u32_e64 v23, s[24:25], 0, 0, vcc
	v_add_co_u32_e32 v24, vcc, 1, v12
	v_addc_co_u32_e64 v25, s[24:25], 0, 0, vcc
	v_mul_lo_u32 v5, s16, v10
	v_lshlrev_b32_e32 v5, 2, v5
	v_lshlrev_b32_e32 v26, 2, v12
	s_movk_i32 s24, 0x100
	v_mov_b32_e32 v11, 0
	v_add3_u32 v5, v5, v26, s24
	s_mul_i32 s24, s16, s13
	s_ashr_i32 s3, s2, 31
	v_mov_b32_e32 v13, v11
	s_lshl_b32 s36, s24, 2
	s_mov_b64 s[24:25], 0
	v_mov_b32_e32 v37, s13
	s_mov_b64 s[26:27], src_shared_base
	s_branch .LBB44_30
.LBB44_28:                              ;   in Loop: Header=BB44_30 Depth=1
	s_or_b64 exec, exec, s[30:31]
	v_mov_b32_e32 v27, s27
	flat_load_dword v26, v[26:27] glc
	s_waitcnt vmcnt(0)
.LBB44_29:                              ;   in Loop: Header=BB44_30 Depth=1
	s_or_b64 exec, exec, s[28:29]
	s_add_u32 s24, s24, 1
	s_addc_u32 s25, s25, 0
	s_cmp_eq_u64 s[24:25], s[22:23]
	v_add_u32_e32 v5, s36, v5
	s_cbranch_scc1 .LBB44_48
.LBB44_30:                              ; =>This Loop Header: Depth=1
                                        ;     Child Loop BB44_33 Depth 2
	v_mad_u64_u32 v[30:31], s[28:29], s24, v37, v[10:11]
	s_mul_i32 s26, s25, s13
	v_add_u32_e32 v31, s26, v31
	v_cmp_gt_i64_e32 vcc, s[2:3], v[30:31]
	s_and_saveexec_b64 s[28:29], vcc
	s_cbranch_execz .LBB44_29
; %bb.31:                               ;   in Loop: Header=BB44_30 Depth=1
	v_pk_mov_b32 v[32:33], s[16:17], s[16:17] op_sel:[0,1]
	v_mul_lo_u32 v29, v31, s16
	v_mul_lo_u32 v38, v30, s17
	v_mad_u64_u32 v[32:33], s[30:31], v30, s16, v[32:33]
	v_add3_u32 v33, v29, v33, v38
	v_mov_b32_e32 v28, s21
	v_cmp_gt_i64_e32 vcc, s[20:21], v[32:33]
	s_waitcnt lgkmcnt(0)
	v_mad_u64_u32 v[26:27], s[30:31], v30, s16, v[12:13]
	v_cndmask_b32_e32 v33, v28, v33, vcc
	v_mov_b32_e32 v28, s20
	v_add3_u32 v27, v29, v27, v38
	v_cndmask_b32_e32 v32, v28, v32, vcc
	v_add_co_u32_e32 v34, vcc, 64, v26
	v_addc_co_u32_e32 v35, vcc, 0, v27, vcc
	v_cmp_lt_i64_e32 vcc, v[34:35], v[32:33]
	v_lshlrev_b32_e32 v28, 2, v26
	s_and_saveexec_b64 s[30:31], vcc
	s_cbranch_execz .LBB44_34
; %bb.32:                               ;   in Loop: Header=BB44_30 Depth=1
	ds_read_b32 v31, v28
	s_mov_b64 s[34:35], 0
	v_mov_b32_e32 v27, v5
.LBB44_33:                              ;   Parent Loop BB44_30 Depth=1
                                        ; =>  This Inner Loop Header: Depth=2
	ds_read_b32 v39, v27
	v_add_co_u32_e32 v34, vcc, 64, v34
	v_addc_co_u32_e32 v35, vcc, 0, v35, vcc
	s_waitcnt lgkmcnt(1)
	v_max_f32_e32 v31, v31, v31
	v_cmp_ge_i64_e32 vcc, v[34:35], v[32:33]
	s_waitcnt lgkmcnt(0)
	v_max_f32_e32 v39, v39, v39
	v_add_u32_e32 v27, 0x100, v27
	s_or_b64 s[34:35], vcc, s[34:35]
	v_max_f32_e32 v31, v31, v39
	ds_write_b32 v28, v31
	s_andn2_b64 exec, exec, s[34:35]
	s_cbranch_execnz .LBB44_33
.LBB44_34:                              ;   in Loop: Header=BB44_30 Depth=1
	s_or_b64 exec, exec, s[30:31]
	v_mad_u64_u32 v[30:31], s[30:31], v30, s16, 0
	v_add3_u32 v27, v31, v38, v29
	v_sub_co_u32_e32 v30, vcc, v32, v30
	v_subb_co_u32_e32 v31, vcc, v33, v27, vcc
	v_cmp_gt_i64_e32 vcc, 64, v[30:31]
	v_cndmask_b32_e32 v31, 0, v31, vcc
	v_cndmask_b32_e32 v30, 64, v30, vcc
	v_cmp_lt_i64_e32 vcc, v[14:15], v[30:31]
	s_and_saveexec_b64 s[30:31], vcc
	s_cbranch_execnz .LBB44_46
; %bb.35:                               ;   in Loop: Header=BB44_30 Depth=1
	s_or_b64 exec, exec, s[30:31]
	v_cmp_lt_i64_e32 vcc, v[16:17], v[30:31]
	s_and_saveexec_b64 s[30:31], vcc
	s_cbranch_execnz .LBB44_47
.LBB44_36:                              ;   in Loop: Header=BB44_30 Depth=1
	s_or_b64 exec, exec, s[30:31]
	v_cmp_lt_i64_e32 vcc, v[18:19], v[30:31]
	s_and_saveexec_b64 s[30:31], vcc
	s_cbranch_execz .LBB44_38
.LBB44_37:                              ;   in Loop: Header=BB44_30 Depth=1
	v_mov_b32_e32 v29, s27
	v_add_u32_e32 v32, 32, v28
	v_mov_b32_e32 v33, s27
	flat_load_dword v27, v[28:29] glc
	s_waitcnt vmcnt(0)
	flat_load_dword v34, v[32:33] glc
	s_waitcnt vmcnt(0) lgkmcnt(0)
	v_max_f32_e32 v27, v27, v27
	v_max_f32_e32 v32, v34, v34
	;; [unrolled: 1-line block ×3, first 2 shown]
	flat_store_dword v[28:29], v27
	s_waitcnt vmcnt(0)
.LBB44_38:                              ;   in Loop: Header=BB44_30 Depth=1
	s_or_b64 exec, exec, s[30:31]
	v_cmp_ge_i64_e32 vcc, v[20:21], v[30:31]
	s_and_saveexec_b64 s[30:31], vcc
	s_xor_b64 s[30:31], exec, s[30:31]
; %bb.39:                               ;   in Loop: Header=BB44_30 Depth=1
                                        ; implicit-def: $vgpr28
; %bb.40:                               ;   in Loop: Header=BB44_30 Depth=1
	s_andn2_saveexec_b64 s[30:31], s[30:31]
	s_cbranch_execz .LBB44_42
; %bb.41:                               ;   in Loop: Header=BB44_30 Depth=1
	v_mov_b32_e32 v29, s27
	v_add_u32_e32 v32, 16, v28
	v_mov_b32_e32 v33, s27
	flat_load_dword v27, v[28:29] glc
	s_waitcnt vmcnt(0)
	flat_load_dword v34, v[32:33] glc
	s_waitcnt vmcnt(0) lgkmcnt(0)
	v_max_f32_e32 v27, v27, v27
	v_max_f32_e32 v32, v34, v34
	;; [unrolled: 1-line block ×3, first 2 shown]
	flat_store_dword v[28:29], v27
	s_waitcnt vmcnt(0)
.LBB44_42:                              ;   in Loop: Header=BB44_30 Depth=1
	s_or_b64 exec, exec, s[30:31]
	v_cmp_lt_i64_e32 vcc, v[22:23], v[30:31]
	v_lshlrev_b32_e32 v26, 2, v26
	s_and_saveexec_b64 s[30:31], vcc
	s_cbranch_execz .LBB44_44
; %bb.43:                               ;   in Loop: Header=BB44_30 Depth=1
	v_mov_b32_e32 v27, s27
	v_add_u32_e32 v28, 8, v26
	v_mov_b32_e32 v29, s27
	flat_load_dword v32, v[26:27] glc
	s_waitcnt vmcnt(0)
	flat_load_dword v33, v[28:29] glc
	s_waitcnt vmcnt(0) lgkmcnt(0)
	v_max_f32_e32 v28, v32, v32
	v_max_f32_e32 v29, v33, v33
	;; [unrolled: 1-line block ×3, first 2 shown]
	flat_store_dword v[26:27], v28
	s_waitcnt vmcnt(0)
.LBB44_44:                              ;   in Loop: Header=BB44_30 Depth=1
	s_or_b64 exec, exec, s[30:31]
	v_cmp_lt_i64_e32 vcc, v[24:25], v[30:31]
	s_and_saveexec_b64 s[30:31], vcc
	s_cbranch_execz .LBB44_28
; %bb.45:                               ;   in Loop: Header=BB44_30 Depth=1
	v_mov_b32_e32 v27, s27
	v_add_u32_e32 v28, 4, v26
	v_mov_b32_e32 v29, s27
	flat_load_dword v30, v[26:27] glc
	s_waitcnt vmcnt(0)
	flat_load_dword v31, v[28:29] glc
	s_waitcnt vmcnt(0) lgkmcnt(0)
	v_max_f32_e32 v28, v30, v30
	v_max_f32_e32 v29, v31, v31
	;; [unrolled: 1-line block ×3, first 2 shown]
	flat_store_dword v[26:27], v28
	s_waitcnt vmcnt(0)
	s_branch .LBB44_28
.LBB44_46:                              ;   in Loop: Header=BB44_30 Depth=1
	v_mov_b32_e32 v29, s27
	v_add_u32_e32 v32, 0x80, v28
	v_mov_b32_e32 v33, s27
	flat_load_dword v27, v[28:29] glc
	s_waitcnt vmcnt(0)
	flat_load_dword v34, v[32:33] glc
	s_waitcnt vmcnt(0) lgkmcnt(0)
	v_max_f32_e32 v27, v27, v27
	v_max_f32_e32 v32, v34, v34
	;; [unrolled: 1-line block ×3, first 2 shown]
	flat_store_dword v[28:29], v27
	s_waitcnt vmcnt(0)
	s_or_b64 exec, exec, s[30:31]
	v_cmp_lt_i64_e32 vcc, v[16:17], v[30:31]
	s_and_saveexec_b64 s[30:31], vcc
	s_cbranch_execz .LBB44_36
.LBB44_47:                              ;   in Loop: Header=BB44_30 Depth=1
	v_mov_b32_e32 v29, s27
	v_add_u32_e32 v32, 64, v28
	v_mov_b32_e32 v33, s27
	flat_load_dword v27, v[28:29] glc
	s_waitcnt vmcnt(0)
	flat_load_dword v34, v[32:33] glc
	s_waitcnt vmcnt(0) lgkmcnt(0)
	v_max_f32_e32 v27, v27, v27
	v_max_f32_e32 v32, v34, v34
	v_max_f32_e32 v27, v27, v32
	flat_store_dword v[28:29], v27
	s_waitcnt vmcnt(0)
	s_or_b64 exec, exec, s[30:31]
	v_cmp_lt_i64_e32 vcc, v[18:19], v[30:31]
	s_and_saveexec_b64 s[30:31], vcc
	s_cbranch_execnz .LBB44_37
	s_branch .LBB44_38
.LBB44_48:
	s_load_dwordx2 s[16:17], s[4:5], 0x40
	v_cmp_eq_u32_e32 vcc, 0, v4
	v_cmp_lt_i64_e64 s[2:3], v[6:7], v[8:9]
	s_and_b64 s[2:3], vcc, s[2:3]
	s_waitcnt lgkmcnt(0)
	s_barrier
	s_and_saveexec_b64 s[20:21], s[2:3]
	s_cbranch_execz .LBB44_55
; %bb.49:
	s_load_dwordx2 s[2:3], s[4:5], 0x20
	ds_read_b32 v1, v1
	s_waitcnt lgkmcnt(0)
	s_cmp_eq_u64 s[2:3], 0
	s_cbranch_scc1 .LBB44_51
; %bb.50:
	s_load_dword s2, s[2:3], 0x0
	v_max_f32_e32 v1, v1, v1
	s_waitcnt lgkmcnt(0)
	v_max_f32_e64 v4, s2, s2
	v_min_f32_e32 v1, v1, v4
.LBB44_51:
	s_add_u32 s3, s16, s48
	s_addc_u32 s4, s17, 0
	s_add_u32 s22, s3, -1
	s_addc_u32 s23, s4, -1
	s_or_b64 s[4:5], s[22:23], s[16:17]
	s_mov_b32 s2, 0
	s_mov_b32 s3, s5
	s_cmp_lg_u64 s[2:3], 0
	s_mov_b64 s[24:25], -1
	s_cbranch_scc0 .LBB44_68
; %bb.52:
	s_ashr_i32 s2, s17, 31
	s_add_u32 s4, s16, s2
	s_mov_b32 s3, s2
	s_addc_u32 s5, s17, s2
	s_xor_b64 s[26:27], s[4:5], s[2:3]
	v_cvt_f32_u32_e32 v4, s26
	v_cvt_f32_u32_e32 v5, s27
	s_sub_u32 s2, 0, s26
	s_subb_u32 s3, 0, s27
	v_madmk_f32 v4, v5, 0x4f800000, v4
	v_rcp_f32_e32 v4, v4
	v_mul_f32_e32 v4, 0x5f7ffffc, v4
	v_mul_f32_e32 v5, 0x2f800000, v4
	v_trunc_f32_e32 v5, v5
	v_madmk_f32 v4, v5, 0xcf800000, v4
	v_cvt_u32_f32_e32 v5, v5
	v_cvt_u32_f32_e32 v4, v4
	v_readfirstlane_b32 s4, v5
	v_readfirstlane_b32 s5, v4
	s_mul_i32 s13, s2, s4
	s_mul_hi_u32 s29, s2, s5
	s_mul_i32 s28, s3, s5
	s_add_i32 s13, s29, s13
	s_add_i32 s13, s13, s28
	s_mul_i32 s30, s2, s5
	s_mul_hi_u32 s28, s5, s13
	s_mul_i32 s29, s5, s13
	s_mul_hi_u32 s5, s5, s30
	s_add_u32 s5, s5, s29
	s_addc_u32 s28, 0, s28
	s_mul_hi_u32 s31, s4, s30
	s_mul_i32 s30, s4, s30
	s_add_u32 s5, s5, s30
	s_mul_hi_u32 s29, s4, s13
	s_addc_u32 s5, s28, s31
	s_addc_u32 s28, s29, 0
	s_mul_i32 s13, s4, s13
	s_add_u32 s5, s5, s13
	s_addc_u32 s13, 0, s28
	v_add_co_u32_e32 v4, vcc, s5, v4
	s_cmp_lg_u64 vcc, 0
	s_addc_u32 s4, s4, s13
	v_readfirstlane_b32 s13, v4
	s_mul_i32 s5, s2, s4
	s_mul_hi_u32 s28, s2, s13
	s_add_i32 s5, s28, s5
	s_mul_i32 s3, s3, s13
	s_add_i32 s5, s5, s3
	s_mul_i32 s2, s2, s13
	s_mul_hi_u32 s28, s4, s2
	s_mul_i32 s29, s4, s2
	s_mul_i32 s31, s13, s5
	s_mul_hi_u32 s2, s13, s2
	s_mul_hi_u32 s30, s13, s5
	s_add_u32 s2, s2, s31
	s_addc_u32 s13, 0, s30
	s_add_u32 s2, s2, s29
	s_mul_hi_u32 s3, s4, s5
	s_addc_u32 s2, s13, s28
	s_addc_u32 s3, s3, 0
	s_mul_i32 s5, s4, s5
	s_add_u32 s2, s2, s5
	s_addc_u32 s3, 0, s3
	v_add_co_u32_e32 v4, vcc, s2, v4
	s_cmp_lg_u64 vcc, 0
	s_addc_u32 s4, s4, s3
	s_ashr_i32 s28, s23, 31
	s_add_u32 s2, s22, s28
	s_mov_b32 s29, s28
	s_addc_u32 s3, s23, s28
	s_xor_b64 s[30:31], s[2:3], s[28:29]
	v_readfirstlane_b32 s5, v4
	s_mul_i32 s3, s30, s4
	s_mul_hi_u32 s13, s30, s5
	s_mul_hi_u32 s2, s30, s4
	s_add_u32 s3, s13, s3
	s_addc_u32 s2, 0, s2
	s_mul_hi_u32 s29, s31, s5
	s_mul_i32 s5, s31, s5
	s_add_u32 s3, s3, s5
	s_mul_hi_u32 s13, s31, s4
	s_addc_u32 s2, s2, s29
	s_addc_u32 s3, s13, 0
	s_mul_i32 s4, s31, s4
	s_add_u32 s2, s2, s4
	s_addc_u32 s3, 0, s3
	s_mul_i32 s3, s26, s3
	s_mul_hi_u32 s4, s26, s2
	s_add_i32 s3, s4, s3
	s_mul_i32 s4, s27, s2
	s_mul_i32 s2, s26, s2
	s_add_i32 s13, s3, s4
	v_mov_b32_e32 v4, s2
	s_sub_i32 s3, s31, s13
	v_sub_co_u32_e32 v4, vcc, s30, v4
	s_cmp_lg_u64 vcc, 0
	s_subb_u32 s29, s3, s27
	v_subrev_co_u32_e64 v5, s[2:3], s26, v4
	s_cmp_lg_u64 s[2:3], 0
	s_subb_u32 s30, s29, 0
	s_cmp_ge_u32 s30, s27
	s_cselect_b32 s34, -1, 0
	v_cmp_le_u32_e64 s[4:5], s26, v5
	s_cmp_eq_u32 s30, s27
	v_cndmask_b32_e64 v6, 0, -1, s[4:5]
	v_mov_b32_e32 v7, s34
	s_cselect_b64 s[4:5], -1, 0
	s_cmp_lg_u64 s[2:3], 0
	v_cndmask_b32_e64 v6, v7, v6, s[4:5]
	s_subb_u32 s4, s29, s27
	v_subrev_co_u32_e64 v7, s[2:3], s26, v5
	s_cmp_lg_u64 s[2:3], 0
	s_subb_u32 s4, s4, 0
	v_cmp_ne_u32_e64 s[2:3], 0, v6
	v_cndmask_b32_e64 v5, v5, v7, s[2:3]
	v_mov_b32_e32 v6, s30
	v_mov_b32_e32 v7, s4
	s_cmp_lg_u64 vcc, 0
	v_cndmask_b32_e64 v6, v6, v7, s[2:3]
	s_subb_u32 s2, s31, s13
	s_cmp_ge_u32 s2, s27
	s_cselect_b32 s3, -1, 0
	v_cmp_le_u32_e32 vcc, s26, v4
	s_cmp_eq_u32 s2, s27
	v_cndmask_b32_e64 v7, 0, -1, vcc
	v_mov_b32_e32 v8, s3
	s_cselect_b64 vcc, -1, 0
	v_cndmask_b32_e32 v7, v8, v7, vcc
	v_cmp_ne_u32_e32 vcc, 0, v7
	v_mov_b32_e32 v8, s2
	v_cndmask_b32_e32 v4, v4, v5, vcc
	v_cndmask_b32_e32 v6, v8, v6, vcc
	v_xor_b32_e32 v4, s28, v4
	v_xor_b32_e32 v5, s28, v6
	v_mov_b32_e32 v6, s28
	v_subrev_co_u32_e32 v4, vcc, s28, v4
	v_subb_co_u32_e32 v5, vcc, v5, v6, vcc
	s_cbranch_execnz .LBB44_54
.LBB44_53:
	v_cvt_f32_u32_e32 v4, s16
	s_sub_i32 s2, 0, s16
	v_rcp_iflag_f32_e32 v4, v4
	v_mul_f32_e32 v4, 0x4f7ffffe, v4
	v_cvt_u32_f32_e32 v4, v4
	v_mul_lo_u32 v5, s2, v4
	v_mul_hi_u32 v5, v4, v5
	v_add_u32_e32 v4, v4, v5
	v_mul_hi_u32 v4, s22, v4
	v_mul_lo_u32 v4, v4, s16
	v_sub_u32_e32 v4, s22, v4
	v_subrev_u32_e32 v5, s16, v4
	v_cmp_le_u32_e32 vcc, s16, v4
	v_cndmask_b32_e32 v4, v4, v5, vcc
	v_subrev_u32_e32 v5, s16, v4
	v_cmp_le_u32_e32 vcc, s16, v4
	v_cndmask_b32_e32 v4, v4, v5, vcc
	v_mov_b32_e32 v5, 0
.LBB44_54:
	s_mov_b32 s4, 0x42fe0000
	v_div_scale_f32 v6, s[2:3], s4, s4, v1
	v_rcp_f32_e32 v7, v6
	v_div_scale_f32 v8, vcc, v1, s4, v1
	v_fma_f32 v9, -v6, v7, 1.0
	v_fmac_f32_e32 v7, v9, v7
	v_mul_f32_e32 v9, v8, v7
	v_fma_f32 v10, -v6, v9, v8
	v_fmac_f32_e32 v9, v10, v7
	v_fma_f32 v6, -v6, v9, v8
	v_div_fmas_f32 v6, v6, v7, v9
	v_div_fixup_f32 v1, v6, s4, v1
	v_mov_b32_e32 v6, s23
	v_sub_co_u32_e32 v4, vcc, s22, v4
	v_subb_co_u32_e32 v5, vcc, v6, v5, vcc
	v_mul_lo_u32 v5, v5, v2
	v_mul_lo_u32 v6, v4, v3
	v_mad_u64_u32 v[2:3], s[2:3], v4, v2, 0
	s_lshl_b64 s[2:3], s[6:7], 2
	v_add3_u32 v3, v3, v6, v5
	s_add_u32 s2, s2, s10
	v_lshlrev_b64 v[2:3], 2, v[2:3]
	s_addc_u32 s3, s3, s11
	v_mov_b32_e32 v4, s3
	v_add_co_u32_e32 v2, vcc, s2, v2
	v_max_f32_e32 v1, 0x34000000, v1
	v_addc_co_u32_e32 v3, vcc, v4, v3, vcc
	global_store_dword v[2:3], v1, off
.LBB44_55:
	s_or_b64 exec, exec, s[20:21]
	s_barrier
	s_and_saveexec_b64 s[2:3], s[0:1]
	s_cbranch_execz .LBB44_67
; %bb.56:
	s_add_u32 s1, s16, s48
	s_addc_u32 s2, s17, 0
	s_add_u32 s4, s1, -1
	s_addc_u32 s5, s2, -1
	s_or_b64 s[2:3], s[4:5], s[16:17]
	s_mov_b32 s0, 0
	s_mov_b32 s1, s3
	s_cmp_lg_u64 s[0:1], 0
	s_mov_b64 s[20:21], -1
	s_cbranch_scc0 .LBB44_69
; %bb.57:
	s_ashr_i32 s0, s17, 31
	s_add_u32 s2, s16, s0
	s_mov_b32 s1, s0
	s_addc_u32 s3, s17, s0
	s_xor_b64 s[22:23], s[2:3], s[0:1]
	v_cvt_f32_u32_e32 v1, s22
	v_cvt_f32_u32_e32 v2, s23
	s_sub_u32 s0, 0, s22
	s_subb_u32 s1, 0, s23
	v_madmk_f32 v1, v2, 0x4f800000, v1
	v_rcp_f32_e32 v1, v1
	v_mul_f32_e32 v1, 0x5f7ffffc, v1
	v_mul_f32_e32 v2, 0x2f800000, v1
	v_trunc_f32_e32 v2, v2
	v_madmk_f32 v1, v2, 0xcf800000, v1
	v_cvt_u32_f32_e32 v2, v2
	v_cvt_u32_f32_e32 v1, v1
	v_readfirstlane_b32 s2, v2
	v_readfirstlane_b32 s3, v1
	s_mul_i32 s13, s0, s2
	s_mul_hi_u32 s24, s0, s3
	s_mul_i32 s17, s1, s3
	s_add_i32 s13, s24, s13
	s_add_i32 s13, s13, s17
	s_mul_i32 s25, s0, s3
	s_mul_hi_u32 s17, s3, s13
	s_mul_i32 s24, s3, s13
	s_mul_hi_u32 s3, s3, s25
	s_add_u32 s3, s3, s24
	s_addc_u32 s17, 0, s17
	s_mul_hi_u32 s26, s2, s25
	s_mul_i32 s25, s2, s25
	s_add_u32 s3, s3, s25
	s_mul_hi_u32 s24, s2, s13
	s_addc_u32 s3, s17, s26
	s_addc_u32 s17, s24, 0
	s_mul_i32 s13, s2, s13
	s_add_u32 s3, s3, s13
	s_addc_u32 s13, 0, s17
	v_add_co_u32_e32 v1, vcc, s3, v1
	s_cmp_lg_u64 vcc, 0
	s_addc_u32 s2, s2, s13
	v_readfirstlane_b32 s13, v1
	s_mul_i32 s3, s0, s2
	s_mul_hi_u32 s17, s0, s13
	s_add_i32 s3, s17, s3
	s_mul_i32 s1, s1, s13
	s_add_i32 s3, s3, s1
	s_mul_i32 s0, s0, s13
	s_mul_hi_u32 s17, s2, s0
	s_mul_i32 s24, s2, s0
	s_mul_i32 s26, s13, s3
	s_mul_hi_u32 s0, s13, s0
	s_mul_hi_u32 s25, s13, s3
	s_add_u32 s0, s0, s26
	s_addc_u32 s13, 0, s25
	s_add_u32 s0, s0, s24
	s_mul_hi_u32 s1, s2, s3
	s_addc_u32 s0, s13, s17
	s_addc_u32 s1, s1, 0
	s_mul_i32 s3, s2, s3
	s_add_u32 s0, s0, s3
	s_addc_u32 s1, 0, s1
	v_add_co_u32_e32 v1, vcc, s0, v1
	s_cmp_lg_u64 vcc, 0
	s_addc_u32 s2, s2, s1
	s_ashr_i32 s24, s5, 31
	s_add_u32 s0, s4, s24
	s_mov_b32 s25, s24
	s_addc_u32 s1, s5, s24
	s_xor_b64 s[26:27], s[0:1], s[24:25]
	v_readfirstlane_b32 s3, v1
	s_mul_i32 s1, s26, s2
	s_mul_hi_u32 s13, s26, s3
	s_mul_hi_u32 s0, s26, s2
	s_add_u32 s1, s13, s1
	s_addc_u32 s0, 0, s0
	s_mul_hi_u32 s17, s27, s3
	s_mul_i32 s3, s27, s3
	s_add_u32 s1, s1, s3
	s_mul_hi_u32 s13, s27, s2
	s_addc_u32 s0, s0, s17
	s_addc_u32 s1, s13, 0
	s_mul_i32 s2, s27, s2
	s_add_u32 s0, s0, s2
	s_addc_u32 s1, 0, s1
	s_mul_i32 s1, s22, s1
	s_mul_hi_u32 s2, s22, s0
	s_add_i32 s1, s2, s1
	s_mul_i32 s2, s23, s0
	s_mul_i32 s0, s22, s0
	s_add_i32 s13, s1, s2
	v_mov_b32_e32 v1, s0
	s_sub_i32 s1, s27, s13
	v_sub_co_u32_e32 v1, vcc, s26, v1
	s_cmp_lg_u64 vcc, 0
	s_subb_u32 s17, s1, s23
	v_subrev_co_u32_e64 v2, s[0:1], s22, v1
	s_cmp_lg_u64 s[0:1], 0
	s_subb_u32 s25, s17, 0
	s_cmp_ge_u32 s25, s23
	s_cselect_b32 s26, -1, 0
	v_cmp_le_u32_e64 s[2:3], s22, v2
	s_cmp_eq_u32 s25, s23
	v_cndmask_b32_e64 v3, 0, -1, s[2:3]
	v_mov_b32_e32 v4, s26
	s_cselect_b64 s[2:3], -1, 0
	s_cmp_lg_u64 s[0:1], 0
	v_cndmask_b32_e64 v3, v4, v3, s[2:3]
	s_subb_u32 s2, s17, s23
	v_subrev_co_u32_e64 v4, s[0:1], s22, v2
	s_cmp_lg_u64 s[0:1], 0
	s_subb_u32 s2, s2, 0
	v_cmp_ne_u32_e64 s[0:1], 0, v3
	v_cndmask_b32_e64 v2, v2, v4, s[0:1]
	v_mov_b32_e32 v3, s25
	v_mov_b32_e32 v4, s2
	s_cmp_lg_u64 vcc, 0
	v_cndmask_b32_e64 v3, v3, v4, s[0:1]
	s_subb_u32 s0, s27, s13
	s_cmp_ge_u32 s0, s23
	s_cselect_b32 s1, -1, 0
	v_cmp_le_u32_e32 vcc, s22, v1
	s_cmp_eq_u32 s0, s23
	v_cndmask_b32_e64 v4, 0, -1, vcc
	v_mov_b32_e32 v5, s1
	s_cselect_b64 vcc, -1, 0
	v_cndmask_b32_e32 v4, v5, v4, vcc
	v_cmp_ne_u32_e32 vcc, 0, v4
	v_mov_b32_e32 v5, s0
	v_cndmask_b32_e32 v1, v1, v2, vcc
	v_cndmask_b32_e32 v3, v5, v3, vcc
	v_xor_b32_e32 v1, s24, v1
	v_xor_b32_e32 v3, s24, v3
	v_mov_b32_e32 v4, s24
	v_subrev_co_u32_e32 v2, vcc, s24, v1
	v_subb_co_u32_e32 v3, vcc, v3, v4, vcc
	s_cbranch_execnz .LBB44_59
.LBB44_58:
	v_cvt_f32_u32_e32 v1, s16
	s_sub_i32 s0, 0, s16
	v_mov_b32_e32 v3, 0
	v_rcp_iflag_f32_e32 v1, v1
	v_mul_f32_e32 v1, 0x4f7ffffe, v1
	v_cvt_u32_f32_e32 v1, v1
	v_mul_lo_u32 v2, s0, v1
	v_mul_hi_u32 v2, v1, v2
	v_add_u32_e32 v1, v1, v2
	v_mul_hi_u32 v1, s4, v1
	v_mul_lo_u32 v1, v1, s16
	v_sub_u32_e32 v1, s4, v1
	v_subrev_u32_e32 v2, s16, v1
	v_cmp_le_u32_e32 vcc, s16, v1
	v_cndmask_b32_e32 v1, v1, v2, vcc
	v_subrev_u32_e32 v2, s16, v1
	v_cmp_le_u32_e32 vcc, s16, v1
	v_cndmask_b32_e32 v2, v1, v2, vcc
.LBB44_59:
	s_add_u32 s13, s8, s18
	s_addc_u32 s16, s9, s19
	s_lshl_b64 s[0:1], s[6:7], 2
	s_add_u32 s17, s10, s0
	s_addc_u32 s18, s11, s1
	v_mov_b32_e32 v1, s5
	v_sub_co_u32_e32 v6, vcc, s4, v2
	v_subb_co_u32_e32 v7, vcc, v1, v3, vcc
	s_mul_i32 s19, s47, 3
	s_lshl_b32 s20, s47, 1
	s_mov_b64 s[0:1], 0
	v_mov_b32_e32 v1, 0
	v_mov_b32_e32 v8, s44
	;; [unrolled: 1-line block ×5, first 2 shown]
	s_mov_b32 s21, 0x42fe0000
	v_mov_b32_e32 v12, 0x42fe0000
	s_mov_b32 s22, 0xc3000000
	v_mov_b32_e32 v13, 0xc3000000
	v_mov_b32_e32 v14, s16
	;; [unrolled: 1-line block ×3, first 2 shown]
                                        ; implicit-def: $sgpr2_sgpr3
	s_branch .LBB44_63
.LBB44_60:                              ;   in Loop: Header=BB44_63 Depth=1
	s_or_b64 exec, exec, s[8:9]
	s_orn2_b64 s[8:9], s[10:11], exec
.LBB44_61:                              ;   in Loop: Header=BB44_63 Depth=1
	s_or_b64 exec, exec, s[6:7]
	s_andn2_b64 s[2:3], s[2:3], exec
	s_and_b64 s[6:7], s[8:9], exec
	s_or_b64 s[2:3], s[2:3], s[6:7]
.LBB44_62:                              ;   in Loop: Header=BB44_63 Depth=1
	s_or_b64 exec, exec, s[4:5]
	s_and_b64 s[4:5], exec, s[2:3]
	s_or_b64 s[0:1], s[4:5], s[0:1]
	s_andn2_b64 exec, exec, s[0:1]
	s_cbranch_execz .LBB44_67
.LBB44_63:                              ; =>This Inner Loop Header: Depth=1
	v_lshlrev_b64 v[2:3], 3, v[0:1]
	v_add_co_u32_e32 v4, vcc, s33, v2
	v_bfe_u32 v23, v0, 5, 25
	v_addc_co_u32_e32 v5, vcc, v8, v3, vcc
	v_mad_u64_u32 v[20:21], s[4:5], v6, v23, 0
	global_load_dwordx2 v[16:17], v[4:5], off
	v_add_co_u32_e32 v4, vcc, s45, v2
	v_mov_b32_e32 v22, v21
	v_addc_co_u32_e32 v5, vcc, v10, v3, vcc
	v_mad_u64_u32 v[22:23], s[4:5], v7, v23, v[22:23]
	global_load_dwordx2 v[18:19], v[4:5], off
	v_mov_b32_e32 v21, v22
	v_lshlrev_b64 v[20:21], 2, v[20:21]
	v_add_co_u32_e32 v20, vcc, s17, v20
	v_addc_co_u32_e32 v21, vcc, v11, v21, vcc
	global_load_dword v30, v[20:21], off
	v_add_co_u32_e32 v2, vcc, s14, v2
	v_addc_co_u32_e32 v3, vcc, v9, v3, vcc
	global_load_dwordx2 v[20:21], v[2:3], off
	v_lshlrev_b64 v[22:23], 2, v[0:1]
	v_add_u32_e32 v2, s47, v0
	s_or_b64 s[2:3], s[2:3], exec
	s_waitcnt vmcnt(3)
	v_cvt_f32_f16_e32 v24, v17
	v_cvt_f32_f16_sdwa v25, v17 dst_sel:DWORD dst_unused:UNUSED_PAD src0_sel:WORD_1
	v_cvt_f32_f16_e32 v26, v16
	v_cvt_f32_f16_sdwa v27, v16 dst_sel:DWORD dst_unused:UNUSED_PAD src0_sel:WORD_1
	s_waitcnt vmcnt(2)
	v_cvt_f32_f16_e32 v16, v19
	v_cvt_f32_f16_sdwa v17, v19 dst_sel:DWORD dst_unused:UNUSED_PAD src0_sel:WORD_1
	v_cvt_f32_f16_e32 v28, v18
	v_cvt_f32_f16_sdwa v29, v18 dst_sel:DWORD dst_unused:UNUSED_PAD src0_sel:WORD_1
	v_add_co_u32_e32 v18, vcc, s13, v22
	v_addc_co_u32_e32 v19, vcc, v14, v23, vcc
	v_pk_add_f32 v[22:23], v[26:27], v[28:29]
	v_pk_add_f32 v[16:17], v[24:25], v[16:17]
	s_waitcnt vmcnt(1)
	v_div_scale_f32 v27, s[4:5], v30, v30, 1.0
	v_cvt_f16_f32_e32 v3, v17
	v_cvt_f16_f32_e32 v24, v16
	v_rcp_f32_e32 v29, v27
	v_cvt_f16_f32_e32 v25, v23
	v_cvt_f16_f32_e32 v26, v22
	v_fma_mixlo_f16 v17, v36, v17, 0
	v_fma_mixlo_f16 v22, v36, v22, 0
	;; [unrolled: 1-line block ×3, first 2 shown]
	s_waitcnt vmcnt(0)
	v_mul_f16_sdwa v17, v21, v17 dst_sel:DWORD dst_unused:UNUSED_PAD src0_sel:WORD_1 src1_sel:DWORD
	v_fma_mixlo_f16 v16, v36, v16, 0
	v_mul_f16_e32 v22, v20, v22
	v_mul_f16_sdwa v20, v20, v23 dst_sel:DWORD dst_unused:UNUSED_PAD src0_sel:WORD_1 src1_sel:DWORD
	v_cvt_f32_f16_e32 v23, v17
	v_pack_b32_f16 v17, v24, v3
	v_fma_f32 v3, -v27, v29, 1.0
	v_div_scale_f32 v28, vcc, 1.0, v30, 1.0
	v_mul_f16_e32 v16, v21, v16
	v_fmac_f32_e32 v29, v3, v29
	v_cvt_f32_f16_e32 v21, v22
	v_cvt_f32_f16_e32 v22, v16
	v_pack_b32_f16 v16, v26, v25
	v_mul_f32_e32 v3, v28, v29
	global_store_dwordx2 v[4:5], v[16:17], off
	v_fma_f32 v4, -v27, v3, v28
	v_fmac_f32_e32 v3, v4, v29
	v_cvt_f32_f16_e32 v20, v20
	v_fma_f32 v4, -v27, v3, v28
	v_div_fmas_f32 v3, v4, v29, v3
	v_div_fixup_f32 v3, v3, v30, 1.0
	v_mul_f32_e32 v4, v3, v21
	v_mul_f32_e32 v5, v3, v20
	v_rndne_f32_e32 v4, v4
	v_mul_f32_e32 v16, v3, v22
	v_rndne_f32_e32 v5, v5
	v_cmp_nlt_f32_e32 vcc, s21, v4
	v_mul_f32_e32 v3, v3, v23
	v_rndne_f32_e32 v16, v16
	v_cndmask_b32_e32 v17, v12, v4, vcc
	v_cmp_nlt_f32_e32 vcc, s21, v5
	v_rndne_f32_e32 v3, v3
	v_cndmask_b32_e32 v20, v12, v5, vcc
	v_cmp_nlt_f32_e32 vcc, s21, v16
	v_cndmask_b32_e32 v21, v12, v16, vcc
	v_cmp_nlt_f32_e32 vcc, s21, v3
	v_cndmask_b32_e32 v22, v12, v3, vcc
	v_cmp_ngt_f32_e32 vcc, s22, v4
	v_cndmask_b32_e32 v4, v13, v17, vcc
	v_cmp_ngt_f32_e32 vcc, s22, v5
	;; [unrolled: 2-line block ×4, first 2 shown]
	v_cvt_i32_f32_e32 v16, v16
	v_cndmask_b32_e32 v3, v13, v22, vcc
	v_cvt_i32_f32_e32 v5, v5
	v_cvt_i32_f32_e32 v4, v4
	;; [unrolled: 1-line block ×3, first 2 shown]
	v_and_b32_e32 v16, 0xff, v16
	v_lshlrev_b32_e32 v16, 16, v16
	v_lshlrev_b32_sdwa v5, v15, v5 dst_sel:DWORD dst_unused:UNUSED_PAD src0_sel:DWORD src1_sel:BYTE_0
	v_and_b32_e32 v4, 0xff, v4
	v_lshl_or_b32 v3, v3, 24, v16
	v_or3_b32 v3, v3, v5, v4
	v_cmp_gt_u32_e32 vcc, s12, v2
	global_store_dword v[18:19], v3, off
	s_and_saveexec_b64 s[4:5], vcc
	s_cbranch_execz .LBB44_62
; %bb.64:                               ;   in Loop: Header=BB44_63 Depth=1
	v_mov_b32_e32 v3, v1
	v_lshlrev_b64 v[4:5], 3, v[2:3]
	v_mov_b32_e32 v17, s44
	v_add_co_u32_e32 v16, vcc, s33, v4
	v_addc_co_u32_e32 v17, vcc, v17, v5, vcc
	v_mov_b32_e32 v19, s46
	v_add_co_u32_e32 v18, vcc, s45, v4
	v_bfe_u32 v25, v2, 5, 25
	v_addc_co_u32_e32 v19, vcc, v19, v5, vcc
	global_load_dwordx2 v[20:21], v[16:17], off
	global_load_dwordx2 v[22:23], v[18:19], off
	v_mad_u64_u32 v[16:17], s[6:7], v6, v25, 0
	v_mov_b32_e32 v24, v17
	v_mad_u64_u32 v[24:25], s[6:7], v7, v25, v[24:25]
	v_mov_b32_e32 v17, v24
	v_lshlrev_b64 v[16:17], 2, v[16:17]
	v_mov_b32_e32 v24, s18
	v_add_co_u32_e32 v16, vcc, s17, v16
	v_addc_co_u32_e32 v17, vcc, v24, v17, vcc
	global_load_dword v28, v[16:17], off
	v_mov_b32_e32 v16, s15
	v_add_co_u32_e32 v4, vcc, s14, v4
	v_addc_co_u32_e32 v5, vcc, v16, v5, vcc
	global_load_dwordx2 v[4:5], v[4:5], off
	s_mov_b64 s[8:9], -1
	s_waitcnt vmcnt(3)
	v_cvt_f32_f16_e32 v16, v21
	v_cvt_f32_f16_sdwa v17, v21 dst_sel:DWORD dst_unused:UNUSED_PAD src0_sel:WORD_1
	v_cvt_f32_f16_e32 v24, v20
	v_cvt_f32_f16_sdwa v25, v20 dst_sel:DWORD dst_unused:UNUSED_PAD src0_sel:WORD_1
	s_waitcnt vmcnt(2)
	v_cvt_f32_f16_e32 v20, v23
	v_cvt_f32_f16_sdwa v21, v23 dst_sel:DWORD dst_unused:UNUSED_PAD src0_sel:WORD_1
	v_cvt_f32_f16_e32 v26, v22
	v_cvt_f32_f16_sdwa v27, v22 dst_sel:DWORD dst_unused:UNUSED_PAD src0_sel:WORD_1
	v_pk_add_f32 v[16:17], v[16:17], v[20:21]
	v_pk_add_f32 v[22:23], v[24:25], v[26:27]
	v_cvt_f16_f32_e32 v24, v17
	v_cvt_f16_f32_e32 v25, v16
	s_waitcnt vmcnt(1)
	v_div_scale_f32 v20, s[6:7], v28, v28, 1.0
	v_rcp_f32_e32 v29, v20
	v_cvt_f16_f32_e32 v26, v23
	v_cvt_f16_f32_e32 v27, v22
	v_fma_mixlo_f16 v16, v36, v16, 0
	v_fma_mixlo_f16 v17, v36, v17, 0
	;; [unrolled: 1-line block ×4, first 2 shown]
	s_waitcnt vmcnt(0)
	v_mul_f16_e32 v16, v5, v16
	v_mul_f16_sdwa v5, v5, v17 dst_sel:DWORD dst_unused:UNUSED_PAD src0_sel:WORD_1 src1_sel:DWORD
	v_mul_f16_e32 v22, v4, v22
	v_mul_f16_sdwa v4, v4, v23 dst_sel:DWORD dst_unused:UNUSED_PAD src0_sel:WORD_1 src1_sel:DWORD
	v_cvt_f32_f16_e32 v23, v5
	v_pack_b32_f16 v5, v25, v24
	v_fma_f32 v24, -v20, v29, 1.0
	v_div_scale_f32 v21, vcc, 1.0, v28, 1.0
	v_cvt_f32_f16_e32 v17, v22
	v_cvt_f32_f16_e32 v22, v4
	v_pack_b32_f16 v4, v27, v26
	v_fmac_f32_e32 v29, v24, v29
	global_store_dwordx2 v[18:19], v[4:5], off
	v_mul_f32_e32 v4, v21, v29
	v_fma_f32 v5, -v20, v4, v21
	v_fmac_f32_e32 v4, v5, v29
	v_fma_f32 v5, -v20, v4, v21
	v_cvt_f32_f16_e32 v16, v16
	v_div_fmas_f32 v4, v5, v29, v4
	v_div_fixup_f32 v4, v4, v28, 1.0
	v_mul_f32_e32 v5, v4, v17
	v_mul_f32_e32 v17, v4, v22
	v_rndne_f32_e32 v5, v5
	v_mul_f32_e32 v16, v4, v16
	v_rndne_f32_e32 v17, v17
	v_cmp_nlt_f32_e32 vcc, s21, v5
	v_mul_f32_e32 v4, v4, v23
	v_rndne_f32_e32 v16, v16
	v_cndmask_b32_e32 v18, v12, v5, vcc
	v_cmp_nlt_f32_e32 vcc, s21, v17
	v_rndne_f32_e32 v4, v4
	v_cndmask_b32_e32 v19, v12, v17, vcc
	v_cmp_nlt_f32_e32 vcc, s21, v16
	v_cndmask_b32_e32 v20, v12, v16, vcc
	v_cmp_nlt_f32_e32 vcc, s21, v4
	v_cndmask_b32_e32 v21, v12, v4, vcc
	v_cmp_ngt_f32_e32 vcc, s22, v5
	v_cndmask_b32_e32 v5, v13, v18, vcc
	v_cmp_ngt_f32_e32 vcc, s22, v17
	;; [unrolled: 2-line block ×4, first 2 shown]
	v_cvt_i32_f32_e32 v16, v16
	v_cndmask_b32_e32 v4, v13, v21, vcc
	v_cvt_i32_f32_e32 v18, v5
	v_cvt_i32_f32_e32 v17, v17
	;; [unrolled: 1-line block ×3, first 2 shown]
	v_lshlrev_b64 v[4:5], 2, v[2:3]
	v_mov_b32_e32 v3, s16
	v_add_co_u32_e32 v4, vcc, s13, v4
	v_addc_co_u32_e32 v5, vcc, v3, v5, vcc
	v_and_b32_e32 v3, 0xff, v16
	v_lshlrev_b32_e32 v3, 16, v3
	v_lshl_or_b32 v3, v19, 24, v3
	v_lshlrev_b32_sdwa v16, v15, v17 dst_sel:DWORD dst_unused:UNUSED_PAD src0_sel:DWORD src1_sel:BYTE_0
	v_and_b32_e32 v17, 0xff, v18
	v_or3_b32 v3, v3, v16, v17
	global_store_dword v[4:5], v3, off
	v_add_u32_e32 v4, s20, v0
	v_cmp_gt_u32_e32 vcc, s12, v4
	s_and_saveexec_b64 s[6:7], vcc
	s_cbranch_execz .LBB44_61
; %bb.65:                               ;   in Loop: Header=BB44_63 Depth=1
	v_mov_b32_e32 v5, v1
	v_lshlrev_b64 v[16:17], 3, v[4:5]
	v_mov_b32_e32 v3, s44
	v_add_co_u32_e32 v18, vcc, s33, v16
	v_addc_co_u32_e32 v19, vcc, v3, v17, vcc
	v_mov_b32_e32 v3, s46
	v_add_co_u32_e32 v20, vcc, s45, v16
	v_addc_co_u32_e32 v21, vcc, v3, v17, vcc
	v_bfe_u32 v3, v4, 5, 25
	global_load_dwordx2 v[22:23], v[18:19], off
	global_load_dwordx2 v[24:25], v[20:21], off
	v_mad_u64_u32 v[18:19], s[8:9], v6, v3, 0
	v_mov_b32_e32 v26, v19
	v_mad_u64_u32 v[26:27], s[8:9], v7, v3, v[26:27]
	v_mov_b32_e32 v19, v26
	v_lshlrev_b64 v[18:19], 2, v[18:19]
	v_mov_b32_e32 v3, s18
	v_add_co_u32_e32 v18, vcc, s17, v18
	v_addc_co_u32_e32 v19, vcc, v3, v19, vcc
	global_load_dword v3, v[18:19], off
	v_mov_b32_e32 v18, s15
	v_add_co_u32_e32 v16, vcc, s14, v16
	v_addc_co_u32_e32 v17, vcc, v18, v17, vcc
	global_load_dwordx2 v[16:17], v[16:17], off
	v_lshlrev_b64 v[4:5], 2, v[4:5]
	v_add_u32_e32 v0, s19, v0
	s_mov_b64 s[10:11], -1
	s_waitcnt vmcnt(3)
	v_cvt_f32_f16_e32 v18, v23
	v_cvt_f32_f16_sdwa v19, v23 dst_sel:DWORD dst_unused:UNUSED_PAD src0_sel:WORD_1
	v_cvt_f32_f16_e32 v26, v22
	v_cvt_f32_f16_sdwa v27, v22 dst_sel:DWORD dst_unused:UNUSED_PAD src0_sel:WORD_1
	s_waitcnt vmcnt(2)
	v_cvt_f32_f16_e32 v22, v25
	v_cvt_f32_f16_sdwa v23, v25 dst_sel:DWORD dst_unused:UNUSED_PAD src0_sel:WORD_1
	v_cvt_f32_f16_e32 v28, v24
	v_cvt_f32_f16_sdwa v29, v24 dst_sel:DWORD dst_unused:UNUSED_PAD src0_sel:WORD_1
	v_pk_add_f32 v[18:19], v[18:19], v[22:23]
	v_pk_add_f32 v[24:25], v[26:27], v[28:29]
	v_cvt_f16_f32_e32 v26, v19
	v_cvt_f16_f32_e32 v27, v18
	s_waitcnt vmcnt(1)
	v_div_scale_f32 v22, s[8:9], v3, v3, 1.0
	v_rcp_f32_e32 v30, v22
	v_cvt_f16_f32_e32 v28, v25
	v_cvt_f16_f32_e32 v29, v24
	v_fma_mixlo_f16 v18, v36, v18, 0
	v_fma_mixlo_f16 v19, v36, v19, 0
	;; [unrolled: 1-line block ×4, first 2 shown]
	s_waitcnt vmcnt(0)
	v_mul_f16_e32 v18, v17, v18
	v_mul_f16_sdwa v17, v17, v19 dst_sel:DWORD dst_unused:UNUSED_PAD src0_sel:WORD_1 src1_sel:DWORD
	v_mul_f16_e32 v24, v16, v24
	v_mul_f16_sdwa v16, v16, v25 dst_sel:DWORD dst_unused:UNUSED_PAD src0_sel:WORD_1 src1_sel:DWORD
	v_cvt_f32_f16_e32 v25, v17
	v_pack_b32_f16 v17, v27, v26
	v_fma_f32 v26, -v22, v30, 1.0
	v_div_scale_f32 v23, vcc, 1.0, v3, 1.0
	v_cvt_f32_f16_e32 v19, v24
	v_cvt_f32_f16_e32 v24, v16
	v_pack_b32_f16 v16, v29, v28
	v_fmac_f32_e32 v30, v26, v30
	global_store_dwordx2 v[20:21], v[16:17], off
	v_mul_f32_e32 v16, v23, v30
	v_fma_f32 v17, -v22, v16, v23
	v_fmac_f32_e32 v16, v17, v30
	v_fma_f32 v17, -v22, v16, v23
	v_cvt_f32_f16_e32 v18, v18
	v_div_fmas_f32 v16, v17, v30, v16
	v_div_fixup_f32 v3, v16, v3, 1.0
	v_mul_f32_e32 v16, v3, v19
	v_mul_f32_e32 v17, v3, v24
	v_rndne_f32_e32 v16, v16
	v_mul_f32_e32 v18, v3, v18
	v_rndne_f32_e32 v17, v17
	v_cmp_nlt_f32_e32 vcc, s21, v16
	v_mul_f32_e32 v3, v3, v25
	v_rndne_f32_e32 v18, v18
	v_cndmask_b32_e32 v19, v12, v16, vcc
	v_cmp_nlt_f32_e32 vcc, s21, v17
	v_rndne_f32_e32 v3, v3
	v_cndmask_b32_e32 v20, v12, v17, vcc
	v_cmp_nlt_f32_e32 vcc, s21, v18
	v_cndmask_b32_e32 v21, v12, v18, vcc
	v_cmp_nlt_f32_e32 vcc, s21, v3
	v_cndmask_b32_e32 v22, v12, v3, vcc
	v_cmp_ngt_f32_e32 vcc, s22, v16
	v_cndmask_b32_e32 v16, v13, v19, vcc
	v_cmp_ngt_f32_e32 vcc, s22, v17
	;; [unrolled: 2-line block ×4, first 2 shown]
	v_cvt_i32_f32_e32 v18, v18
	v_cndmask_b32_e32 v3, v13, v22, vcc
	v_cvt_i32_f32_e32 v16, v16
	v_cvt_i32_f32_e32 v17, v17
	;; [unrolled: 1-line block ×3, first 2 shown]
	v_and_b32_e32 v18, 0xff, v18
	v_mov_b32_e32 v19, s16
	v_add_co_u32_e32 v4, vcc, s13, v4
	v_lshlrev_b32_e32 v18, 16, v18
	v_addc_co_u32_e32 v5, vcc, v19, v5, vcc
	v_lshl_or_b32 v3, v3, 24, v18
	v_lshlrev_b32_sdwa v17, v15, v17 dst_sel:DWORD dst_unused:UNUSED_PAD src0_sel:DWORD src1_sel:BYTE_0
	v_and_b32_e32 v16, 0xff, v16
	v_or3_b32 v3, v3, v17, v16
	v_cmp_gt_u32_e32 vcc, s12, v0
	global_store_dword v[4:5], v3, off
	s_and_saveexec_b64 s[8:9], vcc
	s_cbranch_execz .LBB44_60
; %bb.66:                               ;   in Loop: Header=BB44_63 Depth=1
	v_lshlrev_b64 v[16:17], 3, v[0:1]
	v_mov_b32_e32 v3, s44
	v_add_co_u32_e32 v4, vcc, s33, v16
	v_addc_co_u32_e32 v5, vcc, v3, v17, vcc
	v_mov_b32_e32 v3, s46
	global_load_dwordx2 v[18:19], v[4:5], off
	v_add_co_u32_e32 v4, vcc, s45, v16
	v_addc_co_u32_e32 v5, vcc, v3, v17, vcc
	v_bfe_u32 v3, v0, 5, 25
	v_mad_u64_u32 v[22:23], s[10:11], v6, v3, 0
	v_mov_b32_e32 v24, v23
	v_mad_u64_u32 v[24:25], s[10:11], v7, v3, v[24:25]
	global_load_dwordx2 v[20:21], v[4:5], off
	v_mov_b32_e32 v23, v24
	v_lshlrev_b64 v[22:23], 2, v[22:23]
	v_mov_b32_e32 v3, s18
	v_add_co_u32_e32 v22, vcc, s17, v22
	v_addc_co_u32_e32 v23, vcc, v3, v23, vcc
	global_load_dword v3, v[22:23], off
	v_mov_b32_e32 v22, s15
	v_add_co_u32_e32 v16, vcc, s14, v16
	v_addc_co_u32_e32 v17, vcc, v22, v17, vcc
	global_load_dwordx2 v[16:17], v[16:17], off
	s_waitcnt vmcnt(3)
	v_cvt_f32_f16_e32 v22, v19
	v_cvt_f32_f16_sdwa v23, v19 dst_sel:DWORD dst_unused:UNUSED_PAD src0_sel:WORD_1
	v_cvt_f32_f16_e32 v24, v18
	v_cvt_f32_f16_sdwa v25, v18 dst_sel:DWORD dst_unused:UNUSED_PAD src0_sel:WORD_1
	s_waitcnt vmcnt(2)
	v_cvt_f32_f16_e32 v18, v21
	v_cvt_f32_f16_e32 v26, v20
	v_cvt_f32_f16_sdwa v27, v20 dst_sel:DWORD dst_unused:UNUSED_PAD src0_sel:WORD_1
	v_cvt_f32_f16_sdwa v19, v21 dst_sel:DWORD dst_unused:UNUSED_PAD src0_sel:WORD_1
	v_lshlrev_b64 v[20:21], 2, v[0:1]
	v_pk_add_f32 v[24:25], v[24:25], v[26:27]
	v_pk_add_f32 v[18:19], v[22:23], v[18:19]
	s_waitcnt vmcnt(1)
	v_div_scale_f32 v27, s[10:11], v3, v3, 1.0
	v_cvt_f16_f32_e32 v0, v19
	v_cvt_f16_f32_e32 v22, v18
	v_rcp_f32_e32 v29, v27
	v_cvt_f16_f32_e32 v23, v25
	v_cvt_f16_f32_e32 v26, v24
	v_fma_mixlo_f16 v18, v36, v18, 0
	v_fma_mixlo_f16 v19, v36, v19, 0
	;; [unrolled: 1-line block ×4, first 2 shown]
	s_waitcnt vmcnt(0)
	v_mul_f16_e32 v18, v17, v18
	v_mul_f16_sdwa v17, v17, v19 dst_sel:DWORD dst_unused:UNUSED_PAD src0_sel:WORD_1 src1_sel:DWORD
	v_mul_f16_e32 v24, v16, v24
	v_mul_f16_sdwa v16, v16, v25 dst_sel:DWORD dst_unused:UNUSED_PAD src0_sel:WORD_1 src1_sel:DWORD
	v_cvt_f32_f16_e32 v25, v17
	v_pack_b32_f16 v17, v22, v0
	v_fma_f32 v0, -v27, v29, 1.0
	v_div_scale_f32 v28, vcc, 1.0, v3, 1.0
	v_fmac_f32_e32 v29, v0, v29
	v_cvt_f32_f16_e32 v19, v24
	v_cvt_f32_f16_e32 v24, v16
	v_pack_b32_f16 v16, v26, v23
	v_mul_f32_e32 v0, v28, v29
	global_store_dwordx2 v[4:5], v[16:17], off
	v_fma_f32 v4, -v27, v0, v28
	v_fmac_f32_e32 v0, v4, v29
	v_fma_f32 v4, -v27, v0, v28
	v_cvt_f32_f16_e32 v18, v18
	v_div_fmas_f32 v0, v4, v29, v0
	v_div_fixup_f32 v0, v0, v3, 1.0
	v_mul_f32_e32 v3, v0, v19
	v_mul_f32_e32 v4, v0, v24
	v_rndne_f32_e32 v3, v3
	v_mul_f32_e32 v5, v0, v18
	v_rndne_f32_e32 v4, v4
	v_cmp_nlt_f32_e32 vcc, s21, v3
	v_mul_f32_e32 v0, v0, v25
	v_rndne_f32_e32 v5, v5
	v_cndmask_b32_e32 v16, v12, v3, vcc
	v_cmp_nlt_f32_e32 vcc, s21, v4
	v_rndne_f32_e32 v0, v0
	v_cndmask_b32_e32 v17, v12, v4, vcc
	v_cmp_nlt_f32_e32 vcc, s21, v5
	v_cndmask_b32_e32 v18, v12, v5, vcc
	v_cmp_nlt_f32_e32 vcc, s21, v0
	v_cndmask_b32_e32 v19, v12, v0, vcc
	v_cmp_ngt_f32_e32 vcc, s22, v3
	v_cndmask_b32_e32 v3, v13, v16, vcc
	v_cmp_ngt_f32_e32 vcc, s22, v4
	;; [unrolled: 2-line block ×4, first 2 shown]
	v_cvt_i32_f32_e32 v17, v5
	v_cndmask_b32_e32 v0, v13, v19, vcc
	v_cvt_i32_f32_e32 v3, v3
	v_cvt_i32_f32_e32 v16, v4
	;; [unrolled: 1-line block ×3, first 2 shown]
	v_and_b32_e32 v17, 0xff, v17
	v_lshlrev_b32_e32 v17, 16, v17
	v_mov_b32_e32 v5, s16
	v_add_co_u32_e32 v4, vcc, s13, v20
	v_lshl_or_b32 v0, v0, 24, v17
	v_lshlrev_b32_sdwa v16, v15, v16 dst_sel:DWORD dst_unused:UNUSED_PAD src0_sel:DWORD src1_sel:BYTE_0
	v_and_b32_e32 v3, 0xff, v3
	s_add_i32 s10, s47, s47
	v_addc_co_u32_e32 v5, vcc, v5, v21, vcc
	v_or3_b32 v0, v0, v16, v3
	s_add_i32 s10, s10, s47
	global_store_dword v[4:5], v0, off
	v_add_u32_e32 v0, s10, v2
	v_cmp_le_u32_e32 vcc, s12, v0
	s_orn2_b64 s[10:11], vcc, exec
	s_branch .LBB44_60
.LBB44_67:
	s_endpgm
.LBB44_68:
                                        ; implicit-def: $vgpr4_vgpr5
	s_andn2_b64 vcc, exec, s[24:25]
	s_cbranch_vccz .LBB44_53
	s_branch .LBB44_54
.LBB44_69:
                                        ; implicit-def: $vgpr2_vgpr3
	s_andn2_b64 vcc, exec, s[20:21]
	s_cbranch_vccz .LBB44_58
	s_branch .LBB44_59
	.section	.rodata,"a",@progbits
	.p2align	6, 0x0
	.amdhsa_kernel _ZN4vllm31rms_norm_per_block_quant_kernelIN3c104HalfEaLb1ELb1ELi128EEEvPT0_PfPKT_S8_PKffiiPS6_l
		.amdhsa_group_segment_fixed_size 4164
		.amdhsa_private_segment_fixed_size 0
		.amdhsa_kernarg_size 328
		.amdhsa_user_sgpr_count 6
		.amdhsa_user_sgpr_private_segment_buffer 1
		.amdhsa_user_sgpr_dispatch_ptr 0
		.amdhsa_user_sgpr_queue_ptr 0
		.amdhsa_user_sgpr_kernarg_segment_ptr 1
		.amdhsa_user_sgpr_dispatch_id 0
		.amdhsa_user_sgpr_flat_scratch_init 0
		.amdhsa_user_sgpr_kernarg_preload_length 0
		.amdhsa_user_sgpr_kernarg_preload_offset 0
		.amdhsa_user_sgpr_private_segment_size 0
		.amdhsa_uses_dynamic_stack 0
		.amdhsa_system_sgpr_private_segment_wavefront_offset 0
		.amdhsa_system_sgpr_workgroup_id_x 1
		.amdhsa_system_sgpr_workgroup_id_y 0
		.amdhsa_system_sgpr_workgroup_id_z 0
		.amdhsa_system_sgpr_workgroup_info 0
		.amdhsa_system_vgpr_workitem_id 0
		.amdhsa_next_free_vgpr 40
		.amdhsa_next_free_sgpr 49
		.amdhsa_accum_offset 40
		.amdhsa_reserve_vcc 1
		.amdhsa_reserve_flat_scratch 0
		.amdhsa_float_round_mode_32 0
		.amdhsa_float_round_mode_16_64 0
		.amdhsa_float_denorm_mode_32 3
		.amdhsa_float_denorm_mode_16_64 3
		.amdhsa_dx10_clamp 1
		.amdhsa_ieee_mode 1
		.amdhsa_fp16_overflow 0
		.amdhsa_tg_split 0
		.amdhsa_exception_fp_ieee_invalid_op 0
		.amdhsa_exception_fp_denorm_src 0
		.amdhsa_exception_fp_ieee_div_zero 0
		.amdhsa_exception_fp_ieee_overflow 0
		.amdhsa_exception_fp_ieee_underflow 0
		.amdhsa_exception_fp_ieee_inexact 0
		.amdhsa_exception_int_div_zero 0
	.end_amdhsa_kernel
	.section	.text._ZN4vllm31rms_norm_per_block_quant_kernelIN3c104HalfEaLb1ELb1ELi128EEEvPT0_PfPKT_S8_PKffiiPS6_l,"axG",@progbits,_ZN4vllm31rms_norm_per_block_quant_kernelIN3c104HalfEaLb1ELb1ELi128EEEvPT0_PfPKT_S8_PKffiiPS6_l,comdat
.Lfunc_end44:
	.size	_ZN4vllm31rms_norm_per_block_quant_kernelIN3c104HalfEaLb1ELb1ELi128EEEvPT0_PfPKT_S8_PKffiiPS6_l, .Lfunc_end44-_ZN4vllm31rms_norm_per_block_quant_kernelIN3c104HalfEaLb1ELb1ELi128EEEvPT0_PfPKT_S8_PKffiiPS6_l
                                        ; -- End function
	.section	.AMDGPU.csdata,"",@progbits
; Kernel info:
; codeLenInByte = 8764
; NumSgprs: 53
; NumVgprs: 40
; NumAgprs: 0
; TotalNumVgprs: 40
; ScratchSize: 0
; MemoryBound: 0
; FloatMode: 240
; IeeeMode: 1
; LDSByteSize: 4164 bytes/workgroup (compile time only)
; SGPRBlocks: 6
; VGPRBlocks: 4
; NumSGPRsForWavesPerEU: 53
; NumVGPRsForWavesPerEU: 40
; AccumOffset: 40
; Occupancy: 8
; WaveLimiterHint : 0
; COMPUTE_PGM_RSRC2:SCRATCH_EN: 0
; COMPUTE_PGM_RSRC2:USER_SGPR: 6
; COMPUTE_PGM_RSRC2:TRAP_HANDLER: 0
; COMPUTE_PGM_RSRC2:TGID_X_EN: 1
; COMPUTE_PGM_RSRC2:TGID_Y_EN: 0
; COMPUTE_PGM_RSRC2:TGID_Z_EN: 0
; COMPUTE_PGM_RSRC2:TIDIG_COMP_CNT: 0
; COMPUTE_PGM_RSRC3_GFX90A:ACCUM_OFFSET: 9
; COMPUTE_PGM_RSRC3_GFX90A:TG_SPLIT: 0
	.section	.text._ZN4vllm31rms_norm_per_block_quant_kernelIN3c104HalfENS1_13Float8_e4m3fnELb1ELb0ELi128EEEvPT0_PfPKT_S9_PKffiiPS7_l,"axG",@progbits,_ZN4vllm31rms_norm_per_block_quant_kernelIN3c104HalfENS1_13Float8_e4m3fnELb1ELb0ELi128EEEvPT0_PfPKT_S9_PKffiiPS7_l,comdat
	.protected	_ZN4vllm31rms_norm_per_block_quant_kernelIN3c104HalfENS1_13Float8_e4m3fnELb1ELb0ELi128EEEvPT0_PfPKT_S9_PKffiiPS7_l ; -- Begin function _ZN4vllm31rms_norm_per_block_quant_kernelIN3c104HalfENS1_13Float8_e4m3fnELb1ELb0ELi128EEEvPT0_PfPKT_S9_PKffiiPS7_l
	.globl	_ZN4vllm31rms_norm_per_block_quant_kernelIN3c104HalfENS1_13Float8_e4m3fnELb1ELb0ELi128EEEvPT0_PfPKT_S9_PKffiiPS7_l
	.p2align	8
	.type	_ZN4vllm31rms_norm_per_block_quant_kernelIN3c104HalfENS1_13Float8_e4m3fnELb1ELb0ELi128EEEvPT0_PfPKT_S9_PKffiiPS7_l,@function
_ZN4vllm31rms_norm_per_block_quant_kernelIN3c104HalfENS1_13Float8_e4m3fnELb1ELb0ELi128EEEvPT0_PfPKT_S9_PKffiiPS7_l: ; @_ZN4vllm31rms_norm_per_block_quant_kernelIN3c104HalfENS1_13Float8_e4m3fnELb1ELb0ELi128EEEvPT0_PfPKT_S9_PKffiiPS7_l
; %bb.0:
	s_load_dwordx4 s[16:19], s[4:5], 0x28
	s_load_dwordx8 s[8:15], s[4:5], 0x0
	s_load_dwordx2 s[0:1], s[4:5], 0x38
	v_mov_b32_e32 v1, 0
	s_waitcnt lgkmcnt(0)
	s_ashr_i32 s2, s18, 31
	s_mul_hi_u32 s3, s18, s6
	s_mul_i32 s2, s2, s6
	s_ashr_i32 s21, s17, 31
	s_add_i32 s3, s3, s2
	s_mul_i32 s2, s18, s6
	s_mul_hi_u32 s7, s17, s6
	s_mul_i32 s18, s21, s6
	s_add_i32 s19, s7, s18
	s_lshl_b64 s[2:3], s[2:3], 1
	s_mul_i32 s18, s17, s6
	s_add_u32 s33, s12, s2
	s_addc_u32 s44, s13, s3
	s_lshl_b64 s[2:3], s[18:19], 1
	s_add_u32 s45, s0, s2
	s_addc_u32 s46, s1, s3
	s_ashr_i32 s12, s17, 2
	s_add_u32 s2, s4, 0x48
	s_mov_b32 s20, s17
	v_cmp_gt_u32_e64 s[0:1], s12, v0
	s_addc_u32 s3, s5, 0
	s_and_saveexec_b64 s[22:23], s[0:1]
	s_cbranch_execz .LBB45_10
; %bb.1:
	s_load_dword s7, s[2:3], 0x0
	v_mov_b32_e32 v3, 0
	v_mov_b32_e32 v9, s44
	;; [unrolled: 1-line block ×4, first 2 shown]
	s_waitcnt lgkmcnt(0)
	s_cmp_lt_u32 s6, s7
	s_cselect_b32 s7, 12, 18
	s_add_u32 s24, s2, s7
	s_addc_u32 s25, s3, 0
	global_load_ushort v8, v3, s[24:25]
	s_mov_b64 s[24:25], 0
	v_mov_b32_e32 v1, v3
                                        ; implicit-def: $sgpr26_sgpr27
	s_waitcnt vmcnt(0)
	v_mul_lo_u32 v11, v8, 3
	v_lshlrev_b32_e32 v12, 1, v8
	s_branch .LBB45_5
.LBB45_2:                               ;   in Loop: Header=BB45_5 Depth=1
	s_or_b64 exec, exec, s[34:35]
	s_orn2_b64 s[34:35], s[36:37], exec
.LBB45_3:                               ;   in Loop: Header=BB45_5 Depth=1
	s_or_b64 exec, exec, s[30:31]
	s_andn2_b64 s[26:27], s[26:27], exec
	s_and_b64 s[30:31], s[34:35], exec
	s_or_b64 s[26:27], s[26:27], s[30:31]
.LBB45_4:                               ;   in Loop: Header=BB45_5 Depth=1
	s_or_b64 exec, exec, s[28:29]
	s_and_b64 s[28:29], exec, s[26:27]
	s_or_b64 s[24:25], s[28:29], s[24:25]
	s_andn2_b64 exec, exec, s[24:25]
	s_cbranch_execz .LBB45_9
.LBB45_5:                               ; =>This Inner Loop Header: Depth=1
	v_lshlrev_b64 v[4:5], 3, v[2:3]
	v_add_co_u32_e32 v6, vcc, s33, v4
	v_addc_co_u32_e32 v7, vcc, v9, v5, vcc
	v_add_co_u32_e32 v4, vcc, s45, v4
	v_addc_co_u32_e32 v5, vcc, v10, v5, vcc
	global_load_dwordx2 v[6:7], v[6:7], off
	s_or_b64 s[26:27], s[26:27], exec
	global_load_dwordx2 v[4:5], v[4:5], off
	s_waitcnt vmcnt(1)
	v_cvt_f32_f16_e32 v14, v6
	v_cvt_f32_f16_sdwa v15, v6 dst_sel:DWORD dst_unused:UNUSED_PAD src0_sel:WORD_1
	s_waitcnt vmcnt(0)
	v_cvt_f32_f16_e32 v16, v4
	v_cvt_f32_f16_sdwa v17, v4 dst_sel:DWORD dst_unused:UNUSED_PAD src0_sel:WORD_1
	v_cvt_f32_f16_e32 v6, v7
	v_cvt_f32_f16_sdwa v7, v7 dst_sel:DWORD dst_unused:UNUSED_PAD src0_sel:WORD_1
	;; [unrolled: 2-line block ×3, first 2 shown]
	v_pk_add_f32 v[14:15], v[14:15], v[16:17]
	v_pk_mul_f32 v[14:15], v[14:15], v[14:15]
	v_add_f32_e32 v1, v1, v14
	v_pk_add_f32 v[6:7], v[6:7], v[18:19]
	v_pk_mul_f32 v[6:7], v[6:7], v[6:7]
	v_add_f32_e32 v1, v1, v15
	v_add_u32_e32 v4, v2, v8
	v_add_f32_e32 v1, v1, v6
	v_cmp_gt_u32_e32 vcc, s12, v4
	v_add_f32_e32 v1, v1, v7
	s_and_saveexec_b64 s[28:29], vcc
	s_cbranch_execz .LBB45_4
; %bb.6:                                ;   in Loop: Header=BB45_5 Depth=1
	v_mov_b32_e32 v5, v3
	v_lshlrev_b64 v[6:7], 3, v[4:5]
	v_add_co_u32_e32 v14, vcc, s33, v6
	v_addc_co_u32_e32 v15, vcc, v9, v7, vcc
	v_add_co_u32_e32 v6, vcc, s45, v6
	v_addc_co_u32_e32 v7, vcc, v10, v7, vcc
	global_load_dwordx2 v[14:15], v[14:15], off
	s_mov_b64 s[34:35], -1
	global_load_dwordx2 v[6:7], v[6:7], off
	s_waitcnt vmcnt(1)
	v_cvt_f32_f16_e32 v16, v14
	v_cvt_f32_f16_sdwa v17, v14 dst_sel:DWORD dst_unused:UNUSED_PAD src0_sel:WORD_1
	s_waitcnt vmcnt(0)
	v_cvt_f32_f16_e32 v18, v6
	v_cvt_f32_f16_sdwa v19, v6 dst_sel:DWORD dst_unused:UNUSED_PAD src0_sel:WORD_1
	v_cvt_f32_f16_e32 v14, v15
	v_cvt_f32_f16_sdwa v15, v15 dst_sel:DWORD dst_unused:UNUSED_PAD src0_sel:WORD_1
	;; [unrolled: 2-line block ×3, first 2 shown]
	v_pk_add_f32 v[16:17], v[16:17], v[18:19]
	v_pk_mul_f32 v[16:17], v[16:17], v[16:17]
	v_add_f32_e32 v1, v1, v16
	v_pk_add_f32 v[14:15], v[14:15], v[20:21]
	v_pk_mul_f32 v[14:15], v[14:15], v[14:15]
	v_add_f32_e32 v1, v1, v17
	v_add_u32_e32 v6, v12, v2
	v_add_f32_e32 v1, v1, v14
	v_cmp_gt_u32_e32 vcc, s12, v6
	v_add_f32_e32 v1, v1, v15
	s_and_saveexec_b64 s[30:31], vcc
	s_cbranch_execz .LBB45_3
; %bb.7:                                ;   in Loop: Header=BB45_5 Depth=1
	v_mov_b32_e32 v7, v3
	v_lshlrev_b64 v[6:7], 3, v[6:7]
	v_mov_b32_e32 v5, s44
	v_add_co_u32_e32 v14, vcc, s33, v6
	v_addc_co_u32_e32 v15, vcc, v5, v7, vcc
	v_mov_b32_e32 v5, s46
	v_add_co_u32_e32 v6, vcc, s45, v6
	v_addc_co_u32_e32 v7, vcc, v5, v7, vcc
	global_load_dwordx2 v[14:15], v[14:15], off
	v_add_u32_e32 v2, v11, v2
	global_load_dwordx2 v[6:7], v[6:7], off
	v_cmp_gt_u32_e32 vcc, s12, v2
	s_mov_b64 s[36:37], -1
	s_waitcnt vmcnt(1)
	v_cvt_f32_f16_e32 v16, v14
	v_cvt_f32_f16_sdwa v17, v14 dst_sel:DWORD dst_unused:UNUSED_PAD src0_sel:WORD_1
	s_waitcnt vmcnt(0)
	v_cvt_f32_f16_e32 v18, v6
	v_cvt_f32_f16_sdwa v19, v6 dst_sel:DWORD dst_unused:UNUSED_PAD src0_sel:WORD_1
	v_cvt_f32_f16_e32 v14, v15
	v_cvt_f32_f16_sdwa v15, v15 dst_sel:DWORD dst_unused:UNUSED_PAD src0_sel:WORD_1
	;; [unrolled: 2-line block ×3, first 2 shown]
	v_pk_add_f32 v[16:17], v[16:17], v[18:19]
	v_pk_add_f32 v[6:7], v[14:15], v[6:7]
	v_pk_mul_f32 v[14:15], v[16:17], v[16:17]
	v_add_f32_e32 v1, v1, v14
	v_pk_mul_f32 v[6:7], v[6:7], v[6:7]
	v_add_f32_e32 v1, v1, v15
	v_add_f32_e32 v1, v1, v6
	v_add_f32_e32 v1, v1, v7
	s_and_saveexec_b64 s[34:35], vcc
	s_xor_b64 s[34:35], exec, s[34:35]
	s_cbranch_execz .LBB45_2
; %bb.8:                                ;   in Loop: Header=BB45_5 Depth=1
	v_lshlrev_b64 v[6:7], 3, v[2:3]
	v_mov_b32_e32 v2, s44
	v_add_co_u32_e32 v14, vcc, s33, v6
	v_addc_co_u32_e32 v15, vcc, v2, v7, vcc
	v_mov_b32_e32 v2, s46
	v_add_co_u32_e32 v6, vcc, s45, v6
	v_addc_co_u32_e32 v7, vcc, v2, v7, vcc
	global_load_dwordx2 v[14:15], v[14:15], off
	v_add_u32_e32 v2, v8, v8
	global_load_dwordx2 v[6:7], v[6:7], off
	v_add_u32_e32 v2, v2, v8
	v_add_u32_e32 v2, v2, v4
	v_cmp_le_u32_e32 vcc, s12, v2
	s_orn2_b64 s[36:37], vcc, exec
	s_waitcnt vmcnt(1)
	v_cvt_f32_f16_e32 v16, v14
	v_cvt_f32_f16_sdwa v17, v14 dst_sel:DWORD dst_unused:UNUSED_PAD src0_sel:WORD_1
	s_waitcnt vmcnt(0)
	v_cvt_f32_f16_e32 v18, v6
	v_cvt_f32_f16_sdwa v19, v6 dst_sel:DWORD dst_unused:UNUSED_PAD src0_sel:WORD_1
	v_cvt_f32_f16_e32 v14, v15
	v_cvt_f32_f16_sdwa v15, v15 dst_sel:DWORD dst_unused:UNUSED_PAD src0_sel:WORD_1
	;; [unrolled: 2-line block ×3, first 2 shown]
	v_pk_add_f32 v[4:5], v[16:17], v[18:19]
	v_pk_mul_f32 v[4:5], v[4:5], v[4:5]
	v_add_f32_e32 v1, v1, v4
	v_pk_add_f32 v[6:7], v[14:15], v[6:7]
	v_pk_mul_f32 v[6:7], v[6:7], v[6:7]
	v_add_f32_e32 v1, v1, v5
	v_add_f32_e32 v1, v1, v6
	;; [unrolled: 1-line block ×3, first 2 shown]
	s_branch .LBB45_2
.LBB45_9:
	s_or_b64 exec, exec, s[24:25]
.LBB45_10:
	s_or_b64 exec, exec, s[22:23]
	v_mbcnt_lo_u32_b32 v2, -1, 0
	v_mbcnt_hi_u32_b32 v2, -1, v2
	v_and_b32_e32 v3, 63, v2
	v_cmp_ne_u32_e32 vcc, 63, v3
	s_load_dword s2, s[2:3], 0xc
	v_addc_co_u32_e32 v4, vcc, 0, v2, vcc
	v_lshlrev_b32_e32 v4, 2, v4
	ds_bpermute_b32 v4, v4, v1
	s_waitcnt lgkmcnt(0)
	s_and_b32 s47, s2, 0xffff
	v_and_b32_e32 v5, 0x3c0, v0
	v_sub_u32_e64 v5, s47, v5 clamp
	v_add_u32_e32 v6, 1, v2
	v_add_f32_e32 v4, v1, v4
	v_cmp_lt_u32_e32 vcc, v6, v5
	v_cndmask_b32_e32 v1, v1, v4, vcc
	v_cmp_gt_u32_e32 vcc, 62, v3
	v_cndmask_b32_e64 v4, 0, 1, vcc
	v_lshlrev_b32_e32 v4, 1, v4
	v_add_lshl_u32 v4, v4, v2, 2
	ds_bpermute_b32 v4, v4, v1
	v_add_u32_e32 v6, 2, v2
	v_cmp_lt_u32_e32 vcc, v6, v5
	v_add_u32_e32 v6, 4, v2
	s_waitcnt lgkmcnt(0)
	v_add_f32_e32 v4, v1, v4
	v_cndmask_b32_e32 v1, v1, v4, vcc
	v_cmp_gt_u32_e32 vcc, 60, v3
	v_cndmask_b32_e64 v4, 0, 1, vcc
	v_lshlrev_b32_e32 v4, 2, v4
	v_add_lshl_u32 v4, v4, v2, 2
	ds_bpermute_b32 v4, v4, v1
	v_cmp_lt_u32_e32 vcc, v6, v5
	v_add_u32_e32 v6, 8, v2
	s_waitcnt lgkmcnt(0)
	v_add_f32_e32 v4, v1, v4
	v_cndmask_b32_e32 v1, v1, v4, vcc
	v_cmp_gt_u32_e32 vcc, 56, v3
	v_cndmask_b32_e64 v4, 0, 1, vcc
	v_lshlrev_b32_e32 v4, 3, v4
	v_add_lshl_u32 v4, v4, v2, 2
	ds_bpermute_b32 v4, v4, v1
	;; [unrolled: 10-line block ×3, first 2 shown]
	v_cmp_lt_u32_e32 vcc, v6, v5
	s_waitcnt lgkmcnt(0)
	v_add_f32_e32 v4, v1, v4
	v_cndmask_b32_e32 v1, v1, v4, vcc
	v_cmp_gt_u32_e32 vcc, 32, v3
	v_cndmask_b32_e64 v3, 0, 1, vcc
	v_lshlrev_b32_e32 v3, 5, v3
	v_add_lshl_u32 v3, v3, v2, 2
	ds_bpermute_b32 v3, v3, v1
	v_add_u32_e32 v4, 32, v2
	v_cmp_lt_u32_e32 vcc, v4, v5
	s_waitcnt lgkmcnt(0)
	v_add_f32_e32 v3, v1, v3
	v_cndmask_b32_e32 v1, v1, v3, vcc
	v_cmp_eq_u32_e32 vcc, 0, v2
	s_and_saveexec_b64 s[2:3], vcc
	s_cbranch_execz .LBB45_12
; %bb.11:
	v_lshrrev_b32_e32 v3, 4, v0
	v_and_b32_e32 v3, 60, v3
	ds_write_b32 v3, v1 offset:4096
.LBB45_12:
	s_or_b64 exec, exec, s[2:3]
	v_cmp_gt_u32_e32 vcc, 16, v0
	s_waitcnt lgkmcnt(0)
	s_barrier
	s_and_saveexec_b64 s[22:23], vcc
	s_cbranch_execz .LBB45_14
; %bb.13:
	v_lshlrev_b32_e32 v1, 2, v2
	ds_read_b32 v1, v1 offset:4096
	v_and_b32_e32 v3, 15, v2
	v_cmp_ne_u32_e32 vcc, 15, v3
	v_addc_co_u32_e32 v4, vcc, 0, v2, vcc
	v_lshlrev_b32_e32 v4, 2, v4
	s_waitcnt lgkmcnt(0)
	ds_bpermute_b32 v4, v4, v1
	s_add_i32 s2, s47, 63
	s_lshr_b32 s7, s2, 6
	v_add_u32_e32 v5, 1, v3
	v_cmp_gt_u32_e64 s[2:3], 14, v3
	v_cmp_gt_u32_e32 vcc, s7, v5
	v_cndmask_b32_e64 v5, 0, 1, s[2:3]
	s_waitcnt lgkmcnt(0)
	v_add_f32_e32 v4, v1, v4
	v_lshlrev_b32_e32 v5, 1, v5
	v_cndmask_b32_e32 v4, v1, v4, vcc
	v_add_lshl_u32 v5, v5, v2, 2
	ds_bpermute_b32 v5, v5, v4
	v_add_u32_e32 v6, 2, v3
	v_cmp_gt_u32_e64 s[2:3], s7, v6
	v_add_u32_e32 v6, 4, v3
	s_waitcnt lgkmcnt(0)
	v_add_f32_e32 v5, v4, v5
	v_cndmask_b32_e64 v4, v4, v5, s[2:3]
	v_cmp_gt_u32_e64 s[2:3], 12, v3
	v_cndmask_b32_e64 v5, 0, 1, s[2:3]
	v_lshlrev_b32_e32 v5, 2, v5
	v_add_lshl_u32 v5, v5, v2, 2
	ds_bpermute_b32 v5, v5, v4
	v_cmp_gt_u32_e64 s[2:3], s7, v6
	s_waitcnt lgkmcnt(0)
	v_add_f32_e32 v5, v4, v5
	v_cndmask_b32_e64 v4, v4, v5, s[2:3]
	v_cmp_gt_u32_e64 s[2:3], 8, v3
	v_cndmask_b32_e64 v5, 0, 1, s[2:3]
	v_lshlrev_b32_e32 v5, 3, v5
	v_add_lshl_u32 v2, v5, v2, 2
	ds_bpermute_b32 v2, v2, v4
	v_add_u32_e32 v3, 8, v3
	v_cmp_gt_u32_e64 s[2:3], s7, v3
	s_waitcnt lgkmcnt(0)
	v_add_f32_e32 v2, v4, v2
	v_cndmask_b32_e64 v2, v4, v2, s[2:3]
	v_cndmask_b32_e32 v1, v1, v2, vcc
.LBB45_14:
	s_or_b64 exec, exec, s[22:23]
	v_cmp_eq_u32_e32 vcc, 0, v0
	s_and_saveexec_b64 s[2:3], vcc
	s_cbranch_execz .LBB45_16
; %bb.15:
	v_cvt_f32_i32_e32 v2, s20
	s_mov_b32 s7, 0x800000
	v_div_scale_f32 v3, s[22:23], v2, v2, v1
	v_rcp_f32_e32 v4, v3
	v_div_scale_f32 v5, vcc, v1, v2, v1
	v_fma_f32 v6, -v3, v4, 1.0
	v_fmac_f32_e32 v4, v6, v4
	v_mul_f32_e32 v6, v5, v4
	v_fma_f32 v7, -v3, v6, v5
	v_fmac_f32_e32 v6, v7, v4
	v_fma_f32 v3, -v3, v6, v5
	v_div_fmas_f32 v3, v3, v4, v6
	v_div_fixup_f32 v1, v3, v2, v1
	v_add_f32_e32 v1, s16, v1
	v_mul_f32_e32 v2, 0x4b800000, v1
	v_cmp_gt_f32_e32 vcc, s7, v1
	v_cndmask_b32_e32 v1, v1, v2, vcc
	v_rsq_f32_e32 v1, v1
	v_mul_f32_e32 v2, 0x45800000, v1
	v_cndmask_b32_e32 v1, v1, v2, vcc
	v_mov_b32_e32 v2, 0
	ds_write_b32 v2, v1 offset:4160
.LBB45_16:
	s_or_b64 exec, exec, s[2:3]
	s_ashr_i32 s2, s20, 31
	s_lshr_b32 s2, s2, 25
	s_add_i32 s2, s20, s2
	s_ashr_i32 s16, s2, 7
	s_abs_i32 s3, s16
	v_cvt_f32_u32_e32 v1, s3
	s_sub_i32 s7, 0, s3
	s_ashr_i32 s2, s2, 31
	v_mov_b32_e32 v5, 0
	v_rcp_iflag_f32_e32 v1, v1
	s_waitcnt lgkmcnt(0)
	s_barrier
	v_mul_f32_e32 v1, 0x4f7ffffe, v1
	v_cvt_u32_f32_e32 v1, v1
	ds_read_b32 v36, v5 offset:4160
	v_readfirstlane_b32 s13, v1
	s_mul_i32 s7, s7, s13
	s_mul_hi_u32 s7, s13, s7
	s_add_i32 s13, s13, s7
	s_mul_hi_u32 s7, s47, s13
	s_mul_i32 s13, s7, s3
	s_sub_i32 s13, s47, s13
	s_add_i32 s17, s7, 1
	s_sub_i32 s22, s13, s3
	s_cmp_ge_u32 s13, s3
	s_cselect_b32 s7, s17, s7
	s_cselect_b32 s13, s22, s13
	s_add_i32 s17, s7, 1
	s_cmp_ge_u32 s13, s3
	s_cselect_b32 s3, s17, s7
	s_xor_b32 s3, s3, s2
	s_sub_i32 s2, s3, s2
	s_abs_i32 s7, s2
	v_cvt_f32_u32_e32 v1, s7
	s_sub_i32 s13, 0, s7
	s_ashr_i32 s3, s2, 31
	v_rcp_iflag_f32_e32 v1, v1
	v_mul_f32_e32 v1, 0x4f7ffffe, v1
	v_cvt_u32_f32_e32 v1, v1
	v_mul_lo_u32 v2, s13, v1
	v_mul_hi_u32 v2, v1, v2
	v_add_u32_e32 v1, v1, v2
	v_mul_hi_u32 v1, v0, v1
	v_mul_lo_u32 v2, v1, s7
	v_sub_u32_e32 v2, v0, v2
	v_add_u32_e32 v3, 1, v1
	v_cmp_le_u32_e32 vcc, s7, v2
	v_cndmask_b32_e32 v1, v1, v3, vcc
	v_subrev_u32_e32 v3, s7, v2
	v_cndmask_b32_e32 v2, v2, v3, vcc
	v_add_u32_e32 v3, 1, v1
	v_cmp_le_u32_e32 vcc, s7, v2
	v_cndmask_b32_e32 v1, v1, v3, vcc
	v_xor_b32_e32 v1, s3, v1
	v_subrev_u32_e32 v2, s3, v1
	v_mul_lo_u32 v1, v2, s2
	v_ashrrev_i32_e32 v3, 31, v2
	v_sub_u32_e32 v4, v0, v1
	v_lshlrev_b64 v[8:9], 5, v[2:3]
	v_add_co_u32_e32 v6, vcc, v8, v4
	v_addc_co_u32_e32 v7, vcc, 0, v9, vcc
	v_add_co_u32_e32 v8, vcc, 32, v8
	v_addc_co_u32_e32 v9, vcc, 0, v9, vcc
	s_ashr_i32 s13, s12, 31
	v_mov_b32_e32 v1, s13
	v_cmp_gt_i64_e32 vcc, s[12:13], v[8:9]
	v_cndmask_b32_e32 v9, v1, v9, vcc
	v_mov_b32_e32 v1, s12
	v_cndmask_b32_e32 v8, v1, v8, vcc
	v_ashrrev_i32_e32 v11, 31, v8
	v_mov_b32_e32 v10, v8
	v_cmp_lt_i64_e32 vcc, v[6:7], v[10:11]
	s_and_saveexec_b64 s[22:23], vcc
	s_cbranch_execz .LBB45_26
; %bb.17:
	v_lshlrev_b64 v[12:13], 8, v[2:3]
	v_lshlrev_b64 v[14:15], 3, v[4:5]
	v_add_co_u32_e32 v12, vcc, v12, v14
	v_addc_co_u32_e32 v1, vcc, v13, v15, vcc
	s_lshl_b64 s[24:25], s[2:3], 5
	s_mul_hi_i32 s7, s2, 3
	s_mul_i32 s13, s2, 3
	s_lshl_b64 s[26:27], s[2:3], 1
	s_lshl_b64 s[30:31], s[2:3], 3
	s_mov_b64 s[28:29], 0
	v_mov_b32_e32 v5, 0
	v_mov_b32_e32 v13, s44
	;; [unrolled: 1-line block ×5, first 2 shown]
	v_pk_mov_b32 v[14:15], v[6:7], v[6:7] op_sel:[0,1]
                                        ; implicit-def: $sgpr34_sgpr35
	s_branch .LBB45_21
.LBB45_18:                              ;   in Loop: Header=BB45_21 Depth=1
	s_or_b64 exec, exec, s[40:41]
	s_orn2_b64 s[40:41], s[42:43], exec
.LBB45_19:                              ;   in Loop: Header=BB45_21 Depth=1
	s_or_b64 exec, exec, s[38:39]
	s_andn2_b64 s[34:35], s[34:35], exec
	s_and_b64 s[38:39], s[40:41], exec
	s_or_b64 s[34:35], s[34:35], s[38:39]
.LBB45_20:                              ;   in Loop: Header=BB45_21 Depth=1
	s_or_b64 exec, exec, s[36:37]
	s_and_b64 s[36:37], exec, s[34:35]
	s_or_b64 s[28:29], s[36:37], s[28:29]
	s_andn2_b64 exec, exec, s[28:29]
	s_cbranch_execz .LBB45_25
.LBB45_21:                              ; =>This Inner Loop Header: Depth=1
	v_add_co_u32_e32 v18, vcc, s33, v12
	v_addc_co_u32_e32 v19, vcc, v13, v1, vcc
	v_add_co_u32_e32 v22, vcc, s45, v12
	v_addc_co_u32_e32 v23, vcc, v25, v1, vcc
	global_load_dwordx2 v[16:17], v[18:19], off
	global_load_dwordx2 v[28:29], v[22:23], off
	v_add_co_u32_e32 v20, vcc, s14, v12
	v_addc_co_u32_e32 v21, vcc, v24, v1, vcc
	global_load_dwordx2 v[30:31], v[20:21], off
	s_or_b64 s[34:35], s[34:35], exec
	s_waitcnt vmcnt(2)
	v_cvt_f32_f16_e32 v27, v16
	v_cvt_f32_f16_sdwa v16, v16 dst_sel:DWORD dst_unused:UNUSED_PAD src0_sel:WORD_1
	s_waitcnt vmcnt(1)
	v_cvt_f32_f16_e32 v33, v28
	v_cvt_f32_f16_sdwa v28, v28 dst_sel:DWORD dst_unused:UNUSED_PAD src0_sel:WORD_1
	v_cvt_f32_f16_e32 v32, v17
	v_cvt_f32_f16_sdwa v17, v17 dst_sel:DWORD dst_unused:UNUSED_PAD src0_sel:WORD_1
	;; [unrolled: 2-line block ×3, first 2 shown]
	v_add_f32_e32 v27, v27, v33
	v_add_f32_e32 v16, v16, v28
	;; [unrolled: 1-line block ×4, first 2 shown]
	s_waitcnt lgkmcnt(0)
	v_fma_mixlo_f16 v27, v36, v27, 0
	v_fma_mixlo_f16 v16, v36, v16, 0
	;; [unrolled: 1-line block ×4, first 2 shown]
	s_waitcnt vmcnt(0)
	v_mul_f16_e32 v27, v30, v27
	v_mul_f16_sdwa v16, v30, v16 dst_sel:DWORD dst_unused:UNUSED_PAD src0_sel:WORD_1 src1_sel:DWORD
	v_mul_f16_e32 v28, v31, v28
	v_mul_f16_sdwa v17, v31, v17 dst_sel:DWORD dst_unused:UNUSED_PAD src0_sel:WORD_1 src1_sel:DWORD
	v_cvt_f32_f16_e64 v27, |v27|
	v_cvt_f32_f16_e64 v29, |v16|
	;; [unrolled: 1-line block ×4, first 2 shown]
	v_add_co_u32_e32 v16, vcc, s2, v14
	v_addc_co_u32_e32 v17, vcc, v15, v26, vcc
	v_max3_f32 v5, v5, v27, v29
	v_cmp_lt_i64_e32 vcc, v[16:17], v[10:11]
	v_max3_f32 v5, v5, v28, v30
	s_and_saveexec_b64 s[36:37], vcc
	s_cbranch_execz .LBB45_20
; %bb.22:                               ;   in Loop: Header=BB45_21 Depth=1
	v_mov_b32_e32 v27, s31
	v_add_co_u32_e32 v18, vcc, s30, v18
	v_addc_co_u32_e32 v19, vcc, v19, v27, vcc
	v_add_co_u32_e32 v22, vcc, s30, v22
	v_addc_co_u32_e32 v23, vcc, v23, v27, vcc
	global_load_dwordx2 v[28:29], v[18:19], off
	global_load_dwordx2 v[30:31], v[22:23], off
	v_add_co_u32_e32 v20, vcc, s30, v20
	v_addc_co_u32_e32 v21, vcc, v21, v27, vcc
	global_load_dwordx2 v[32:33], v[20:21], off
	v_mov_b32_e32 v27, s27
	s_mov_b64 s[40:41], -1
	s_waitcnt vmcnt(2)
	v_cvt_f32_f16_e32 v34, v28
	v_cvt_f32_f16_sdwa v28, v28 dst_sel:DWORD dst_unused:UNUSED_PAD src0_sel:WORD_1
	s_waitcnt vmcnt(1)
	v_cvt_f32_f16_e32 v37, v30
	v_cvt_f32_f16_sdwa v30, v30 dst_sel:DWORD dst_unused:UNUSED_PAD src0_sel:WORD_1
	v_cvt_f32_f16_e32 v35, v29
	v_cvt_f32_f16_sdwa v29, v29 dst_sel:DWORD dst_unused:UNUSED_PAD src0_sel:WORD_1
	;; [unrolled: 2-line block ×3, first 2 shown]
	v_add_f32_e32 v34, v34, v37
	v_add_f32_e32 v28, v28, v30
	;; [unrolled: 1-line block ×4, first 2 shown]
	v_fma_mixlo_f16 v31, v36, v34, 0
	v_fma_mixlo_f16 v28, v36, v28, 0
	;; [unrolled: 1-line block ×4, first 2 shown]
	s_waitcnt vmcnt(0)
	v_mul_f16_e32 v31, v32, v31
	v_mul_f16_sdwa v28, v32, v28 dst_sel:DWORD dst_unused:UNUSED_PAD src0_sel:WORD_1 src1_sel:DWORD
	v_mul_f16_e32 v30, v33, v30
	v_mul_f16_sdwa v29, v33, v29 dst_sel:DWORD dst_unused:UNUSED_PAD src0_sel:WORD_1 src1_sel:DWORD
	v_cvt_f32_f16_e64 v31, |v31|
	v_cvt_f32_f16_e64 v32, |v28|
	;; [unrolled: 1-line block ×4, first 2 shown]
	v_add_co_u32_e32 v28, vcc, s26, v14
	v_addc_co_u32_e32 v29, vcc, v27, v15, vcc
	v_max3_f32 v5, v5, v31, v32
	v_cmp_lt_i64_e32 vcc, v[28:29], v[10:11]
	v_max3_f32 v5, v5, v30, v33
	s_and_saveexec_b64 s[38:39], vcc
	s_cbranch_execz .LBB45_19
; %bb.23:                               ;   in Loop: Header=BB45_21 Depth=1
	v_mov_b32_e32 v27, s31
	v_add_co_u32_e32 v18, vcc, s30, v18
	v_addc_co_u32_e32 v19, vcc, v19, v27, vcc
	v_add_co_u32_e32 v22, vcc, s30, v22
	v_addc_co_u32_e32 v23, vcc, v23, v27, vcc
	global_load_dwordx2 v[28:29], v[18:19], off
	global_load_dwordx2 v[30:31], v[22:23], off
	v_add_co_u32_e32 v20, vcc, s30, v20
	v_addc_co_u32_e32 v21, vcc, v21, v27, vcc
	global_load_dwordx2 v[32:33], v[20:21], off
	v_mov_b32_e32 v27, s7
	v_add_co_u32_e32 v14, vcc, s13, v14
	v_addc_co_u32_e32 v15, vcc, v27, v15, vcc
	v_cmp_lt_i64_e32 vcc, v[14:15], v[10:11]
	s_mov_b64 s[42:43], -1
                                        ; implicit-def: $vgpr14_vgpr15
	s_waitcnt vmcnt(2)
	v_cvt_f32_f16_e32 v34, v28
	v_cvt_f32_f16_sdwa v28, v28 dst_sel:DWORD dst_unused:UNUSED_PAD src0_sel:WORD_1
	s_waitcnt vmcnt(1)
	v_cvt_f32_f16_e32 v37, v30
	v_cvt_f32_f16_sdwa v30, v30 dst_sel:DWORD dst_unused:UNUSED_PAD src0_sel:WORD_1
	v_cvt_f32_f16_e32 v35, v29
	v_cvt_f32_f16_sdwa v29, v29 dst_sel:DWORD dst_unused:UNUSED_PAD src0_sel:WORD_1
	;; [unrolled: 2-line block ×3, first 2 shown]
	v_add_f32_e32 v34, v34, v37
	v_add_f32_e32 v28, v28, v30
	v_add_f32_e32 v30, v35, v38
	v_add_f32_e32 v29, v29, v31
	v_fma_mixlo_f16 v31, v36, v34, 0
	v_fma_mixlo_f16 v28, v36, v28, 0
	;; [unrolled: 1-line block ×4, first 2 shown]
	s_waitcnt vmcnt(0)
	v_mul_f16_e32 v31, v32, v31
	v_mul_f16_sdwa v28, v32, v28 dst_sel:DWORD dst_unused:UNUSED_PAD src0_sel:WORD_1 src1_sel:DWORD
	v_mul_f16_e32 v30, v33, v30
	v_mul_f16_sdwa v29, v33, v29 dst_sel:DWORD dst_unused:UNUSED_PAD src0_sel:WORD_1 src1_sel:DWORD
	v_cvt_f32_f16_e64 v31, |v31|
	v_cvt_f32_f16_e64 v28, |v28|
	;; [unrolled: 1-line block ×4, first 2 shown]
	v_max3_f32 v5, v5, v31, v28
	v_max3_f32 v5, v5, v30, v29
	s_and_saveexec_b64 s[40:41], vcc
	s_xor_b64 s[40:41], exec, s[40:41]
	s_cbranch_execz .LBB45_18
; %bb.24:                               ;   in Loop: Header=BB45_21 Depth=1
	v_mov_b32_e32 v27, s31
	v_add_co_u32_e32 v14, vcc, s30, v18
	v_addc_co_u32_e32 v15, vcc, v19, v27, vcc
	v_add_co_u32_e32 v18, vcc, s30, v22
	v_addc_co_u32_e32 v19, vcc, v23, v27, vcc
	global_load_dwordx2 v[14:15], v[14:15], off
	v_add_co_u32_e32 v20, vcc, s30, v20
	global_load_dwordx2 v[18:19], v[18:19], off
	v_addc_co_u32_e32 v21, vcc, v21, v27, vcc
	global_load_dwordx2 v[20:21], v[20:21], off
	s_add_u32 s17, s2, s2
	s_addc_u32 s42, s3, s3
	v_mov_b32_e32 v22, s25
	v_add_co_u32_e32 v12, vcc, s24, v12
	s_add_u32 s17, s17, s2
	v_addc_co_u32_e32 v1, vcc, v1, v22, vcc
	s_addc_u32 s42, s42, s3
	v_mov_b32_e32 v22, s42
	s_waitcnt vmcnt(2)
	v_cvt_f32_f16_e32 v23, v14
	v_cvt_f32_f16_sdwa v14, v14 dst_sel:DWORD dst_unused:UNUSED_PAD src0_sel:WORD_1
	v_cvt_f32_f16_e32 v27, v15
	s_waitcnt vmcnt(1)
	v_cvt_f32_f16_e32 v28, v18
	v_cvt_f32_f16_sdwa v18, v18 dst_sel:DWORD dst_unused:UNUSED_PAD src0_sel:WORD_1
	v_cvt_f32_f16_sdwa v15, v15 dst_sel:DWORD dst_unused:UNUSED_PAD src0_sel:WORD_1
	v_cvt_f32_f16_e32 v29, v19
	v_cvt_f32_f16_sdwa v19, v19 dst_sel:DWORD dst_unused:UNUSED_PAD src0_sel:WORD_1
	v_add_f32_e32 v23, v23, v28
	v_add_f32_e32 v14, v14, v18
	;; [unrolled: 1-line block ×4, first 2 shown]
	v_fma_mixlo_f16 v19, v36, v23, 0
	v_fma_mixlo_f16 v14, v36, v14, 0
	;; [unrolled: 1-line block ×4, first 2 shown]
	s_waitcnt vmcnt(0)
	v_mul_f16_e32 v19, v20, v19
	v_mul_f16_sdwa v14, v20, v14 dst_sel:DWORD dst_unused:UNUSED_PAD src0_sel:WORD_1 src1_sel:DWORD
	v_mul_f16_e32 v18, v21, v18
	v_mul_f16_sdwa v15, v21, v15 dst_sel:DWORD dst_unused:UNUSED_PAD src0_sel:WORD_1 src1_sel:DWORD
	v_cvt_f32_f16_e64 v19, |v19|
	v_cvt_f32_f16_e64 v20, |v14|
	;; [unrolled: 1-line block ×4, first 2 shown]
	v_add_co_u32_e32 v14, vcc, s17, v16
	v_addc_co_u32_e32 v15, vcc, v22, v17, vcc
	v_cmp_ge_i64_e32 vcc, v[14:15], v[10:11]
	v_max3_f32 v5, v5, v19, v20
	v_max3_f32 v5, v5, v18, v21
	s_orn2_b64 s[42:43], vcc, exec
	s_branch .LBB45_18
.LBB45_25:
	s_or_b64 exec, exec, s[28:29]
.LBB45_26:
	s_or_b64 exec, exec, s[22:23]
	s_lshr_b32 s7, s47, 6
	v_cvt_f32_u32_e32 v10, s7
	v_lshlrev_b32_e32 v1, 2, v0
	ds_write_b32 v1, v5
	s_sub_i32 s23, 0, s7
	v_rcp_iflag_f32_e32 v5, v10
	s_add_i32 s13, s16, s7
	s_add_i32 s13, s13, -1
	s_ashr_i32 s22, s13, 31
	v_mul_f32_e32 v5, 0x4f7ffffe, v5
	v_cvt_u32_f32_e32 v5, v5
	s_abs_i32 s13, s13
	s_ashr_i32 s17, s16, 31
	s_waitcnt lgkmcnt(0)
	v_readfirstlane_b32 s24, v5
	s_mul_i32 s23, s23, s24
	s_mul_hi_u32 s23, s24, s23
	s_add_i32 s24, s24, s23
	s_mul_hi_u32 s23, s13, s24
	s_mul_i32 s24, s23, s7
	s_sub_i32 s13, s13, s24
	s_add_i32 s24, s23, 1
	s_sub_i32 s25, s13, s7
	s_cmp_ge_u32 s13, s7
	s_cselect_b32 s23, s24, s23
	s_cselect_b32 s13, s25, s13
	s_add_i32 s24, s23, 1
	s_cmp_ge_u32 s13, s7
	s_cselect_b32 s13, s24, s23
	s_xor_b32 s13, s13, s22
	s_sub_i32 s22, s13, s22
	s_ashr_i32 s23, s22, 31
	v_cmp_lt_i64_e64 s[24:25], s[22:23], 1
	s_and_b64 vcc, exec, s[24:25]
	s_barrier
	s_cbranch_vccnz .LBB45_48
; %bb.27:
	v_and_b32_e32 v12, 63, v0
	v_add_co_u32_e32 v14, vcc, 32, v12
	v_addc_co_u32_e64 v15, s[24:25], 0, 0, vcc
	v_add_co_u32_e32 v16, vcc, 16, v12
	v_addc_co_u32_e64 v17, s[24:25], 0, 0, vcc
	v_add_co_u32_e32 v18, vcc, 8, v12
	v_lshrrev_b32_e32 v10, 6, v0
	v_addc_co_u32_e64 v19, s[24:25], 0, 0, vcc
	v_add_co_u32_e32 v20, vcc, 4, v12
	v_addc_co_u32_e64 v21, s[24:25], 0, 0, vcc
	v_add_co_u32_e32 v22, vcc, 2, v12
	v_mul_lo_u32 v5, s2, v10
	v_addc_co_u32_e64 v23, s[24:25], 0, 0, vcc
	v_add_co_u32_e32 v24, vcc, 1, v12
	v_lshlrev_b32_e32 v5, 2, v5
	v_lshlrev_b32_e32 v26, 2, v12
	s_movk_i32 s13, 0x100
	v_mov_b32_e32 v11, 0
	v_addc_co_u32_e64 v25, s[24:25], 0, 0, vcc
	v_add3_u32 v5, v5, v26, s13
	s_mul_i32 s13, s2, s7
	v_mov_b32_e32 v13, v11
	s_lshl_b32 s13, s13, 2
	s_mov_b64 s[24:25], 0
	v_mov_b32_e32 v37, s7
	s_mov_b64 s[26:27], src_shared_base
	s_branch .LBB45_30
.LBB45_28:                              ;   in Loop: Header=BB45_30 Depth=1
	s_or_b64 exec, exec, s[30:31]
	v_mov_b32_e32 v27, s27
	flat_load_dword v26, v[26:27] glc
	s_waitcnt vmcnt(0)
.LBB45_29:                              ;   in Loop: Header=BB45_30 Depth=1
	s_or_b64 exec, exec, s[28:29]
	s_add_u32 s24, s24, 1
	s_addc_u32 s25, s25, 0
	s_cmp_eq_u64 s[24:25], s[22:23]
	v_add_u32_e32 v5, s13, v5
	s_cbranch_scc1 .LBB45_48
.LBB45_30:                              ; =>This Loop Header: Depth=1
                                        ;     Child Loop BB45_33 Depth 2
	v_mad_u64_u32 v[30:31], s[28:29], s24, v37, v[10:11]
	s_mul_i32 s26, s25, s7
	v_add_u32_e32 v31, s26, v31
	v_cmp_gt_i64_e32 vcc, s[16:17], v[30:31]
	s_and_saveexec_b64 s[28:29], vcc
	s_cbranch_execz .LBB45_29
; %bb.31:                               ;   in Loop: Header=BB45_30 Depth=1
	v_pk_mov_b32 v[32:33], s[2:3], s[2:3] op_sel:[0,1]
	v_mul_lo_u32 v29, v31, s2
	v_mul_lo_u32 v38, v30, s3
	v_mad_u64_u32 v[32:33], s[30:31], v30, s2, v[32:33]
	v_add3_u32 v33, v29, v33, v38
	v_mov_b32_e32 v28, s21
	v_cmp_gt_i64_e32 vcc, s[20:21], v[32:33]
	s_waitcnt lgkmcnt(0)
	v_mad_u64_u32 v[26:27], s[30:31], v30, s2, v[12:13]
	v_cndmask_b32_e32 v33, v28, v33, vcc
	v_mov_b32_e32 v28, s20
	v_add3_u32 v27, v29, v27, v38
	v_cndmask_b32_e32 v32, v28, v32, vcc
	v_add_co_u32_e32 v34, vcc, 64, v26
	v_addc_co_u32_e32 v35, vcc, 0, v27, vcc
	v_cmp_lt_i64_e32 vcc, v[34:35], v[32:33]
	v_lshlrev_b32_e32 v28, 2, v26
	s_and_saveexec_b64 s[30:31], vcc
	s_cbranch_execz .LBB45_34
; %bb.32:                               ;   in Loop: Header=BB45_30 Depth=1
	ds_read_b32 v31, v28
	s_mov_b64 s[34:35], 0
	v_mov_b32_e32 v27, v5
.LBB45_33:                              ;   Parent Loop BB45_30 Depth=1
                                        ; =>  This Inner Loop Header: Depth=2
	ds_read_b32 v39, v27
	v_add_co_u32_e32 v34, vcc, 64, v34
	v_addc_co_u32_e32 v35, vcc, 0, v35, vcc
	s_waitcnt lgkmcnt(1)
	v_max_f32_e32 v31, v31, v31
	v_cmp_ge_i64_e32 vcc, v[34:35], v[32:33]
	s_waitcnt lgkmcnt(0)
	v_max_f32_e32 v39, v39, v39
	v_add_u32_e32 v27, 0x100, v27
	s_or_b64 s[34:35], vcc, s[34:35]
	v_max_f32_e32 v31, v31, v39
	ds_write_b32 v28, v31
	s_andn2_b64 exec, exec, s[34:35]
	s_cbranch_execnz .LBB45_33
.LBB45_34:                              ;   in Loop: Header=BB45_30 Depth=1
	s_or_b64 exec, exec, s[30:31]
	v_mad_u64_u32 v[30:31], s[30:31], v30, s2, 0
	v_add3_u32 v27, v31, v38, v29
	v_sub_co_u32_e32 v30, vcc, v32, v30
	v_subb_co_u32_e32 v31, vcc, v33, v27, vcc
	v_cmp_gt_i64_e32 vcc, 64, v[30:31]
	v_cndmask_b32_e32 v31, 0, v31, vcc
	v_cndmask_b32_e32 v30, 64, v30, vcc
	v_cmp_lt_i64_e32 vcc, v[14:15], v[30:31]
	s_and_saveexec_b64 s[30:31], vcc
	s_cbranch_execnz .LBB45_46
; %bb.35:                               ;   in Loop: Header=BB45_30 Depth=1
	s_or_b64 exec, exec, s[30:31]
	v_cmp_lt_i64_e32 vcc, v[16:17], v[30:31]
	s_and_saveexec_b64 s[30:31], vcc
	s_cbranch_execnz .LBB45_47
.LBB45_36:                              ;   in Loop: Header=BB45_30 Depth=1
	s_or_b64 exec, exec, s[30:31]
	v_cmp_lt_i64_e32 vcc, v[18:19], v[30:31]
	s_and_saveexec_b64 s[30:31], vcc
	s_cbranch_execz .LBB45_38
.LBB45_37:                              ;   in Loop: Header=BB45_30 Depth=1
	v_mov_b32_e32 v29, s27
	v_add_u32_e32 v32, 32, v28
	v_mov_b32_e32 v33, s27
	flat_load_dword v27, v[28:29] glc
	s_waitcnt vmcnt(0)
	flat_load_dword v34, v[32:33] glc
	s_waitcnt vmcnt(0) lgkmcnt(0)
	v_max_f32_e32 v27, v27, v27
	v_max_f32_e32 v32, v34, v34
	;; [unrolled: 1-line block ×3, first 2 shown]
	flat_store_dword v[28:29], v27
	s_waitcnt vmcnt(0)
.LBB45_38:                              ;   in Loop: Header=BB45_30 Depth=1
	s_or_b64 exec, exec, s[30:31]
	v_cmp_ge_i64_e32 vcc, v[20:21], v[30:31]
	s_and_saveexec_b64 s[30:31], vcc
	s_xor_b64 s[30:31], exec, s[30:31]
; %bb.39:                               ;   in Loop: Header=BB45_30 Depth=1
                                        ; implicit-def: $vgpr28
; %bb.40:                               ;   in Loop: Header=BB45_30 Depth=1
	s_andn2_saveexec_b64 s[30:31], s[30:31]
	s_cbranch_execz .LBB45_42
; %bb.41:                               ;   in Loop: Header=BB45_30 Depth=1
	v_mov_b32_e32 v29, s27
	v_add_u32_e32 v32, 16, v28
	v_mov_b32_e32 v33, s27
	flat_load_dword v27, v[28:29] glc
	s_waitcnt vmcnt(0)
	flat_load_dword v34, v[32:33] glc
	s_waitcnt vmcnt(0) lgkmcnt(0)
	v_max_f32_e32 v27, v27, v27
	v_max_f32_e32 v32, v34, v34
	;; [unrolled: 1-line block ×3, first 2 shown]
	flat_store_dword v[28:29], v27
	s_waitcnt vmcnt(0)
.LBB45_42:                              ;   in Loop: Header=BB45_30 Depth=1
	s_or_b64 exec, exec, s[30:31]
	v_cmp_lt_i64_e32 vcc, v[22:23], v[30:31]
	v_lshlrev_b32_e32 v26, 2, v26
	s_and_saveexec_b64 s[30:31], vcc
	s_cbranch_execz .LBB45_44
; %bb.43:                               ;   in Loop: Header=BB45_30 Depth=1
	v_mov_b32_e32 v27, s27
	v_add_u32_e32 v28, 8, v26
	v_mov_b32_e32 v29, s27
	flat_load_dword v32, v[26:27] glc
	s_waitcnt vmcnt(0)
	flat_load_dword v33, v[28:29] glc
	s_waitcnt vmcnt(0) lgkmcnt(0)
	v_max_f32_e32 v28, v32, v32
	v_max_f32_e32 v29, v33, v33
	;; [unrolled: 1-line block ×3, first 2 shown]
	flat_store_dword v[26:27], v28
	s_waitcnt vmcnt(0)
.LBB45_44:                              ;   in Loop: Header=BB45_30 Depth=1
	s_or_b64 exec, exec, s[30:31]
	v_cmp_lt_i64_e32 vcc, v[24:25], v[30:31]
	s_and_saveexec_b64 s[30:31], vcc
	s_cbranch_execz .LBB45_28
; %bb.45:                               ;   in Loop: Header=BB45_30 Depth=1
	v_mov_b32_e32 v27, s27
	v_add_u32_e32 v28, 4, v26
	v_mov_b32_e32 v29, s27
	flat_load_dword v30, v[26:27] glc
	s_waitcnt vmcnt(0)
	flat_load_dword v31, v[28:29] glc
	s_waitcnt vmcnt(0) lgkmcnt(0)
	v_max_f32_e32 v28, v30, v30
	v_max_f32_e32 v29, v31, v31
	v_max_f32_e32 v28, v28, v29
	flat_store_dword v[26:27], v28
	s_waitcnt vmcnt(0)
	s_branch .LBB45_28
.LBB45_46:                              ;   in Loop: Header=BB45_30 Depth=1
	v_mov_b32_e32 v29, s27
	v_add_u32_e32 v32, 0x80, v28
	v_mov_b32_e32 v33, s27
	flat_load_dword v27, v[28:29] glc
	s_waitcnt vmcnt(0)
	flat_load_dword v34, v[32:33] glc
	s_waitcnt vmcnt(0) lgkmcnt(0)
	v_max_f32_e32 v27, v27, v27
	v_max_f32_e32 v32, v34, v34
	v_max_f32_e32 v27, v27, v32
	flat_store_dword v[28:29], v27
	s_waitcnt vmcnt(0)
	s_or_b64 exec, exec, s[30:31]
	v_cmp_lt_i64_e32 vcc, v[16:17], v[30:31]
	s_and_saveexec_b64 s[30:31], vcc
	s_cbranch_execz .LBB45_36
.LBB45_47:                              ;   in Loop: Header=BB45_30 Depth=1
	v_mov_b32_e32 v29, s27
	v_add_u32_e32 v32, 64, v28
	v_mov_b32_e32 v33, s27
	flat_load_dword v27, v[28:29] glc
	s_waitcnt vmcnt(0)
	flat_load_dword v34, v[32:33] glc
	s_waitcnt vmcnt(0) lgkmcnt(0)
	v_max_f32_e32 v27, v27, v27
	v_max_f32_e32 v32, v34, v34
	;; [unrolled: 1-line block ×3, first 2 shown]
	flat_store_dword v[28:29], v27
	s_waitcnt vmcnt(0)
	s_or_b64 exec, exec, s[30:31]
	v_cmp_lt_i64_e32 vcc, v[18:19], v[30:31]
	s_and_saveexec_b64 s[30:31], vcc
	s_cbranch_execnz .LBB45_37
	s_branch .LBB45_38
.LBB45_48:
	v_cmp_eq_u32_e32 vcc, 0, v4
	v_cmp_lt_i64_e64 s[2:3], v[6:7], v[8:9]
	s_and_b64 s[22:23], vcc, s[2:3]
	s_mul_i32 s17, s17, s6
	s_mul_hi_u32 s20, s16, s6
	s_mul_i32 s2, s16, s6
	s_waitcnt lgkmcnt(0)
	s_barrier
	s_and_saveexec_b64 s[6:7], s[22:23]
	s_cbranch_execz .LBB45_52
; %bb.49:
	s_load_dwordx2 s[4:5], s[4:5], 0x20
	ds_read_b32 v1, v1
	s_waitcnt lgkmcnt(0)
	s_cmp_eq_u64 s[4:5], 0
	s_cbranch_scc1 .LBB45_51
; %bb.50:
	s_load_dword s3, s[4:5], 0x0
	v_max_f32_e32 v1, v1, v1
	s_waitcnt lgkmcnt(0)
	v_max_f32_e64 v4, s3, s3
	v_min_f32_e32 v1, v1, v4
.LBB45_51:
	s_mov_b32 s3, 0x43e00000
	v_div_scale_f32 v4, s[4:5], s3, s3, v1
	v_rcp_f32_e32 v5, v4
	v_div_scale_f32 v6, vcc, v1, s3, v1
	v_lshlrev_b64 v[2:3], 2, v[2:3]
	v_fma_f32 v7, -v4, v5, 1.0
	v_fmac_f32_e32 v5, v7, v5
	v_mul_f32_e32 v7, v6, v5
	v_fma_f32 v8, -v4, v7, v6
	v_fmac_f32_e32 v7, v8, v5
	v_fma_f32 v4, -v4, v7, v6
	v_div_fmas_f32 v4, v4, v5, v7
	v_div_fixup_f32 v1, v4, s3, v1
	s_add_i32 s3, s20, s17
	s_lshl_b64 s[4:5], s[2:3], 2
	s_add_u32 s3, s10, s4
	s_addc_u32 s4, s11, s5
	v_mov_b32_e32 v4, s4
	v_add_co_u32_e32 v2, vcc, s3, v2
	v_max_f32_e32 v1, 0x36924925, v1
	v_addc_co_u32_e32 v3, vcc, v4, v3, vcc
	global_store_dword v[2:3], v1, off
.LBB45_52:
	s_or_b64 exec, exec, s[6:7]
	s_barrier
	s_and_saveexec_b64 s[4:5], s[0:1]
	s_cbranch_execz .LBB45_157
; %bb.53:
	s_add_u32 s13, s8, s18
	s_addc_u32 s18, s9, s19
	s_add_i32 s3, s20, s17
	s_lshl_b64 s[0:1], s[2:3], 2
	s_add_u32 s0, s10, s0
	s_addc_u32 s1, s11, s1
	s_mul_i32 s19, s47, 3
	s_lshl_b32 s20, s47, 1
	s_mov_b64 s[2:3], 0
	v_mov_b32_e32 v1, 0
	v_mov_b32_e32 v12, s44
	;; [unrolled: 1-line block ×4, first 2 shown]
	s_mov_b32 s21, 0x43f00000
	s_mov_b32 s22, 0x3c7fffff
	;; [unrolled: 1-line block ×4, first 2 shown]
	s_movk_i32 s25, 0x80
	s_movk_i32 s26, 0xff
	s_branch .LBB45_59
.LBB45_54:                              ;   in Loop: Header=BB45_59 Depth=1
	s_or_b64 exec, exec, s[16:17]
.LBB45_55:                              ;   in Loop: Header=BB45_59 Depth=1
	s_or_b64 exec, exec, s[10:11]
	v_and_b32_sdwa v7, v15, s25 dst_sel:DWORD dst_unused:UNUSED_PAD src0_sel:BYTE_3 src1_sel:DWORD
	v_lshrrev_b32_e32 v15, 24, v11
	v_lshlrev_b64 v[10:11], 2, v[0:1]
	v_mov_b32_e32 v0, s18
	v_add_co_u32_e32 v10, vcc, s13, v10
	v_and_b32_sdwa v4, v4, s25 dst_sel:DWORD dst_unused:UNUSED_PAD src0_sel:BYTE_3 src1_sel:DWORD
	v_addc_co_u32_e32 v11, vcc, v0, v11, vcc
	v_lshlrev_b32_e32 v0, 24, v6
	v_and_or_b32 v6, v9, s26, v7
	v_and_b32_e32 v5, 0x80000000, v5
	v_lshlrev_b32_e32 v6, 16, v6
	v_and_or_b32 v3, v3, s26, v4
	v_and_b32_e32 v4, 0xff, v8
	v_or3_b32 v0, v5, v0, v6
	v_lshlrev_b32_e32 v3, 8, v3
	v_and_or_b32 v4, v15, s25, v4
	s_add_i32 s10, s47, s47
	v_or3_b32 v0, v0, v3, v4
	s_add_i32 s10, s10, s47
	global_store_dword v[10:11], v0, off
	v_add_u32_e32 v0, s10, v2
	v_cmp_le_u32_e32 vcc, s12, v0
	s_orn2_b64 s[10:11], vcc, exec
.LBB45_56:                              ;   in Loop: Header=BB45_59 Depth=1
	s_or_b64 exec, exec, s[8:9]
	s_orn2_b64 s[8:9], s[10:11], exec
.LBB45_57:                              ;   in Loop: Header=BB45_59 Depth=1
	s_or_b64 exec, exec, s[6:7]
	s_orn2_b64 s[6:7], s[8:9], exec
.LBB45_58:                              ;   in Loop: Header=BB45_59 Depth=1
	s_or_b64 exec, exec, s[4:5]
	s_and_b64 s[4:5], exec, s[6:7]
	s_or_b64 s[2:3], s[4:5], s[2:3]
	s_andn2_b64 exec, exec, s[2:3]
	s_cbranch_execz .LBB45_157
.LBB45_59:                              ; =>This Inner Loop Header: Depth=1
	v_lshlrev_b64 v[2:3], 3, v[0:1]
	v_add_co_u32_e32 v4, vcc, s33, v2
	v_addc_co_u32_e32 v5, vcc, v12, v3, vcc
	v_add_co_u32_e32 v10, vcc, s45, v2
	v_addc_co_u32_e32 v11, vcc, v14, v3, vcc
	global_load_dwordx2 v[4:5], v[4:5], off
	v_add_co_u32_e32 v2, vcc, s14, v2
	global_load_dwordx2 v[6:7], v[10:11], off
	v_addc_co_u32_e32 v3, vcc, v13, v3, vcc
	global_load_dwordx2 v[2:3], v[2:3], off
	v_lshrrev_b32_e32 v8, 3, v0
	v_and_b32_e32 v8, 0x7fffffc, v8
	global_load_dword v9, v8, s[0:1]
	v_mov_b32_e32 v8, 0x7f
	s_waitcnt vmcnt(3)
	v_cvt_f32_f16_e32 v18, v4
	v_cvt_f32_f16_sdwa v19, v4 dst_sel:DWORD dst_unused:UNUSED_PAD src0_sel:WORD_1
	v_cvt_f32_f16_e32 v16, v5
	s_waitcnt vmcnt(2)
	v_cvt_f32_f16_e32 v20, v6
	v_cvt_f32_f16_sdwa v21, v6 dst_sel:DWORD dst_unused:UNUSED_PAD src0_sel:WORD_1
	v_cvt_f32_f16_sdwa v17, v5 dst_sel:DWORD dst_unused:UNUSED_PAD src0_sel:WORD_1
	v_cvt_f32_f16_e32 v4, v7
	v_cvt_f32_f16_sdwa v5, v7 dst_sel:DWORD dst_unused:UNUSED_PAD src0_sel:WORD_1
	v_pk_add_f32 v[6:7], v[18:19], v[20:21]
	v_cvt_f16_f32_e32 v19, v6
	v_fma_mixlo_f16 v6, v36, v6, 0
	v_pk_add_f32 v[4:5], v[16:17], v[4:5]
	s_waitcnt vmcnt(1)
	v_mul_f16_e32 v6, v2, v6
	v_cvt_f16_f32_e32 v15, v5
	v_cvt_f16_f32_e32 v16, v4
	v_cvt_f32_f16_e32 v6, v6
	v_cvt_f16_f32_e32 v18, v7
	v_pack_b32_f16 v17, v16, v15
	s_waitcnt vmcnt(0)
	v_div_scale_f32 v15, s[4:5], v9, v9, v6
	v_pack_b32_f16 v16, v19, v18
	v_rcp_f32_e32 v18, v15
	global_store_dwordx2 v[10:11], v[16:17], off
	v_div_scale_f32 v10, vcc, v6, v9, v6
	v_fma_f32 v11, -v15, v18, 1.0
	v_fmac_f32_e32 v18, v11, v18
	v_mul_f32_e32 v11, v10, v18
	v_fma_f32 v16, -v15, v11, v10
	v_fmac_f32_e32 v11, v16, v18
	v_fma_f32 v10, -v15, v11, v10
	v_div_fmas_f32 v10, v10, v18, v11
	v_div_fixup_f32 v6, v10, v9, v6
	v_min_f32_e32 v6, 0x43e00000, v6
	v_max_f32_e32 v10, 0xc3e00000, v6
	v_and_b32_e32 v11, 0x7fffffff, v10
	v_cmp_gt_u32_e32 vcc, s21, v11
	v_mov_b32_e32 v6, 0x7f
	s_and_saveexec_b64 s[4:5], vcc
	s_cbranch_execz .LBB45_65
; %bb.60:                               ;   in Loop: Header=BB45_59 Depth=1
	v_cmp_lt_u32_e32 vcc, s22, v11
                                        ; implicit-def: $vgpr6
	s_and_saveexec_b64 s[6:7], vcc
	s_xor_b64 s[6:7], exec, s[6:7]
; %bb.61:                               ;   in Loop: Header=BB45_59 Depth=1
	v_bfe_u32 v6, v10, 20, 1
	v_add3_u32 v6, v10, v6, s23
	v_lshrrev_b32_e32 v6, 20, v6
; %bb.62:                               ;   in Loop: Header=BB45_59 Depth=1
	s_andn2_saveexec_b64 s[6:7], s[6:7]
; %bb.63:                               ;   in Loop: Header=BB45_59 Depth=1
	v_add_f32_e64 v6, |v10|, s24
; %bb.64:                               ;   in Loop: Header=BB45_59 Depth=1
	s_or_b64 exec, exec, s[6:7]
.LBB45_65:                              ;   in Loop: Header=BB45_59 Depth=1
	s_or_b64 exec, exec, s[4:5]
	v_fma_mixlo_f16 v7, v36, v7, 0
	v_mul_f16_sdwa v2, v2, v7 dst_sel:DWORD dst_unused:UNUSED_PAD src0_sel:WORD_1 src1_sel:DWORD
	v_cvt_f32_f16_e32 v2, v2
	v_div_scale_f32 v7, s[4:5], v9, v9, v2
	v_rcp_f32_e32 v11, v7
	v_div_scale_f32 v15, vcc, v2, v9, v2
	v_fma_f32 v16, -v7, v11, 1.0
	v_fmac_f32_e32 v11, v16, v11
	v_mul_f32_e32 v16, v15, v11
	v_fma_f32 v17, -v7, v16, v15
	v_fmac_f32_e32 v16, v17, v11
	v_fma_f32 v7, -v7, v16, v15
	v_div_fmas_f32 v7, v7, v11, v16
	v_div_fixup_f32 v2, v7, v9, v2
	v_min_f32_e32 v2, 0x43e00000, v2
	v_max_f32_e32 v2, 0xc3e00000, v2
	v_and_b32_e32 v7, 0x7fffffff, v2
	v_cmp_gt_u32_e32 vcc, s21, v7
	s_and_saveexec_b64 s[4:5], vcc
	s_cbranch_execz .LBB45_71
; %bb.66:                               ;   in Loop: Header=BB45_59 Depth=1
	v_cmp_lt_u32_e32 vcc, s22, v7
                                        ; implicit-def: $vgpr8
	s_and_saveexec_b64 s[6:7], vcc
	s_xor_b64 s[6:7], exec, s[6:7]
; %bb.67:                               ;   in Loop: Header=BB45_59 Depth=1
	v_bfe_u32 v7, v2, 20, 1
	v_add3_u32 v7, v2, v7, s23
	v_lshrrev_b32_e32 v8, 20, v7
; %bb.68:                               ;   in Loop: Header=BB45_59 Depth=1
	s_andn2_saveexec_b64 s[6:7], s[6:7]
; %bb.69:                               ;   in Loop: Header=BB45_59 Depth=1
	v_add_f32_e64 v8, |v2|, s24
; %bb.70:                               ;   in Loop: Header=BB45_59 Depth=1
	s_or_b64 exec, exec, s[6:7]
.LBB45_71:                              ;   in Loop: Header=BB45_59 Depth=1
	s_or_b64 exec, exec, s[4:5]
	v_fma_mixlo_f16 v4, v36, v4, 0
	v_mul_f16_e32 v4, v3, v4
	v_cvt_f32_f16_e32 v7, v4
	v_mov_b32_e32 v4, 0x7f
	v_div_scale_f32 v11, s[4:5], v9, v9, v7
	v_rcp_f32_e32 v15, v11
	v_div_scale_f32 v16, vcc, v7, v9, v7
	v_fma_f32 v17, -v11, v15, 1.0
	v_fmac_f32_e32 v15, v17, v15
	v_mul_f32_e32 v17, v16, v15
	v_fma_f32 v18, -v11, v17, v16
	v_fmac_f32_e32 v17, v18, v15
	v_fma_f32 v11, -v11, v17, v16
	v_div_fmas_f32 v11, v11, v15, v17
	v_div_fixup_f32 v7, v11, v9, v7
	v_min_f32_e32 v7, 0x43e00000, v7
	v_max_f32_e32 v11, 0xc3e00000, v7
	v_and_b32_e32 v15, 0x7fffffff, v11
	v_cmp_gt_u32_e32 vcc, s21, v15
	v_mov_b32_e32 v7, 0x7f
	s_and_saveexec_b64 s[4:5], vcc
	s_cbranch_execz .LBB45_77
; %bb.72:                               ;   in Loop: Header=BB45_59 Depth=1
	v_cmp_lt_u32_e32 vcc, s22, v15
                                        ; implicit-def: $vgpr7
	s_and_saveexec_b64 s[6:7], vcc
	s_xor_b64 s[6:7], exec, s[6:7]
; %bb.73:                               ;   in Loop: Header=BB45_59 Depth=1
	v_bfe_u32 v7, v11, 20, 1
	v_add3_u32 v7, v11, v7, s23
	v_lshrrev_b32_e32 v7, 20, v7
; %bb.74:                               ;   in Loop: Header=BB45_59 Depth=1
	s_andn2_saveexec_b64 s[6:7], s[6:7]
; %bb.75:                               ;   in Loop: Header=BB45_59 Depth=1
	v_add_f32_e64 v7, |v11|, s24
; %bb.76:                               ;   in Loop: Header=BB45_59 Depth=1
	s_or_b64 exec, exec, s[6:7]
.LBB45_77:                              ;   in Loop: Header=BB45_59 Depth=1
	s_or_b64 exec, exec, s[4:5]
	v_fma_mixlo_f16 v5, v36, v5, 0
	v_mul_f16_sdwa v3, v3, v5 dst_sel:DWORD dst_unused:UNUSED_PAD src0_sel:WORD_1 src1_sel:DWORD
	v_cvt_f32_f16_e32 v3, v3
	v_div_scale_f32 v5, s[4:5], v9, v9, v3
	v_rcp_f32_e32 v15, v5
	v_div_scale_f32 v16, vcc, v3, v9, v3
	v_fma_f32 v17, -v5, v15, 1.0
	v_fmac_f32_e32 v15, v17, v15
	v_mul_f32_e32 v17, v16, v15
	v_fma_f32 v18, -v5, v17, v16
	v_fmac_f32_e32 v17, v18, v15
	v_fma_f32 v5, -v5, v17, v16
	v_div_fmas_f32 v5, v5, v15, v17
	v_div_fixup_f32 v3, v5, v9, v3
	v_min_f32_e32 v3, 0x43e00000, v3
	v_max_f32_e32 v3, 0xc3e00000, v3
	v_and_b32_e32 v5, 0x7fffffff, v3
	v_cmp_gt_u32_e32 vcc, s21, v5
	s_and_saveexec_b64 s[4:5], vcc
	s_cbranch_execz .LBB45_83
; %bb.78:                               ;   in Loop: Header=BB45_59 Depth=1
	v_cmp_lt_u32_e32 vcc, s22, v5
                                        ; implicit-def: $vgpr4
	s_and_saveexec_b64 s[6:7], vcc
	s_xor_b64 s[6:7], exec, s[6:7]
; %bb.79:                               ;   in Loop: Header=BB45_59 Depth=1
	v_bfe_u32 v4, v3, 20, 1
	v_add3_u32 v4, v3, v4, s23
	v_lshrrev_b32_e32 v4, 20, v4
; %bb.80:                               ;   in Loop: Header=BB45_59 Depth=1
	s_andn2_saveexec_b64 s[6:7], s[6:7]
; %bb.81:                               ;   in Loop: Header=BB45_59 Depth=1
	v_add_f32_e64 v4, |v3|, s24
; %bb.82:                               ;   in Loop: Header=BB45_59 Depth=1
	s_or_b64 exec, exec, s[6:7]
.LBB45_83:                              ;   in Loop: Header=BB45_59 Depth=1
	s_or_b64 exec, exec, s[4:5]
	v_and_b32_sdwa v5, v11, s25 dst_sel:DWORD dst_unused:UNUSED_PAD src0_sel:BYTE_3 src1_sel:DWORD
	v_and_or_b32 v5, v7, s26, v5
	v_and_b32_sdwa v2, v2, s25 dst_sel:DWORD dst_unused:UNUSED_PAD src0_sel:BYTE_3 src1_sel:DWORD
	v_lshlrev_b32_e32 v4, 24, v4
	v_and_b32_e32 v3, 0x80000000, v3
	v_lshlrev_b32_e32 v5, 16, v5
	v_lshrrev_b32_e32 v9, 24, v10
	v_lshlrev_b64 v[10:11], 2, v[0:1]
	v_or3_b32 v3, v3, v4, v5
	v_and_or_b32 v2, v8, s26, v2
	v_and_b32_e32 v4, 0xff, v6
	v_mov_b32_e32 v15, s18
	v_add_co_u32_e32 v10, vcc, s13, v10
	v_lshlrev_b32_e32 v2, 8, v2
	v_and_or_b32 v4, v9, s25, v4
	v_addc_co_u32_e32 v11, vcc, v15, v11, vcc
	v_or3_b32 v2, v3, v2, v4
	global_store_dword v[10:11], v2, off
	v_add_u32_e32 v2, s47, v0
	v_cmp_gt_u32_e32 vcc, s12, v2
	s_mov_b64 s[6:7], -1
	s_and_saveexec_b64 s[4:5], vcc
	s_cbranch_execz .LBB45_58
; %bb.84:                               ;   in Loop: Header=BB45_59 Depth=1
	v_mov_b32_e32 v3, v1
	v_lshlrev_b64 v[4:5], 3, v[2:3]
	v_mov_b32_e32 v7, s44
	v_add_co_u32_e32 v6, vcc, s33, v4
	v_addc_co_u32_e32 v7, vcc, v7, v5, vcc
	v_mov_b32_e32 v8, s46
	v_add_co_u32_e32 v16, vcc, s45, v4
	v_addc_co_u32_e32 v17, vcc, v8, v5, vcc
	global_load_dwordx2 v[6:7], v[6:7], off
	v_mov_b32_e32 v10, s15
	global_load_dwordx2 v[8:9], v[16:17], off
	v_add_co_u32_e32 v4, vcc, s14, v4
	v_addc_co_u32_e32 v5, vcc, v10, v5, vcc
	global_load_dwordx2 v[4:5], v[4:5], off
	v_lshrrev_b32_e32 v10, 3, v2
	v_and_b32_e32 v10, 0x7fffffc, v10
	global_load_dword v11, v10, s[0:1]
	v_mov_b32_e32 v10, 0x7f
	s_waitcnt vmcnt(3)
	v_cvt_f32_f16_e32 v20, v6
	v_cvt_f32_f16_sdwa v21, v6 dst_sel:DWORD dst_unused:UNUSED_PAD src0_sel:WORD_1
	s_waitcnt vmcnt(2)
	v_cvt_f32_f16_e32 v22, v8
	v_cvt_f32_f16_sdwa v23, v8 dst_sel:DWORD dst_unused:UNUSED_PAD src0_sel:WORD_1
	v_cvt_f32_f16_e32 v18, v7
	v_cvt_f32_f16_sdwa v19, v7 dst_sel:DWORD dst_unused:UNUSED_PAD src0_sel:WORD_1
	;; [unrolled: 2-line block ×3, first 2 shown]
	v_pk_add_f32 v[8:9], v[20:21], v[22:23]
	v_cvt_f16_f32_e32 v21, v8
	v_fma_mixlo_f16 v8, v36, v8, 0
	v_pk_add_f32 v[6:7], v[18:19], v[6:7]
	s_waitcnt vmcnt(1)
	v_mul_f16_e32 v8, v4, v8
	v_cvt_f16_f32_e32 v15, v7
	v_cvt_f16_f32_e32 v18, v6
	v_cvt_f32_f16_e32 v8, v8
	v_cvt_f16_f32_e32 v20, v9
	v_pack_b32_f16 v19, v18, v15
	s_waitcnt vmcnt(0)
	v_div_scale_f32 v15, s[6:7], v11, v11, v8
	v_pack_b32_f16 v18, v21, v20
	v_rcp_f32_e32 v20, v15
	global_store_dwordx2 v[16:17], v[18:19], off
	v_div_scale_f32 v16, vcc, v8, v11, v8
	v_fma_f32 v17, -v15, v20, 1.0
	v_fmac_f32_e32 v20, v17, v20
	v_mul_f32_e32 v17, v16, v20
	v_fma_f32 v18, -v15, v17, v16
	v_fmac_f32_e32 v17, v18, v20
	v_fma_f32 v15, -v15, v17, v16
	v_div_fmas_f32 v15, v15, v20, v17
	v_div_fixup_f32 v8, v15, v11, v8
	v_min_f32_e32 v8, 0x43e00000, v8
	v_max_f32_e32 v15, 0xc3e00000, v8
	v_and_b32_e32 v16, 0x7fffffff, v15
	v_cmp_gt_u32_e32 vcc, s21, v16
	v_mov_b32_e32 v8, 0x7f
	s_and_saveexec_b64 s[6:7], vcc
	s_cbranch_execz .LBB45_90
; %bb.85:                               ;   in Loop: Header=BB45_59 Depth=1
	v_cmp_lt_u32_e32 vcc, s22, v16
                                        ; implicit-def: $vgpr8
	s_and_saveexec_b64 s[8:9], vcc
	s_xor_b64 s[8:9], exec, s[8:9]
; %bb.86:                               ;   in Loop: Header=BB45_59 Depth=1
	v_bfe_u32 v8, v15, 20, 1
	v_add3_u32 v8, v15, v8, s23
	v_lshrrev_b32_e32 v8, 20, v8
; %bb.87:                               ;   in Loop: Header=BB45_59 Depth=1
	s_andn2_saveexec_b64 s[8:9], s[8:9]
; %bb.88:                               ;   in Loop: Header=BB45_59 Depth=1
	v_add_f32_e64 v8, |v15|, s24
; %bb.89:                               ;   in Loop: Header=BB45_59 Depth=1
	s_or_b64 exec, exec, s[8:9]
.LBB45_90:                              ;   in Loop: Header=BB45_59 Depth=1
	s_or_b64 exec, exec, s[6:7]
	v_fma_mixlo_f16 v9, v36, v9, 0
	v_mul_f16_sdwa v4, v4, v9 dst_sel:DWORD dst_unused:UNUSED_PAD src0_sel:WORD_1 src1_sel:DWORD
	v_cvt_f32_f16_e32 v4, v4
	v_div_scale_f32 v9, s[6:7], v11, v11, v4
	v_rcp_f32_e32 v16, v9
	v_div_scale_f32 v17, vcc, v4, v11, v4
	v_fma_f32 v18, -v9, v16, 1.0
	v_fmac_f32_e32 v16, v18, v16
	v_mul_f32_e32 v18, v17, v16
	v_fma_f32 v19, -v9, v18, v17
	v_fmac_f32_e32 v18, v19, v16
	v_fma_f32 v9, -v9, v18, v17
	v_div_fmas_f32 v9, v9, v16, v18
	v_div_fixup_f32 v4, v9, v11, v4
	v_min_f32_e32 v4, 0x43e00000, v4
	v_max_f32_e32 v4, 0xc3e00000, v4
	v_and_b32_e32 v9, 0x7fffffff, v4
	v_cmp_gt_u32_e32 vcc, s21, v9
	s_and_saveexec_b64 s[6:7], vcc
	s_cbranch_execz .LBB45_96
; %bb.91:                               ;   in Loop: Header=BB45_59 Depth=1
	v_cmp_lt_u32_e32 vcc, s22, v9
                                        ; implicit-def: $vgpr10
	s_and_saveexec_b64 s[8:9], vcc
	s_xor_b64 s[8:9], exec, s[8:9]
; %bb.92:                               ;   in Loop: Header=BB45_59 Depth=1
	v_bfe_u32 v9, v4, 20, 1
	v_add3_u32 v9, v4, v9, s23
	v_lshrrev_b32_e32 v10, 20, v9
; %bb.93:                               ;   in Loop: Header=BB45_59 Depth=1
	s_andn2_saveexec_b64 s[8:9], s[8:9]
; %bb.94:                               ;   in Loop: Header=BB45_59 Depth=1
	v_add_f32_e64 v10, |v4|, s24
; %bb.95:                               ;   in Loop: Header=BB45_59 Depth=1
	s_or_b64 exec, exec, s[8:9]
.LBB45_96:                              ;   in Loop: Header=BB45_59 Depth=1
	s_or_b64 exec, exec, s[6:7]
	v_fma_mixlo_f16 v6, v36, v6, 0
	v_mul_f16_e32 v6, v5, v6
	v_cvt_f32_f16_e32 v9, v6
	v_mov_b32_e32 v6, 0x7f
	v_div_scale_f32 v16, s[6:7], v11, v11, v9
	v_rcp_f32_e32 v17, v16
	v_div_scale_f32 v18, vcc, v9, v11, v9
	v_fma_f32 v19, -v16, v17, 1.0
	v_fmac_f32_e32 v17, v19, v17
	v_mul_f32_e32 v19, v18, v17
	v_fma_f32 v20, -v16, v19, v18
	v_fmac_f32_e32 v19, v20, v17
	v_fma_f32 v16, -v16, v19, v18
	v_div_fmas_f32 v16, v16, v17, v19
	v_div_fixup_f32 v9, v16, v11, v9
	v_min_f32_e32 v9, 0x43e00000, v9
	v_max_f32_e32 v16, 0xc3e00000, v9
	v_and_b32_e32 v17, 0x7fffffff, v16
	v_cmp_gt_u32_e32 vcc, s21, v17
	v_mov_b32_e32 v9, 0x7f
	s_and_saveexec_b64 s[6:7], vcc
	s_cbranch_execz .LBB45_102
; %bb.97:                               ;   in Loop: Header=BB45_59 Depth=1
	v_cmp_lt_u32_e32 vcc, s22, v17
                                        ; implicit-def: $vgpr9
	s_and_saveexec_b64 s[8:9], vcc
	s_xor_b64 s[8:9], exec, s[8:9]
; %bb.98:                               ;   in Loop: Header=BB45_59 Depth=1
	v_bfe_u32 v9, v16, 20, 1
	v_add3_u32 v9, v16, v9, s23
	v_lshrrev_b32_e32 v9, 20, v9
; %bb.99:                               ;   in Loop: Header=BB45_59 Depth=1
	s_andn2_saveexec_b64 s[8:9], s[8:9]
; %bb.100:                              ;   in Loop: Header=BB45_59 Depth=1
	v_add_f32_e64 v9, |v16|, s24
; %bb.101:                              ;   in Loop: Header=BB45_59 Depth=1
	s_or_b64 exec, exec, s[8:9]
.LBB45_102:                             ;   in Loop: Header=BB45_59 Depth=1
	s_or_b64 exec, exec, s[6:7]
	v_fma_mixlo_f16 v7, v36, v7, 0
	v_mul_f16_sdwa v5, v5, v7 dst_sel:DWORD dst_unused:UNUSED_PAD src0_sel:WORD_1 src1_sel:DWORD
	v_cvt_f32_f16_e32 v5, v5
	v_div_scale_f32 v7, s[6:7], v11, v11, v5
	v_rcp_f32_e32 v17, v7
	v_div_scale_f32 v18, vcc, v5, v11, v5
	v_fma_f32 v19, -v7, v17, 1.0
	v_fmac_f32_e32 v17, v19, v17
	v_mul_f32_e32 v19, v18, v17
	v_fma_f32 v20, -v7, v19, v18
	v_fmac_f32_e32 v19, v20, v17
	v_fma_f32 v7, -v7, v19, v18
	v_div_fmas_f32 v7, v7, v17, v19
	v_div_fixup_f32 v5, v7, v11, v5
	v_min_f32_e32 v5, 0x43e00000, v5
	v_max_f32_e32 v5, 0xc3e00000, v5
	v_and_b32_e32 v7, 0x7fffffff, v5
	v_cmp_gt_u32_e32 vcc, s21, v7
	s_and_saveexec_b64 s[6:7], vcc
	s_cbranch_execz .LBB45_108
; %bb.103:                              ;   in Loop: Header=BB45_59 Depth=1
	v_cmp_lt_u32_e32 vcc, s22, v7
                                        ; implicit-def: $vgpr6
	s_and_saveexec_b64 s[8:9], vcc
	s_xor_b64 s[8:9], exec, s[8:9]
; %bb.104:                              ;   in Loop: Header=BB45_59 Depth=1
	v_bfe_u32 v6, v5, 20, 1
	v_add3_u32 v6, v5, v6, s23
	v_lshrrev_b32_e32 v6, 20, v6
; %bb.105:                              ;   in Loop: Header=BB45_59 Depth=1
	s_andn2_saveexec_b64 s[8:9], s[8:9]
; %bb.106:                              ;   in Loop: Header=BB45_59 Depth=1
	v_add_f32_e64 v6, |v5|, s24
; %bb.107:                              ;   in Loop: Header=BB45_59 Depth=1
	s_or_b64 exec, exec, s[8:9]
.LBB45_108:                             ;   in Loop: Header=BB45_59 Depth=1
	s_or_b64 exec, exec, s[6:7]
	v_and_b32_sdwa v7, v16, s25 dst_sel:DWORD dst_unused:UNUSED_PAD src0_sel:BYTE_3 src1_sel:DWORD
	v_lshlrev_b64 v[16:17], 2, v[2:3]
	v_mov_b32_e32 v3, s18
	v_add_co_u32_e32 v16, vcc, s13, v16
	v_addc_co_u32_e32 v17, vcc, v3, v17, vcc
	v_lshlrev_b32_e32 v3, 24, v6
	v_and_or_b32 v6, v9, s26, v7
	v_and_b32_sdwa v4, v4, s25 dst_sel:DWORD dst_unused:UNUSED_PAD src0_sel:BYTE_3 src1_sel:DWORD
	v_and_b32_e32 v5, 0x80000000, v5
	v_lshlrev_b32_e32 v6, 16, v6
	v_lshrrev_b32_e32 v11, 24, v15
	v_or3_b32 v3, v5, v3, v6
	v_and_or_b32 v4, v10, s26, v4
	v_and_b32_e32 v5, 0xff, v8
	v_lshlrev_b32_e32 v4, 8, v4
	v_and_or_b32 v5, v11, s25, v5
	v_or3_b32 v3, v3, v4, v5
	v_add_u32_e32 v4, s20, v0
	v_cmp_gt_u32_e32 vcc, s12, v4
	s_mov_b64 s[8:9], -1
	global_store_dword v[16:17], v3, off
	s_and_saveexec_b64 s[6:7], vcc
	s_cbranch_execz .LBB45_57
; %bb.109:                              ;   in Loop: Header=BB45_59 Depth=1
	v_mov_b32_e32 v5, v1
	v_lshlrev_b64 v[6:7], 3, v[4:5]
	v_mov_b32_e32 v3, s44
	v_add_co_u32_e32 v8, vcc, s33, v6
	v_addc_co_u32_e32 v9, vcc, v3, v7, vcc
	v_mov_b32_e32 v3, s46
	v_add_co_u32_e32 v16, vcc, s45, v6
	v_addc_co_u32_e32 v17, vcc, v3, v7, vcc
	global_load_dwordx2 v[8:9], v[8:9], off
	v_mov_b32_e32 v3, s15
	global_load_dwordx2 v[10:11], v[16:17], off
	v_add_co_u32_e32 v6, vcc, s14, v6
	v_addc_co_u32_e32 v7, vcc, v3, v7, vcc
	global_load_dwordx2 v[6:7], v[6:7], off
	v_lshrrev_b32_e32 v3, 3, v4
	v_and_b32_e32 v3, 0x7fffffc, v3
	global_load_dword v15, v3, s[0:1]
	v_mov_b32_e32 v3, 0x7f
	s_waitcnt vmcnt(3)
	v_cvt_f32_f16_e32 v20, v8
	v_cvt_f32_f16_sdwa v21, v8 dst_sel:DWORD dst_unused:UNUSED_PAD src0_sel:WORD_1
	s_waitcnt vmcnt(2)
	v_cvt_f32_f16_e32 v22, v10
	v_cvt_f32_f16_sdwa v23, v10 dst_sel:DWORD dst_unused:UNUSED_PAD src0_sel:WORD_1
	v_cvt_f32_f16_e32 v18, v9
	v_cvt_f32_f16_sdwa v19, v9 dst_sel:DWORD dst_unused:UNUSED_PAD src0_sel:WORD_1
	;; [unrolled: 2-line block ×3, first 2 shown]
	v_pk_add_f32 v[10:11], v[20:21], v[22:23]
	v_cvt_f16_f32_e32 v21, v10
	v_fma_mixlo_f16 v10, v36, v10, 0
	v_pk_add_f32 v[8:9], v[18:19], v[8:9]
	s_waitcnt vmcnt(1)
	v_mul_f16_e32 v10, v6, v10
	v_cvt_f16_f32_e32 v18, v9
	v_cvt_f16_f32_e32 v19, v8
	;; [unrolled: 1-line block ×3, first 2 shown]
	v_cvt_f32_f16_e32 v10, v10
	v_pack_b32_f16 v19, v19, v18
	v_pack_b32_f16 v18, v21, v20
	s_waitcnt vmcnt(0)
	v_div_scale_f32 v20, s[8:9], v15, v15, v10
	v_rcp_f32_e32 v21, v20
	global_store_dwordx2 v[16:17], v[18:19], off
	v_div_scale_f32 v16, vcc, v10, v15, v10
	v_fma_f32 v17, -v20, v21, 1.0
	v_fmac_f32_e32 v21, v17, v21
	v_mul_f32_e32 v17, v16, v21
	v_fma_f32 v18, -v20, v17, v16
	v_fmac_f32_e32 v17, v18, v21
	v_fma_f32 v16, -v20, v17, v16
	v_div_fmas_f32 v16, v16, v21, v17
	v_div_fixup_f32 v10, v16, v15, v10
	v_min_f32_e32 v10, 0x43e00000, v10
	v_max_f32_e32 v16, 0xc3e00000, v10
	v_and_b32_e32 v17, 0x7fffffff, v16
	v_cmp_gt_u32_e32 vcc, s21, v17
	v_mov_b32_e32 v10, 0x7f
	s_and_saveexec_b64 s[8:9], vcc
	s_cbranch_execz .LBB45_115
; %bb.110:                              ;   in Loop: Header=BB45_59 Depth=1
	v_cmp_lt_u32_e32 vcc, s22, v17
                                        ; implicit-def: $vgpr10
	s_and_saveexec_b64 s[10:11], vcc
	s_xor_b64 s[10:11], exec, s[10:11]
; %bb.111:                              ;   in Loop: Header=BB45_59 Depth=1
	v_bfe_u32 v10, v16, 20, 1
	v_add3_u32 v10, v16, v10, s23
	v_lshrrev_b32_e32 v10, 20, v10
; %bb.112:                              ;   in Loop: Header=BB45_59 Depth=1
	s_andn2_saveexec_b64 s[10:11], s[10:11]
; %bb.113:                              ;   in Loop: Header=BB45_59 Depth=1
	v_add_f32_e64 v10, |v16|, s24
; %bb.114:                              ;   in Loop: Header=BB45_59 Depth=1
	s_or_b64 exec, exec, s[10:11]
.LBB45_115:                             ;   in Loop: Header=BB45_59 Depth=1
	s_or_b64 exec, exec, s[8:9]
	v_fma_mixlo_f16 v11, v36, v11, 0
	v_mul_f16_sdwa v6, v6, v11 dst_sel:DWORD dst_unused:UNUSED_PAD src0_sel:WORD_1 src1_sel:DWORD
	v_cvt_f32_f16_e32 v6, v6
	v_div_scale_f32 v11, s[8:9], v15, v15, v6
	v_rcp_f32_e32 v17, v11
	v_div_scale_f32 v18, vcc, v6, v15, v6
	v_fma_f32 v19, -v11, v17, 1.0
	v_fmac_f32_e32 v17, v19, v17
	v_mul_f32_e32 v19, v18, v17
	v_fma_f32 v20, -v11, v19, v18
	v_fmac_f32_e32 v19, v20, v17
	v_fma_f32 v11, -v11, v19, v18
	v_div_fmas_f32 v11, v11, v17, v19
	v_div_fixup_f32 v6, v11, v15, v6
	v_min_f32_e32 v6, 0x43e00000, v6
	v_max_f32_e32 v6, 0xc3e00000, v6
	v_and_b32_e32 v11, 0x7fffffff, v6
	v_cmp_gt_u32_e32 vcc, s21, v11
	s_and_saveexec_b64 s[8:9], vcc
	s_cbranch_execz .LBB45_121
; %bb.116:                              ;   in Loop: Header=BB45_59 Depth=1
	v_cmp_lt_u32_e32 vcc, s22, v11
                                        ; implicit-def: $vgpr3
	s_and_saveexec_b64 s[10:11], vcc
	s_xor_b64 s[10:11], exec, s[10:11]
; %bb.117:                              ;   in Loop: Header=BB45_59 Depth=1
	v_bfe_u32 v3, v6, 20, 1
	v_add3_u32 v3, v6, v3, s23
	v_lshrrev_b32_e32 v3, 20, v3
; %bb.118:                              ;   in Loop: Header=BB45_59 Depth=1
	s_andn2_saveexec_b64 s[10:11], s[10:11]
; %bb.119:                              ;   in Loop: Header=BB45_59 Depth=1
	v_add_f32_e64 v3, |v6|, s24
; %bb.120:                              ;   in Loop: Header=BB45_59 Depth=1
	s_or_b64 exec, exec, s[10:11]
.LBB45_121:                             ;   in Loop: Header=BB45_59 Depth=1
	s_or_b64 exec, exec, s[8:9]
	v_fma_mixlo_f16 v8, v36, v8, 0
	v_mul_f16_e32 v8, v7, v8
	v_cvt_f32_f16_e32 v11, v8
	v_mov_b32_e32 v8, 0x7f
	v_div_scale_f32 v17, s[8:9], v15, v15, v11
	v_rcp_f32_e32 v18, v17
	v_div_scale_f32 v19, vcc, v11, v15, v11
	v_fma_f32 v20, -v17, v18, 1.0
	v_fmac_f32_e32 v18, v20, v18
	v_mul_f32_e32 v20, v19, v18
	v_fma_f32 v21, -v17, v20, v19
	v_fmac_f32_e32 v20, v21, v18
	v_fma_f32 v17, -v17, v20, v19
	v_div_fmas_f32 v17, v17, v18, v20
	v_div_fixup_f32 v11, v17, v15, v11
	v_min_f32_e32 v11, 0x43e00000, v11
	v_max_f32_e32 v17, 0xc3e00000, v11
	v_and_b32_e32 v18, 0x7fffffff, v17
	v_cmp_gt_u32_e32 vcc, s21, v18
	v_mov_b32_e32 v11, 0x7f
	s_and_saveexec_b64 s[8:9], vcc
	s_cbranch_execz .LBB45_127
; %bb.122:                              ;   in Loop: Header=BB45_59 Depth=1
	v_cmp_lt_u32_e32 vcc, s22, v18
                                        ; implicit-def: $vgpr11
	s_and_saveexec_b64 s[10:11], vcc
	s_xor_b64 s[10:11], exec, s[10:11]
; %bb.123:                              ;   in Loop: Header=BB45_59 Depth=1
	v_bfe_u32 v11, v17, 20, 1
	v_add3_u32 v11, v17, v11, s23
	v_lshrrev_b32_e32 v11, 20, v11
; %bb.124:                              ;   in Loop: Header=BB45_59 Depth=1
	s_andn2_saveexec_b64 s[10:11], s[10:11]
; %bb.125:                              ;   in Loop: Header=BB45_59 Depth=1
	v_add_f32_e64 v11, |v17|, s24
; %bb.126:                              ;   in Loop: Header=BB45_59 Depth=1
	s_or_b64 exec, exec, s[10:11]
.LBB45_127:                             ;   in Loop: Header=BB45_59 Depth=1
	s_or_b64 exec, exec, s[8:9]
	v_fma_mixlo_f16 v9, v36, v9, 0
	v_mul_f16_sdwa v7, v7, v9 dst_sel:DWORD dst_unused:UNUSED_PAD src0_sel:WORD_1 src1_sel:DWORD
	v_cvt_f32_f16_e32 v7, v7
	v_div_scale_f32 v9, s[8:9], v15, v15, v7
	v_rcp_f32_e32 v18, v9
	v_div_scale_f32 v19, vcc, v7, v15, v7
	v_fma_f32 v20, -v9, v18, 1.0
	v_fmac_f32_e32 v18, v20, v18
	v_mul_f32_e32 v20, v19, v18
	v_fma_f32 v21, -v9, v20, v19
	v_fmac_f32_e32 v20, v21, v18
	v_fma_f32 v9, -v9, v20, v19
	v_div_fmas_f32 v9, v9, v18, v20
	v_div_fixup_f32 v7, v9, v15, v7
	v_min_f32_e32 v7, 0x43e00000, v7
	v_max_f32_e32 v7, 0xc3e00000, v7
	v_and_b32_e32 v9, 0x7fffffff, v7
	v_cmp_gt_u32_e32 vcc, s21, v9
	s_and_saveexec_b64 s[8:9], vcc
	s_cbranch_execz .LBB45_133
; %bb.128:                              ;   in Loop: Header=BB45_59 Depth=1
	v_cmp_lt_u32_e32 vcc, s22, v9
                                        ; implicit-def: $vgpr8
	s_and_saveexec_b64 s[10:11], vcc
	s_xor_b64 s[10:11], exec, s[10:11]
; %bb.129:                              ;   in Loop: Header=BB45_59 Depth=1
	v_bfe_u32 v8, v7, 20, 1
	v_add3_u32 v8, v7, v8, s23
	v_lshrrev_b32_e32 v8, 20, v8
; %bb.130:                              ;   in Loop: Header=BB45_59 Depth=1
	s_andn2_saveexec_b64 s[10:11], s[10:11]
; %bb.131:                              ;   in Loop: Header=BB45_59 Depth=1
	v_add_f32_e64 v8, |v7|, s24
; %bb.132:                              ;   in Loop: Header=BB45_59 Depth=1
	s_or_b64 exec, exec, s[10:11]
.LBB45_133:                             ;   in Loop: Header=BB45_59 Depth=1
	s_or_b64 exec, exec, s[8:9]
	v_and_b32_sdwa v9, v17, s25 dst_sel:DWORD dst_unused:UNUSED_PAD src0_sel:BYTE_3 src1_sel:DWORD
	v_and_b32_sdwa v6, v6, s25 dst_sel:DWORD dst_unused:UNUSED_PAD src0_sel:BYTE_3 src1_sel:DWORD
	v_lshlrev_b64 v[4:5], 2, v[4:5]
	v_and_or_b32 v9, v11, s26, v9
	v_lshrrev_b32_e32 v15, 24, v16
	v_mov_b32_e32 v16, s18
	v_add_co_u32_e32 v4, vcc, s13, v4
	v_lshlrev_b32_e32 v8, 24, v8
	v_and_b32_e32 v7, 0x80000000, v7
	v_lshlrev_b32_e32 v9, 16, v9
	v_and_or_b32 v3, v3, s26, v6
	v_and_b32_e32 v6, 0xff, v10
	v_addc_co_u32_e32 v5, vcc, v16, v5, vcc
	v_or3_b32 v7, v7, v8, v9
	v_lshlrev_b32_e32 v3, 8, v3
	v_and_or_b32 v6, v15, s25, v6
	v_add_u32_e32 v0, s19, v0
	v_or3_b32 v3, v7, v3, v6
	v_cmp_gt_u32_e32 vcc, s12, v0
	s_mov_b64 s[10:11], -1
	global_store_dword v[4:5], v3, off
	s_and_saveexec_b64 s[8:9], vcc
	s_cbranch_execz .LBB45_56
; %bb.134:                              ;   in Loop: Header=BB45_59 Depth=1
	v_lshlrev_b64 v[4:5], 3, v[0:1]
	v_mov_b32_e32 v3, s44
	v_add_co_u32_e32 v6, vcc, s33, v4
	v_addc_co_u32_e32 v7, vcc, v3, v5, vcc
	v_mov_b32_e32 v3, s46
	v_add_co_u32_e32 v16, vcc, s45, v4
	v_addc_co_u32_e32 v17, vcc, v3, v5, vcc
	global_load_dwordx2 v[6:7], v[6:7], off
	v_mov_b32_e32 v3, s15
	global_load_dwordx2 v[8:9], v[16:17], off
	v_add_co_u32_e32 v4, vcc, s14, v4
	v_addc_co_u32_e32 v5, vcc, v3, v5, vcc
	global_load_dwordx2 v[4:5], v[4:5], off
	v_lshrrev_b32_e32 v3, 3, v0
	v_and_b32_e32 v3, 0x7fffffc, v3
	global_load_dword v10, v3, s[0:1]
	v_mov_b32_e32 v3, 0x7f
	s_waitcnt vmcnt(3)
	v_cvt_f32_f16_e32 v20, v6
	v_cvt_f32_f16_sdwa v21, v6 dst_sel:DWORD dst_unused:UNUSED_PAD src0_sel:WORD_1
	s_waitcnt vmcnt(2)
	v_cvt_f32_f16_e32 v22, v8
	v_cvt_f32_f16_sdwa v23, v8 dst_sel:DWORD dst_unused:UNUSED_PAD src0_sel:WORD_1
	v_cvt_f32_f16_e32 v18, v7
	v_cvt_f32_f16_sdwa v19, v7 dst_sel:DWORD dst_unused:UNUSED_PAD src0_sel:WORD_1
	;; [unrolled: 2-line block ×3, first 2 shown]
	v_pk_add_f32 v[8:9], v[20:21], v[22:23]
	v_cvt_f16_f32_e32 v20, v8
	v_fma_mixlo_f16 v8, v36, v8, 0
	v_pk_add_f32 v[6:7], v[18:19], v[6:7]
	s_waitcnt vmcnt(1)
	v_mul_f16_e32 v8, v4, v8
	v_cvt_f16_f32_e32 v11, v7
	v_cvt_f16_f32_e32 v15, v6
	v_cvt_f32_f16_e32 v8, v8
	v_cvt_f16_f32_e32 v18, v9
	v_pack_b32_f16 v19, v15, v11
	s_waitcnt vmcnt(0)
	v_div_scale_f32 v11, s[10:11], v10, v10, v8
	v_rcp_f32_e32 v15, v11
	v_pack_b32_f16 v18, v20, v18
	global_store_dwordx2 v[16:17], v[18:19], off
	v_div_scale_f32 v16, vcc, v8, v10, v8
	v_fma_f32 v17, -v11, v15, 1.0
	v_fmac_f32_e32 v15, v17, v15
	v_mul_f32_e32 v17, v16, v15
	v_fma_f32 v18, -v11, v17, v16
	v_fmac_f32_e32 v17, v18, v15
	v_fma_f32 v11, -v11, v17, v16
	v_div_fmas_f32 v11, v11, v15, v17
	v_div_fixup_f32 v8, v11, v10, v8
	v_min_f32_e32 v8, 0x43e00000, v8
	v_max_f32_e32 v11, 0xc3e00000, v8
	v_and_b32_e32 v15, 0x7fffffff, v11
	v_cmp_gt_u32_e32 vcc, s21, v15
	v_mov_b32_e32 v8, 0x7f
	s_and_saveexec_b64 s[10:11], vcc
	s_cbranch_execz .LBB45_140
; %bb.135:                              ;   in Loop: Header=BB45_59 Depth=1
	v_cmp_lt_u32_e32 vcc, s22, v15
                                        ; implicit-def: $vgpr8
	s_and_saveexec_b64 s[16:17], vcc
	s_xor_b64 s[16:17], exec, s[16:17]
; %bb.136:                              ;   in Loop: Header=BB45_59 Depth=1
	v_bfe_u32 v8, v11, 20, 1
	v_add3_u32 v8, v11, v8, s23
	v_lshrrev_b32_e32 v8, 20, v8
; %bb.137:                              ;   in Loop: Header=BB45_59 Depth=1
	s_andn2_saveexec_b64 s[16:17], s[16:17]
; %bb.138:                              ;   in Loop: Header=BB45_59 Depth=1
	v_add_f32_e64 v8, |v11|, s24
; %bb.139:                              ;   in Loop: Header=BB45_59 Depth=1
	s_or_b64 exec, exec, s[16:17]
.LBB45_140:                             ;   in Loop: Header=BB45_59 Depth=1
	s_or_b64 exec, exec, s[10:11]
	v_fma_mixlo_f16 v9, v36, v9, 0
	v_mul_f16_sdwa v4, v4, v9 dst_sel:DWORD dst_unused:UNUSED_PAD src0_sel:WORD_1 src1_sel:DWORD
	v_cvt_f32_f16_e32 v4, v4
	v_div_scale_f32 v9, s[10:11], v10, v10, v4
	v_rcp_f32_e32 v15, v9
	v_div_scale_f32 v16, vcc, v4, v10, v4
	v_fma_f32 v17, -v9, v15, 1.0
	v_fmac_f32_e32 v15, v17, v15
	v_mul_f32_e32 v17, v16, v15
	v_fma_f32 v18, -v9, v17, v16
	v_fmac_f32_e32 v17, v18, v15
	v_fma_f32 v9, -v9, v17, v16
	v_div_fmas_f32 v9, v9, v15, v17
	v_div_fixup_f32 v4, v9, v10, v4
	v_min_f32_e32 v4, 0x43e00000, v4
	v_max_f32_e32 v4, 0xc3e00000, v4
	v_and_b32_e32 v9, 0x7fffffff, v4
	v_cmp_gt_u32_e32 vcc, s21, v9
	s_and_saveexec_b64 s[10:11], vcc
	s_cbranch_execz .LBB45_146
; %bb.141:                              ;   in Loop: Header=BB45_59 Depth=1
	v_cmp_lt_u32_e32 vcc, s22, v9
                                        ; implicit-def: $vgpr3
	s_and_saveexec_b64 s[16:17], vcc
	s_xor_b64 s[16:17], exec, s[16:17]
; %bb.142:                              ;   in Loop: Header=BB45_59 Depth=1
	v_bfe_u32 v3, v4, 20, 1
	v_add3_u32 v3, v4, v3, s23
	v_lshrrev_b32_e32 v3, 20, v3
; %bb.143:                              ;   in Loop: Header=BB45_59 Depth=1
	s_andn2_saveexec_b64 s[16:17], s[16:17]
; %bb.144:                              ;   in Loop: Header=BB45_59 Depth=1
	v_add_f32_e64 v3, |v4|, s24
; %bb.145:                              ;   in Loop: Header=BB45_59 Depth=1
	s_or_b64 exec, exec, s[16:17]
.LBB45_146:                             ;   in Loop: Header=BB45_59 Depth=1
	s_or_b64 exec, exec, s[10:11]
	v_fma_mixlo_f16 v6, v36, v6, 0
	v_mul_f16_e32 v6, v5, v6
	v_cvt_f32_f16_e32 v9, v6
	v_mov_b32_e32 v6, 0x7f
	v_div_scale_f32 v15, s[10:11], v10, v10, v9
	v_rcp_f32_e32 v16, v15
	v_div_scale_f32 v17, vcc, v9, v10, v9
	v_fma_f32 v18, -v15, v16, 1.0
	v_fmac_f32_e32 v16, v18, v16
	v_mul_f32_e32 v18, v17, v16
	v_fma_f32 v19, -v15, v18, v17
	v_fmac_f32_e32 v18, v19, v16
	v_fma_f32 v15, -v15, v18, v17
	v_div_fmas_f32 v15, v15, v16, v18
	v_div_fixup_f32 v9, v15, v10, v9
	v_min_f32_e32 v9, 0x43e00000, v9
	v_max_f32_e32 v15, 0xc3e00000, v9
	v_and_b32_e32 v16, 0x7fffffff, v15
	v_cmp_gt_u32_e32 vcc, s21, v16
	v_mov_b32_e32 v9, 0x7f
	s_and_saveexec_b64 s[10:11], vcc
	s_cbranch_execz .LBB45_152
; %bb.147:                              ;   in Loop: Header=BB45_59 Depth=1
	v_cmp_lt_u32_e32 vcc, s22, v16
                                        ; implicit-def: $vgpr9
	s_and_saveexec_b64 s[16:17], vcc
	s_xor_b64 s[16:17], exec, s[16:17]
; %bb.148:                              ;   in Loop: Header=BB45_59 Depth=1
	v_bfe_u32 v9, v15, 20, 1
	v_add3_u32 v9, v15, v9, s23
	v_lshrrev_b32_e32 v9, 20, v9
; %bb.149:                              ;   in Loop: Header=BB45_59 Depth=1
	s_andn2_saveexec_b64 s[16:17], s[16:17]
; %bb.150:                              ;   in Loop: Header=BB45_59 Depth=1
	v_add_f32_e64 v9, |v15|, s24
; %bb.151:                              ;   in Loop: Header=BB45_59 Depth=1
	s_or_b64 exec, exec, s[16:17]
.LBB45_152:                             ;   in Loop: Header=BB45_59 Depth=1
	s_or_b64 exec, exec, s[10:11]
	v_fma_mixlo_f16 v7, v36, v7, 0
	v_mul_f16_sdwa v5, v5, v7 dst_sel:DWORD dst_unused:UNUSED_PAD src0_sel:WORD_1 src1_sel:DWORD
	v_cvt_f32_f16_e32 v5, v5
	v_div_scale_f32 v7, s[10:11], v10, v10, v5
	v_rcp_f32_e32 v16, v7
	v_div_scale_f32 v17, vcc, v5, v10, v5
	v_fma_f32 v18, -v7, v16, 1.0
	v_fmac_f32_e32 v16, v18, v16
	v_mul_f32_e32 v18, v17, v16
	v_fma_f32 v19, -v7, v18, v17
	v_fmac_f32_e32 v18, v19, v16
	v_fma_f32 v7, -v7, v18, v17
	v_div_fmas_f32 v7, v7, v16, v18
	v_div_fixup_f32 v5, v7, v10, v5
	v_min_f32_e32 v5, 0x43e00000, v5
	v_max_f32_e32 v5, 0xc3e00000, v5
	v_and_b32_e32 v7, 0x7fffffff, v5
	v_cmp_gt_u32_e32 vcc, s21, v7
	s_and_saveexec_b64 s[10:11], vcc
	s_cbranch_execz .LBB45_55
; %bb.153:                              ;   in Loop: Header=BB45_59 Depth=1
	v_cmp_lt_u32_e32 vcc, s22, v7
                                        ; implicit-def: $vgpr6
	s_and_saveexec_b64 s[16:17], vcc
	s_xor_b64 s[16:17], exec, s[16:17]
; %bb.154:                              ;   in Loop: Header=BB45_59 Depth=1
	v_bfe_u32 v6, v5, 20, 1
	v_add3_u32 v6, v5, v6, s23
	v_lshrrev_b32_e32 v6, 20, v6
; %bb.155:                              ;   in Loop: Header=BB45_59 Depth=1
	s_andn2_saveexec_b64 s[16:17], s[16:17]
	s_cbranch_execz .LBB45_54
; %bb.156:                              ;   in Loop: Header=BB45_59 Depth=1
	v_add_f32_e64 v6, |v5|, s24
	s_branch .LBB45_54
.LBB45_157:
	s_endpgm
	.section	.rodata,"a",@progbits
	.p2align	6, 0x0
	.amdhsa_kernel _ZN4vllm31rms_norm_per_block_quant_kernelIN3c104HalfENS1_13Float8_e4m3fnELb1ELb0ELi128EEEvPT0_PfPKT_S9_PKffiiPS7_l
		.amdhsa_group_segment_fixed_size 4164
		.amdhsa_private_segment_fixed_size 0
		.amdhsa_kernarg_size 328
		.amdhsa_user_sgpr_count 6
		.amdhsa_user_sgpr_private_segment_buffer 1
		.amdhsa_user_sgpr_dispatch_ptr 0
		.amdhsa_user_sgpr_queue_ptr 0
		.amdhsa_user_sgpr_kernarg_segment_ptr 1
		.amdhsa_user_sgpr_dispatch_id 0
		.amdhsa_user_sgpr_flat_scratch_init 0
		.amdhsa_user_sgpr_kernarg_preload_length 0
		.amdhsa_user_sgpr_kernarg_preload_offset 0
		.amdhsa_user_sgpr_private_segment_size 0
		.amdhsa_uses_dynamic_stack 0
		.amdhsa_system_sgpr_private_segment_wavefront_offset 0
		.amdhsa_system_sgpr_workgroup_id_x 1
		.amdhsa_system_sgpr_workgroup_id_y 0
		.amdhsa_system_sgpr_workgroup_id_z 0
		.amdhsa_system_sgpr_workgroup_info 0
		.amdhsa_system_vgpr_workitem_id 0
		.amdhsa_next_free_vgpr 40
		.amdhsa_next_free_sgpr 48
		.amdhsa_accum_offset 40
		.amdhsa_reserve_vcc 1
		.amdhsa_reserve_flat_scratch 0
		.amdhsa_float_round_mode_32 0
		.amdhsa_float_round_mode_16_64 0
		.amdhsa_float_denorm_mode_32 3
		.amdhsa_float_denorm_mode_16_64 3
		.amdhsa_dx10_clamp 1
		.amdhsa_ieee_mode 1
		.amdhsa_fp16_overflow 0
		.amdhsa_tg_split 0
		.amdhsa_exception_fp_ieee_invalid_op 0
		.amdhsa_exception_fp_denorm_src 0
		.amdhsa_exception_fp_ieee_div_zero 0
		.amdhsa_exception_fp_ieee_overflow 0
		.amdhsa_exception_fp_ieee_underflow 0
		.amdhsa_exception_fp_ieee_inexact 0
		.amdhsa_exception_int_div_zero 0
	.end_amdhsa_kernel
	.section	.text._ZN4vllm31rms_norm_per_block_quant_kernelIN3c104HalfENS1_13Float8_e4m3fnELb1ELb0ELi128EEEvPT0_PfPKT_S9_PKffiiPS7_l,"axG",@progbits,_ZN4vllm31rms_norm_per_block_quant_kernelIN3c104HalfENS1_13Float8_e4m3fnELb1ELb0ELi128EEEvPT0_PfPKT_S9_PKffiiPS7_l,comdat
.Lfunc_end45:
	.size	_ZN4vllm31rms_norm_per_block_quant_kernelIN3c104HalfENS1_13Float8_e4m3fnELb1ELb0ELi128EEEvPT0_PfPKT_S9_PKffiiPS7_l, .Lfunc_end45-_ZN4vllm31rms_norm_per_block_quant_kernelIN3c104HalfENS1_13Float8_e4m3fnELb1ELb0ELi128EEEvPT0_PfPKT_S9_PKffiiPS7_l
                                        ; -- End function
	.section	.AMDGPU.csdata,"",@progbits
; Kernel info:
; codeLenInByte = 9144
; NumSgprs: 52
; NumVgprs: 40
; NumAgprs: 0
; TotalNumVgprs: 40
; ScratchSize: 0
; MemoryBound: 0
; FloatMode: 240
; IeeeMode: 1
; LDSByteSize: 4164 bytes/workgroup (compile time only)
; SGPRBlocks: 6
; VGPRBlocks: 4
; NumSGPRsForWavesPerEU: 52
; NumVGPRsForWavesPerEU: 40
; AccumOffset: 40
; Occupancy: 8
; WaveLimiterHint : 0
; COMPUTE_PGM_RSRC2:SCRATCH_EN: 0
; COMPUTE_PGM_RSRC2:USER_SGPR: 6
; COMPUTE_PGM_RSRC2:TRAP_HANDLER: 0
; COMPUTE_PGM_RSRC2:TGID_X_EN: 1
; COMPUTE_PGM_RSRC2:TGID_Y_EN: 0
; COMPUTE_PGM_RSRC2:TGID_Z_EN: 0
; COMPUTE_PGM_RSRC2:TIDIG_COMP_CNT: 0
; COMPUTE_PGM_RSRC3_GFX90A:ACCUM_OFFSET: 9
; COMPUTE_PGM_RSRC3_GFX90A:TG_SPLIT: 0
	.section	.text._ZN4vllm31rms_norm_per_block_quant_kernelIN3c104HalfENS1_15Float8_e4m3fnuzELb1ELb0ELi128EEEvPT0_PfPKT_S9_PKffiiPS7_l,"axG",@progbits,_ZN4vllm31rms_norm_per_block_quant_kernelIN3c104HalfENS1_15Float8_e4m3fnuzELb1ELb0ELi128EEEvPT0_PfPKT_S9_PKffiiPS7_l,comdat
	.protected	_ZN4vllm31rms_norm_per_block_quant_kernelIN3c104HalfENS1_15Float8_e4m3fnuzELb1ELb0ELi128EEEvPT0_PfPKT_S9_PKffiiPS7_l ; -- Begin function _ZN4vllm31rms_norm_per_block_quant_kernelIN3c104HalfENS1_15Float8_e4m3fnuzELb1ELb0ELi128EEEvPT0_PfPKT_S9_PKffiiPS7_l
	.globl	_ZN4vllm31rms_norm_per_block_quant_kernelIN3c104HalfENS1_15Float8_e4m3fnuzELb1ELb0ELi128EEEvPT0_PfPKT_S9_PKffiiPS7_l
	.p2align	8
	.type	_ZN4vllm31rms_norm_per_block_quant_kernelIN3c104HalfENS1_15Float8_e4m3fnuzELb1ELb0ELi128EEEvPT0_PfPKT_S9_PKffiiPS7_l,@function
_ZN4vllm31rms_norm_per_block_quant_kernelIN3c104HalfENS1_15Float8_e4m3fnuzELb1ELb0ELi128EEEvPT0_PfPKT_S9_PKffiiPS7_l: ; @_ZN4vllm31rms_norm_per_block_quant_kernelIN3c104HalfENS1_15Float8_e4m3fnuzELb1ELb0ELi128EEEvPT0_PfPKT_S9_PKffiiPS7_l
; %bb.0:
	s_load_dwordx4 s[16:19], s[4:5], 0x28
	s_load_dwordx8 s[8:15], s[4:5], 0x0
	s_load_dwordx2 s[0:1], s[4:5], 0x38
	v_mov_b32_e32 v1, 0
	s_waitcnt lgkmcnt(0)
	s_ashr_i32 s2, s18, 31
	s_mul_hi_u32 s3, s18, s6
	s_mul_i32 s2, s2, s6
	s_ashr_i32 s21, s17, 31
	s_add_i32 s3, s3, s2
	s_mul_i32 s2, s18, s6
	s_mul_hi_u32 s7, s17, s6
	s_mul_i32 s18, s21, s6
	s_add_i32 s19, s7, s18
	s_lshl_b64 s[2:3], s[2:3], 1
	s_mul_i32 s18, s17, s6
	s_add_u32 s33, s12, s2
	s_addc_u32 s44, s13, s3
	s_lshl_b64 s[2:3], s[18:19], 1
	s_add_u32 s45, s0, s2
	s_addc_u32 s46, s1, s3
	s_ashr_i32 s12, s17, 2
	s_add_u32 s2, s4, 0x48
	s_mov_b32 s20, s17
	v_cmp_gt_u32_e64 s[0:1], s12, v0
	s_addc_u32 s3, s5, 0
	s_and_saveexec_b64 s[22:23], s[0:1]
	s_cbranch_execz .LBB46_10
; %bb.1:
	s_load_dword s7, s[2:3], 0x0
	v_mov_b32_e32 v3, 0
	v_mov_b32_e32 v9, s44
	;; [unrolled: 1-line block ×4, first 2 shown]
	s_waitcnt lgkmcnt(0)
	s_cmp_lt_u32 s6, s7
	s_cselect_b32 s7, 12, 18
	s_add_u32 s24, s2, s7
	s_addc_u32 s25, s3, 0
	global_load_ushort v8, v3, s[24:25]
	s_mov_b64 s[24:25], 0
	v_mov_b32_e32 v1, v3
                                        ; implicit-def: $sgpr26_sgpr27
	s_waitcnt vmcnt(0)
	v_mul_lo_u32 v11, v8, 3
	v_lshlrev_b32_e32 v12, 1, v8
	s_branch .LBB46_5
.LBB46_2:                               ;   in Loop: Header=BB46_5 Depth=1
	s_or_b64 exec, exec, s[34:35]
	s_orn2_b64 s[34:35], s[36:37], exec
.LBB46_3:                               ;   in Loop: Header=BB46_5 Depth=1
	s_or_b64 exec, exec, s[30:31]
	s_andn2_b64 s[26:27], s[26:27], exec
	s_and_b64 s[30:31], s[34:35], exec
	s_or_b64 s[26:27], s[26:27], s[30:31]
.LBB46_4:                               ;   in Loop: Header=BB46_5 Depth=1
	s_or_b64 exec, exec, s[28:29]
	s_and_b64 s[28:29], exec, s[26:27]
	s_or_b64 s[24:25], s[28:29], s[24:25]
	s_andn2_b64 exec, exec, s[24:25]
	s_cbranch_execz .LBB46_9
.LBB46_5:                               ; =>This Inner Loop Header: Depth=1
	v_lshlrev_b64 v[4:5], 3, v[2:3]
	v_add_co_u32_e32 v6, vcc, s33, v4
	v_addc_co_u32_e32 v7, vcc, v9, v5, vcc
	v_add_co_u32_e32 v4, vcc, s45, v4
	v_addc_co_u32_e32 v5, vcc, v10, v5, vcc
	global_load_dwordx2 v[6:7], v[6:7], off
	s_or_b64 s[26:27], s[26:27], exec
	global_load_dwordx2 v[4:5], v[4:5], off
	s_waitcnt vmcnt(1)
	v_cvt_f32_f16_e32 v14, v6
	v_cvt_f32_f16_sdwa v15, v6 dst_sel:DWORD dst_unused:UNUSED_PAD src0_sel:WORD_1
	s_waitcnt vmcnt(0)
	v_cvt_f32_f16_e32 v16, v4
	v_cvt_f32_f16_sdwa v17, v4 dst_sel:DWORD dst_unused:UNUSED_PAD src0_sel:WORD_1
	v_cvt_f32_f16_e32 v6, v7
	v_cvt_f32_f16_sdwa v7, v7 dst_sel:DWORD dst_unused:UNUSED_PAD src0_sel:WORD_1
	;; [unrolled: 2-line block ×3, first 2 shown]
	v_pk_add_f32 v[14:15], v[14:15], v[16:17]
	v_pk_mul_f32 v[14:15], v[14:15], v[14:15]
	v_add_f32_e32 v1, v1, v14
	v_pk_add_f32 v[6:7], v[6:7], v[18:19]
	v_pk_mul_f32 v[6:7], v[6:7], v[6:7]
	v_add_f32_e32 v1, v1, v15
	v_add_u32_e32 v4, v2, v8
	v_add_f32_e32 v1, v1, v6
	v_cmp_gt_u32_e32 vcc, s12, v4
	v_add_f32_e32 v1, v1, v7
	s_and_saveexec_b64 s[28:29], vcc
	s_cbranch_execz .LBB46_4
; %bb.6:                                ;   in Loop: Header=BB46_5 Depth=1
	v_mov_b32_e32 v5, v3
	v_lshlrev_b64 v[6:7], 3, v[4:5]
	v_add_co_u32_e32 v14, vcc, s33, v6
	v_addc_co_u32_e32 v15, vcc, v9, v7, vcc
	v_add_co_u32_e32 v6, vcc, s45, v6
	v_addc_co_u32_e32 v7, vcc, v10, v7, vcc
	global_load_dwordx2 v[14:15], v[14:15], off
	s_mov_b64 s[34:35], -1
	global_load_dwordx2 v[6:7], v[6:7], off
	s_waitcnt vmcnt(1)
	v_cvt_f32_f16_e32 v16, v14
	v_cvt_f32_f16_sdwa v17, v14 dst_sel:DWORD dst_unused:UNUSED_PAD src0_sel:WORD_1
	s_waitcnt vmcnt(0)
	v_cvt_f32_f16_e32 v18, v6
	v_cvt_f32_f16_sdwa v19, v6 dst_sel:DWORD dst_unused:UNUSED_PAD src0_sel:WORD_1
	v_cvt_f32_f16_e32 v14, v15
	v_cvt_f32_f16_sdwa v15, v15 dst_sel:DWORD dst_unused:UNUSED_PAD src0_sel:WORD_1
	v_cvt_f32_f16_e32 v20, v7
	v_cvt_f32_f16_sdwa v21, v7 dst_sel:DWORD dst_unused:UNUSED_PAD src0_sel:WORD_1
	v_pk_add_f32 v[16:17], v[16:17], v[18:19]
	v_pk_mul_f32 v[16:17], v[16:17], v[16:17]
	v_add_f32_e32 v1, v1, v16
	v_pk_add_f32 v[14:15], v[14:15], v[20:21]
	v_pk_mul_f32 v[14:15], v[14:15], v[14:15]
	v_add_f32_e32 v1, v1, v17
	v_add_u32_e32 v6, v12, v2
	v_add_f32_e32 v1, v1, v14
	v_cmp_gt_u32_e32 vcc, s12, v6
	v_add_f32_e32 v1, v1, v15
	s_and_saveexec_b64 s[30:31], vcc
	s_cbranch_execz .LBB46_3
; %bb.7:                                ;   in Loop: Header=BB46_5 Depth=1
	v_mov_b32_e32 v7, v3
	v_lshlrev_b64 v[6:7], 3, v[6:7]
	v_mov_b32_e32 v5, s44
	v_add_co_u32_e32 v14, vcc, s33, v6
	v_addc_co_u32_e32 v15, vcc, v5, v7, vcc
	v_mov_b32_e32 v5, s46
	v_add_co_u32_e32 v6, vcc, s45, v6
	v_addc_co_u32_e32 v7, vcc, v5, v7, vcc
	global_load_dwordx2 v[14:15], v[14:15], off
	v_add_u32_e32 v2, v11, v2
	global_load_dwordx2 v[6:7], v[6:7], off
	v_cmp_gt_u32_e32 vcc, s12, v2
	s_mov_b64 s[36:37], -1
	s_waitcnt vmcnt(1)
	v_cvt_f32_f16_e32 v16, v14
	v_cvt_f32_f16_sdwa v17, v14 dst_sel:DWORD dst_unused:UNUSED_PAD src0_sel:WORD_1
	s_waitcnt vmcnt(0)
	v_cvt_f32_f16_e32 v18, v6
	v_cvt_f32_f16_sdwa v19, v6 dst_sel:DWORD dst_unused:UNUSED_PAD src0_sel:WORD_1
	v_cvt_f32_f16_e32 v14, v15
	v_cvt_f32_f16_sdwa v15, v15 dst_sel:DWORD dst_unused:UNUSED_PAD src0_sel:WORD_1
	;; [unrolled: 2-line block ×3, first 2 shown]
	v_pk_add_f32 v[16:17], v[16:17], v[18:19]
	v_pk_add_f32 v[6:7], v[14:15], v[6:7]
	v_pk_mul_f32 v[14:15], v[16:17], v[16:17]
	v_add_f32_e32 v1, v1, v14
	v_pk_mul_f32 v[6:7], v[6:7], v[6:7]
	v_add_f32_e32 v1, v1, v15
	v_add_f32_e32 v1, v1, v6
	;; [unrolled: 1-line block ×3, first 2 shown]
	s_and_saveexec_b64 s[34:35], vcc
	s_xor_b64 s[34:35], exec, s[34:35]
	s_cbranch_execz .LBB46_2
; %bb.8:                                ;   in Loop: Header=BB46_5 Depth=1
	v_lshlrev_b64 v[6:7], 3, v[2:3]
	v_mov_b32_e32 v2, s44
	v_add_co_u32_e32 v14, vcc, s33, v6
	v_addc_co_u32_e32 v15, vcc, v2, v7, vcc
	v_mov_b32_e32 v2, s46
	v_add_co_u32_e32 v6, vcc, s45, v6
	v_addc_co_u32_e32 v7, vcc, v2, v7, vcc
	global_load_dwordx2 v[14:15], v[14:15], off
	v_add_u32_e32 v2, v8, v8
	global_load_dwordx2 v[6:7], v[6:7], off
	v_add_u32_e32 v2, v2, v8
	v_add_u32_e32 v2, v2, v4
	v_cmp_le_u32_e32 vcc, s12, v2
	s_orn2_b64 s[36:37], vcc, exec
	s_waitcnt vmcnt(1)
	v_cvt_f32_f16_e32 v16, v14
	v_cvt_f32_f16_sdwa v17, v14 dst_sel:DWORD dst_unused:UNUSED_PAD src0_sel:WORD_1
	s_waitcnt vmcnt(0)
	v_cvt_f32_f16_e32 v18, v6
	v_cvt_f32_f16_sdwa v19, v6 dst_sel:DWORD dst_unused:UNUSED_PAD src0_sel:WORD_1
	v_cvt_f32_f16_e32 v14, v15
	v_cvt_f32_f16_sdwa v15, v15 dst_sel:DWORD dst_unused:UNUSED_PAD src0_sel:WORD_1
	;; [unrolled: 2-line block ×3, first 2 shown]
	v_pk_add_f32 v[4:5], v[16:17], v[18:19]
	v_pk_mul_f32 v[4:5], v[4:5], v[4:5]
	v_add_f32_e32 v1, v1, v4
	v_pk_add_f32 v[6:7], v[14:15], v[6:7]
	v_pk_mul_f32 v[6:7], v[6:7], v[6:7]
	v_add_f32_e32 v1, v1, v5
	v_add_f32_e32 v1, v1, v6
	v_add_f32_e32 v1, v1, v7
	s_branch .LBB46_2
.LBB46_9:
	s_or_b64 exec, exec, s[24:25]
.LBB46_10:
	s_or_b64 exec, exec, s[22:23]
	v_mbcnt_lo_u32_b32 v2, -1, 0
	v_mbcnt_hi_u32_b32 v2, -1, v2
	v_and_b32_e32 v3, 63, v2
	v_cmp_ne_u32_e32 vcc, 63, v3
	s_load_dword s2, s[2:3], 0xc
	v_addc_co_u32_e32 v4, vcc, 0, v2, vcc
	v_lshlrev_b32_e32 v4, 2, v4
	ds_bpermute_b32 v4, v4, v1
	s_waitcnt lgkmcnt(0)
	s_and_b32 s47, s2, 0xffff
	v_and_b32_e32 v5, 0x3c0, v0
	v_sub_u32_e64 v5, s47, v5 clamp
	v_add_u32_e32 v6, 1, v2
	v_add_f32_e32 v4, v1, v4
	v_cmp_lt_u32_e32 vcc, v6, v5
	v_cndmask_b32_e32 v1, v1, v4, vcc
	v_cmp_gt_u32_e32 vcc, 62, v3
	v_cndmask_b32_e64 v4, 0, 1, vcc
	v_lshlrev_b32_e32 v4, 1, v4
	v_add_lshl_u32 v4, v4, v2, 2
	ds_bpermute_b32 v4, v4, v1
	v_add_u32_e32 v6, 2, v2
	v_cmp_lt_u32_e32 vcc, v6, v5
	v_add_u32_e32 v6, 4, v2
	s_waitcnt lgkmcnt(0)
	v_add_f32_e32 v4, v1, v4
	v_cndmask_b32_e32 v1, v1, v4, vcc
	v_cmp_gt_u32_e32 vcc, 60, v3
	v_cndmask_b32_e64 v4, 0, 1, vcc
	v_lshlrev_b32_e32 v4, 2, v4
	v_add_lshl_u32 v4, v4, v2, 2
	ds_bpermute_b32 v4, v4, v1
	v_cmp_lt_u32_e32 vcc, v6, v5
	v_add_u32_e32 v6, 8, v2
	s_waitcnt lgkmcnt(0)
	v_add_f32_e32 v4, v1, v4
	v_cndmask_b32_e32 v1, v1, v4, vcc
	v_cmp_gt_u32_e32 vcc, 56, v3
	v_cndmask_b32_e64 v4, 0, 1, vcc
	v_lshlrev_b32_e32 v4, 3, v4
	v_add_lshl_u32 v4, v4, v2, 2
	ds_bpermute_b32 v4, v4, v1
	;; [unrolled: 10-line block ×3, first 2 shown]
	v_cmp_lt_u32_e32 vcc, v6, v5
	s_waitcnt lgkmcnt(0)
	v_add_f32_e32 v4, v1, v4
	v_cndmask_b32_e32 v1, v1, v4, vcc
	v_cmp_gt_u32_e32 vcc, 32, v3
	v_cndmask_b32_e64 v3, 0, 1, vcc
	v_lshlrev_b32_e32 v3, 5, v3
	v_add_lshl_u32 v3, v3, v2, 2
	ds_bpermute_b32 v3, v3, v1
	v_add_u32_e32 v4, 32, v2
	v_cmp_lt_u32_e32 vcc, v4, v5
	s_waitcnt lgkmcnt(0)
	v_add_f32_e32 v3, v1, v3
	v_cndmask_b32_e32 v1, v1, v3, vcc
	v_cmp_eq_u32_e32 vcc, 0, v2
	s_and_saveexec_b64 s[2:3], vcc
	s_cbranch_execz .LBB46_12
; %bb.11:
	v_lshrrev_b32_e32 v3, 4, v0
	v_and_b32_e32 v3, 60, v3
	ds_write_b32 v3, v1 offset:4096
.LBB46_12:
	s_or_b64 exec, exec, s[2:3]
	v_cmp_gt_u32_e32 vcc, 16, v0
	s_waitcnt lgkmcnt(0)
	s_barrier
	s_and_saveexec_b64 s[22:23], vcc
	s_cbranch_execz .LBB46_14
; %bb.13:
	v_lshlrev_b32_e32 v1, 2, v2
	ds_read_b32 v1, v1 offset:4096
	v_and_b32_e32 v3, 15, v2
	v_cmp_ne_u32_e32 vcc, 15, v3
	v_addc_co_u32_e32 v4, vcc, 0, v2, vcc
	v_lshlrev_b32_e32 v4, 2, v4
	s_waitcnt lgkmcnt(0)
	ds_bpermute_b32 v4, v4, v1
	s_add_i32 s2, s47, 63
	s_lshr_b32 s7, s2, 6
	v_add_u32_e32 v5, 1, v3
	v_cmp_gt_u32_e64 s[2:3], 14, v3
	v_cmp_gt_u32_e32 vcc, s7, v5
	v_cndmask_b32_e64 v5, 0, 1, s[2:3]
	s_waitcnt lgkmcnt(0)
	v_add_f32_e32 v4, v1, v4
	v_lshlrev_b32_e32 v5, 1, v5
	v_cndmask_b32_e32 v4, v1, v4, vcc
	v_add_lshl_u32 v5, v5, v2, 2
	ds_bpermute_b32 v5, v5, v4
	v_add_u32_e32 v6, 2, v3
	v_cmp_gt_u32_e64 s[2:3], s7, v6
	v_add_u32_e32 v6, 4, v3
	s_waitcnt lgkmcnt(0)
	v_add_f32_e32 v5, v4, v5
	v_cndmask_b32_e64 v4, v4, v5, s[2:3]
	v_cmp_gt_u32_e64 s[2:3], 12, v3
	v_cndmask_b32_e64 v5, 0, 1, s[2:3]
	v_lshlrev_b32_e32 v5, 2, v5
	v_add_lshl_u32 v5, v5, v2, 2
	ds_bpermute_b32 v5, v5, v4
	v_cmp_gt_u32_e64 s[2:3], s7, v6
	s_waitcnt lgkmcnt(0)
	v_add_f32_e32 v5, v4, v5
	v_cndmask_b32_e64 v4, v4, v5, s[2:3]
	v_cmp_gt_u32_e64 s[2:3], 8, v3
	v_cndmask_b32_e64 v5, 0, 1, s[2:3]
	v_lshlrev_b32_e32 v5, 3, v5
	v_add_lshl_u32 v2, v5, v2, 2
	ds_bpermute_b32 v2, v2, v4
	v_add_u32_e32 v3, 8, v3
	v_cmp_gt_u32_e64 s[2:3], s7, v3
	s_waitcnt lgkmcnt(0)
	v_add_f32_e32 v2, v4, v2
	v_cndmask_b32_e64 v2, v4, v2, s[2:3]
	v_cndmask_b32_e32 v1, v1, v2, vcc
.LBB46_14:
	s_or_b64 exec, exec, s[22:23]
	v_cmp_eq_u32_e32 vcc, 0, v0
	s_and_saveexec_b64 s[2:3], vcc
	s_cbranch_execz .LBB46_16
; %bb.15:
	v_cvt_f32_i32_e32 v2, s20
	s_mov_b32 s7, 0x800000
	v_div_scale_f32 v3, s[22:23], v2, v2, v1
	v_rcp_f32_e32 v4, v3
	v_div_scale_f32 v5, vcc, v1, v2, v1
	v_fma_f32 v6, -v3, v4, 1.0
	v_fmac_f32_e32 v4, v6, v4
	v_mul_f32_e32 v6, v5, v4
	v_fma_f32 v7, -v3, v6, v5
	v_fmac_f32_e32 v6, v7, v4
	v_fma_f32 v3, -v3, v6, v5
	v_div_fmas_f32 v3, v3, v4, v6
	v_div_fixup_f32 v1, v3, v2, v1
	v_add_f32_e32 v1, s16, v1
	v_mul_f32_e32 v2, 0x4b800000, v1
	v_cmp_gt_f32_e32 vcc, s7, v1
	v_cndmask_b32_e32 v1, v1, v2, vcc
	v_rsq_f32_e32 v1, v1
	v_mul_f32_e32 v2, 0x45800000, v1
	v_cndmask_b32_e32 v1, v1, v2, vcc
	v_mov_b32_e32 v2, 0
	ds_write_b32 v2, v1 offset:4160
.LBB46_16:
	s_or_b64 exec, exec, s[2:3]
	s_ashr_i32 s2, s20, 31
	s_lshr_b32 s2, s2, 25
	s_add_i32 s2, s20, s2
	s_ashr_i32 s16, s2, 7
	s_abs_i32 s3, s16
	v_cvt_f32_u32_e32 v1, s3
	s_sub_i32 s7, 0, s3
	s_ashr_i32 s2, s2, 31
	v_mov_b32_e32 v5, 0
	v_rcp_iflag_f32_e32 v1, v1
	s_waitcnt lgkmcnt(0)
	s_barrier
	v_mul_f32_e32 v1, 0x4f7ffffe, v1
	v_cvt_u32_f32_e32 v1, v1
	ds_read_b32 v36, v5 offset:4160
	v_readfirstlane_b32 s13, v1
	s_mul_i32 s7, s7, s13
	s_mul_hi_u32 s7, s13, s7
	s_add_i32 s13, s13, s7
	s_mul_hi_u32 s7, s47, s13
	s_mul_i32 s13, s7, s3
	s_sub_i32 s13, s47, s13
	s_add_i32 s17, s7, 1
	s_sub_i32 s22, s13, s3
	s_cmp_ge_u32 s13, s3
	s_cselect_b32 s7, s17, s7
	s_cselect_b32 s13, s22, s13
	s_add_i32 s17, s7, 1
	s_cmp_ge_u32 s13, s3
	s_cselect_b32 s3, s17, s7
	s_xor_b32 s3, s3, s2
	s_sub_i32 s2, s3, s2
	s_abs_i32 s7, s2
	v_cvt_f32_u32_e32 v1, s7
	s_sub_i32 s13, 0, s7
	s_ashr_i32 s3, s2, 31
	v_rcp_iflag_f32_e32 v1, v1
	v_mul_f32_e32 v1, 0x4f7ffffe, v1
	v_cvt_u32_f32_e32 v1, v1
	v_mul_lo_u32 v2, s13, v1
	v_mul_hi_u32 v2, v1, v2
	v_add_u32_e32 v1, v1, v2
	v_mul_hi_u32 v1, v0, v1
	v_mul_lo_u32 v2, v1, s7
	v_sub_u32_e32 v2, v0, v2
	v_add_u32_e32 v3, 1, v1
	v_cmp_le_u32_e32 vcc, s7, v2
	v_cndmask_b32_e32 v1, v1, v3, vcc
	v_subrev_u32_e32 v3, s7, v2
	v_cndmask_b32_e32 v2, v2, v3, vcc
	v_add_u32_e32 v3, 1, v1
	v_cmp_le_u32_e32 vcc, s7, v2
	v_cndmask_b32_e32 v1, v1, v3, vcc
	v_xor_b32_e32 v1, s3, v1
	v_subrev_u32_e32 v2, s3, v1
	v_mul_lo_u32 v1, v2, s2
	v_ashrrev_i32_e32 v3, 31, v2
	v_sub_u32_e32 v4, v0, v1
	v_lshlrev_b64 v[8:9], 5, v[2:3]
	v_add_co_u32_e32 v6, vcc, v8, v4
	v_addc_co_u32_e32 v7, vcc, 0, v9, vcc
	v_add_co_u32_e32 v8, vcc, 32, v8
	v_addc_co_u32_e32 v9, vcc, 0, v9, vcc
	s_ashr_i32 s13, s12, 31
	v_mov_b32_e32 v1, s13
	v_cmp_gt_i64_e32 vcc, s[12:13], v[8:9]
	v_cndmask_b32_e32 v9, v1, v9, vcc
	v_mov_b32_e32 v1, s12
	v_cndmask_b32_e32 v8, v1, v8, vcc
	v_ashrrev_i32_e32 v11, 31, v8
	v_mov_b32_e32 v10, v8
	v_cmp_lt_i64_e32 vcc, v[6:7], v[10:11]
	s_and_saveexec_b64 s[22:23], vcc
	s_cbranch_execz .LBB46_26
; %bb.17:
	v_lshlrev_b64 v[12:13], 8, v[2:3]
	v_lshlrev_b64 v[14:15], 3, v[4:5]
	v_add_co_u32_e32 v12, vcc, v12, v14
	v_addc_co_u32_e32 v1, vcc, v13, v15, vcc
	s_lshl_b64 s[24:25], s[2:3], 5
	s_mul_hi_i32 s7, s2, 3
	s_mul_i32 s13, s2, 3
	s_lshl_b64 s[26:27], s[2:3], 1
	s_lshl_b64 s[30:31], s[2:3], 3
	s_mov_b64 s[28:29], 0
	v_mov_b32_e32 v5, 0
	v_mov_b32_e32 v13, s44
	;; [unrolled: 1-line block ×5, first 2 shown]
	v_pk_mov_b32 v[14:15], v[6:7], v[6:7] op_sel:[0,1]
                                        ; implicit-def: $sgpr34_sgpr35
	s_branch .LBB46_21
.LBB46_18:                              ;   in Loop: Header=BB46_21 Depth=1
	s_or_b64 exec, exec, s[40:41]
	s_orn2_b64 s[40:41], s[42:43], exec
.LBB46_19:                              ;   in Loop: Header=BB46_21 Depth=1
	s_or_b64 exec, exec, s[38:39]
	s_andn2_b64 s[34:35], s[34:35], exec
	s_and_b64 s[38:39], s[40:41], exec
	s_or_b64 s[34:35], s[34:35], s[38:39]
.LBB46_20:                              ;   in Loop: Header=BB46_21 Depth=1
	s_or_b64 exec, exec, s[36:37]
	s_and_b64 s[36:37], exec, s[34:35]
	s_or_b64 s[28:29], s[36:37], s[28:29]
	s_andn2_b64 exec, exec, s[28:29]
	s_cbranch_execz .LBB46_25
.LBB46_21:                              ; =>This Inner Loop Header: Depth=1
	v_add_co_u32_e32 v18, vcc, s33, v12
	v_addc_co_u32_e32 v19, vcc, v13, v1, vcc
	v_add_co_u32_e32 v22, vcc, s45, v12
	v_addc_co_u32_e32 v23, vcc, v25, v1, vcc
	global_load_dwordx2 v[16:17], v[18:19], off
	global_load_dwordx2 v[28:29], v[22:23], off
	v_add_co_u32_e32 v20, vcc, s14, v12
	v_addc_co_u32_e32 v21, vcc, v24, v1, vcc
	global_load_dwordx2 v[30:31], v[20:21], off
	s_or_b64 s[34:35], s[34:35], exec
	s_waitcnt vmcnt(2)
	v_cvt_f32_f16_e32 v27, v16
	v_cvt_f32_f16_sdwa v16, v16 dst_sel:DWORD dst_unused:UNUSED_PAD src0_sel:WORD_1
	s_waitcnt vmcnt(1)
	v_cvt_f32_f16_e32 v33, v28
	v_cvt_f32_f16_sdwa v28, v28 dst_sel:DWORD dst_unused:UNUSED_PAD src0_sel:WORD_1
	v_cvt_f32_f16_e32 v32, v17
	v_cvt_f32_f16_sdwa v17, v17 dst_sel:DWORD dst_unused:UNUSED_PAD src0_sel:WORD_1
	;; [unrolled: 2-line block ×3, first 2 shown]
	v_add_f32_e32 v27, v27, v33
	v_add_f32_e32 v16, v16, v28
	;; [unrolled: 1-line block ×4, first 2 shown]
	s_waitcnt lgkmcnt(0)
	v_fma_mixlo_f16 v27, v36, v27, 0
	v_fma_mixlo_f16 v16, v36, v16, 0
	;; [unrolled: 1-line block ×4, first 2 shown]
	s_waitcnt vmcnt(0)
	v_mul_f16_e32 v27, v30, v27
	v_mul_f16_sdwa v16, v30, v16 dst_sel:DWORD dst_unused:UNUSED_PAD src0_sel:WORD_1 src1_sel:DWORD
	v_mul_f16_e32 v28, v31, v28
	v_mul_f16_sdwa v17, v31, v17 dst_sel:DWORD dst_unused:UNUSED_PAD src0_sel:WORD_1 src1_sel:DWORD
	v_cvt_f32_f16_e64 v27, |v27|
	v_cvt_f32_f16_e64 v29, |v16|
	v_cvt_f32_f16_e64 v28, |v28|
	v_cvt_f32_f16_e64 v30, |v17|
	v_add_co_u32_e32 v16, vcc, s2, v14
	v_addc_co_u32_e32 v17, vcc, v15, v26, vcc
	v_max3_f32 v5, v5, v27, v29
	v_cmp_lt_i64_e32 vcc, v[16:17], v[10:11]
	v_max3_f32 v5, v5, v28, v30
	s_and_saveexec_b64 s[36:37], vcc
	s_cbranch_execz .LBB46_20
; %bb.22:                               ;   in Loop: Header=BB46_21 Depth=1
	v_mov_b32_e32 v27, s31
	v_add_co_u32_e32 v18, vcc, s30, v18
	v_addc_co_u32_e32 v19, vcc, v19, v27, vcc
	v_add_co_u32_e32 v22, vcc, s30, v22
	v_addc_co_u32_e32 v23, vcc, v23, v27, vcc
	global_load_dwordx2 v[28:29], v[18:19], off
	global_load_dwordx2 v[30:31], v[22:23], off
	v_add_co_u32_e32 v20, vcc, s30, v20
	v_addc_co_u32_e32 v21, vcc, v21, v27, vcc
	global_load_dwordx2 v[32:33], v[20:21], off
	v_mov_b32_e32 v27, s27
	s_mov_b64 s[40:41], -1
	s_waitcnt vmcnt(2)
	v_cvt_f32_f16_e32 v34, v28
	v_cvt_f32_f16_sdwa v28, v28 dst_sel:DWORD dst_unused:UNUSED_PAD src0_sel:WORD_1
	s_waitcnt vmcnt(1)
	v_cvt_f32_f16_e32 v37, v30
	v_cvt_f32_f16_sdwa v30, v30 dst_sel:DWORD dst_unused:UNUSED_PAD src0_sel:WORD_1
	v_cvt_f32_f16_e32 v35, v29
	v_cvt_f32_f16_sdwa v29, v29 dst_sel:DWORD dst_unused:UNUSED_PAD src0_sel:WORD_1
	;; [unrolled: 2-line block ×3, first 2 shown]
	v_add_f32_e32 v34, v34, v37
	v_add_f32_e32 v28, v28, v30
	;; [unrolled: 1-line block ×4, first 2 shown]
	v_fma_mixlo_f16 v31, v36, v34, 0
	v_fma_mixlo_f16 v28, v36, v28, 0
	;; [unrolled: 1-line block ×4, first 2 shown]
	s_waitcnt vmcnt(0)
	v_mul_f16_e32 v31, v32, v31
	v_mul_f16_sdwa v28, v32, v28 dst_sel:DWORD dst_unused:UNUSED_PAD src0_sel:WORD_1 src1_sel:DWORD
	v_mul_f16_e32 v30, v33, v30
	v_mul_f16_sdwa v29, v33, v29 dst_sel:DWORD dst_unused:UNUSED_PAD src0_sel:WORD_1 src1_sel:DWORD
	v_cvt_f32_f16_e64 v31, |v31|
	v_cvt_f32_f16_e64 v32, |v28|
	;; [unrolled: 1-line block ×4, first 2 shown]
	v_add_co_u32_e32 v28, vcc, s26, v14
	v_addc_co_u32_e32 v29, vcc, v27, v15, vcc
	v_max3_f32 v5, v5, v31, v32
	v_cmp_lt_i64_e32 vcc, v[28:29], v[10:11]
	v_max3_f32 v5, v5, v30, v33
	s_and_saveexec_b64 s[38:39], vcc
	s_cbranch_execz .LBB46_19
; %bb.23:                               ;   in Loop: Header=BB46_21 Depth=1
	v_mov_b32_e32 v27, s31
	v_add_co_u32_e32 v18, vcc, s30, v18
	v_addc_co_u32_e32 v19, vcc, v19, v27, vcc
	v_add_co_u32_e32 v22, vcc, s30, v22
	v_addc_co_u32_e32 v23, vcc, v23, v27, vcc
	global_load_dwordx2 v[28:29], v[18:19], off
	global_load_dwordx2 v[30:31], v[22:23], off
	v_add_co_u32_e32 v20, vcc, s30, v20
	v_addc_co_u32_e32 v21, vcc, v21, v27, vcc
	global_load_dwordx2 v[32:33], v[20:21], off
	v_mov_b32_e32 v27, s7
	v_add_co_u32_e32 v14, vcc, s13, v14
	v_addc_co_u32_e32 v15, vcc, v27, v15, vcc
	v_cmp_lt_i64_e32 vcc, v[14:15], v[10:11]
	s_mov_b64 s[42:43], -1
                                        ; implicit-def: $vgpr14_vgpr15
	s_waitcnt vmcnt(2)
	v_cvt_f32_f16_e32 v34, v28
	v_cvt_f32_f16_sdwa v28, v28 dst_sel:DWORD dst_unused:UNUSED_PAD src0_sel:WORD_1
	s_waitcnt vmcnt(1)
	v_cvt_f32_f16_e32 v37, v30
	v_cvt_f32_f16_sdwa v30, v30 dst_sel:DWORD dst_unused:UNUSED_PAD src0_sel:WORD_1
	v_cvt_f32_f16_e32 v35, v29
	v_cvt_f32_f16_sdwa v29, v29 dst_sel:DWORD dst_unused:UNUSED_PAD src0_sel:WORD_1
	;; [unrolled: 2-line block ×3, first 2 shown]
	v_add_f32_e32 v34, v34, v37
	v_add_f32_e32 v28, v28, v30
	;; [unrolled: 1-line block ×4, first 2 shown]
	v_fma_mixlo_f16 v31, v36, v34, 0
	v_fma_mixlo_f16 v28, v36, v28, 0
	v_fma_mixlo_f16 v30, v36, v30, 0
	v_fma_mixlo_f16 v29, v36, v29, 0
	s_waitcnt vmcnt(0)
	v_mul_f16_e32 v31, v32, v31
	v_mul_f16_sdwa v28, v32, v28 dst_sel:DWORD dst_unused:UNUSED_PAD src0_sel:WORD_1 src1_sel:DWORD
	v_mul_f16_e32 v30, v33, v30
	v_mul_f16_sdwa v29, v33, v29 dst_sel:DWORD dst_unused:UNUSED_PAD src0_sel:WORD_1 src1_sel:DWORD
	v_cvt_f32_f16_e64 v31, |v31|
	v_cvt_f32_f16_e64 v28, |v28|
	v_cvt_f32_f16_e64 v30, |v30|
	v_cvt_f32_f16_e64 v29, |v29|
	v_max3_f32 v5, v5, v31, v28
	v_max3_f32 v5, v5, v30, v29
	s_and_saveexec_b64 s[40:41], vcc
	s_xor_b64 s[40:41], exec, s[40:41]
	s_cbranch_execz .LBB46_18
; %bb.24:                               ;   in Loop: Header=BB46_21 Depth=1
	v_mov_b32_e32 v27, s31
	v_add_co_u32_e32 v14, vcc, s30, v18
	v_addc_co_u32_e32 v15, vcc, v19, v27, vcc
	v_add_co_u32_e32 v18, vcc, s30, v22
	v_addc_co_u32_e32 v19, vcc, v23, v27, vcc
	global_load_dwordx2 v[14:15], v[14:15], off
	v_add_co_u32_e32 v20, vcc, s30, v20
	global_load_dwordx2 v[18:19], v[18:19], off
	v_addc_co_u32_e32 v21, vcc, v21, v27, vcc
	global_load_dwordx2 v[20:21], v[20:21], off
	s_add_u32 s17, s2, s2
	s_addc_u32 s42, s3, s3
	v_mov_b32_e32 v22, s25
	v_add_co_u32_e32 v12, vcc, s24, v12
	s_add_u32 s17, s17, s2
	v_addc_co_u32_e32 v1, vcc, v1, v22, vcc
	s_addc_u32 s42, s42, s3
	v_mov_b32_e32 v22, s42
	s_waitcnt vmcnt(2)
	v_cvt_f32_f16_e32 v23, v14
	v_cvt_f32_f16_sdwa v14, v14 dst_sel:DWORD dst_unused:UNUSED_PAD src0_sel:WORD_1
	v_cvt_f32_f16_e32 v27, v15
	s_waitcnt vmcnt(1)
	v_cvt_f32_f16_e32 v28, v18
	v_cvt_f32_f16_sdwa v18, v18 dst_sel:DWORD dst_unused:UNUSED_PAD src0_sel:WORD_1
	v_cvt_f32_f16_sdwa v15, v15 dst_sel:DWORD dst_unused:UNUSED_PAD src0_sel:WORD_1
	v_cvt_f32_f16_e32 v29, v19
	v_cvt_f32_f16_sdwa v19, v19 dst_sel:DWORD dst_unused:UNUSED_PAD src0_sel:WORD_1
	v_add_f32_e32 v23, v23, v28
	v_add_f32_e32 v14, v14, v18
	;; [unrolled: 1-line block ×4, first 2 shown]
	v_fma_mixlo_f16 v19, v36, v23, 0
	v_fma_mixlo_f16 v14, v36, v14, 0
	;; [unrolled: 1-line block ×4, first 2 shown]
	s_waitcnt vmcnt(0)
	v_mul_f16_e32 v19, v20, v19
	v_mul_f16_sdwa v14, v20, v14 dst_sel:DWORD dst_unused:UNUSED_PAD src0_sel:WORD_1 src1_sel:DWORD
	v_mul_f16_e32 v18, v21, v18
	v_mul_f16_sdwa v15, v21, v15 dst_sel:DWORD dst_unused:UNUSED_PAD src0_sel:WORD_1 src1_sel:DWORD
	v_cvt_f32_f16_e64 v19, |v19|
	v_cvt_f32_f16_e64 v20, |v14|
	;; [unrolled: 1-line block ×4, first 2 shown]
	v_add_co_u32_e32 v14, vcc, s17, v16
	v_addc_co_u32_e32 v15, vcc, v22, v17, vcc
	v_cmp_ge_i64_e32 vcc, v[14:15], v[10:11]
	v_max3_f32 v5, v5, v19, v20
	v_max3_f32 v5, v5, v18, v21
	s_orn2_b64 s[42:43], vcc, exec
	s_branch .LBB46_18
.LBB46_25:
	s_or_b64 exec, exec, s[28:29]
.LBB46_26:
	s_or_b64 exec, exec, s[22:23]
	s_lshr_b32 s7, s47, 6
	v_cvt_f32_u32_e32 v10, s7
	v_lshlrev_b32_e32 v1, 2, v0
	ds_write_b32 v1, v5
	s_sub_i32 s23, 0, s7
	v_rcp_iflag_f32_e32 v5, v10
	s_add_i32 s13, s16, s7
	s_add_i32 s13, s13, -1
	s_ashr_i32 s22, s13, 31
	v_mul_f32_e32 v5, 0x4f7ffffe, v5
	v_cvt_u32_f32_e32 v5, v5
	s_abs_i32 s13, s13
	s_ashr_i32 s17, s16, 31
	s_waitcnt lgkmcnt(0)
	v_readfirstlane_b32 s24, v5
	s_mul_i32 s23, s23, s24
	s_mul_hi_u32 s23, s24, s23
	s_add_i32 s24, s24, s23
	s_mul_hi_u32 s23, s13, s24
	s_mul_i32 s24, s23, s7
	s_sub_i32 s13, s13, s24
	s_add_i32 s24, s23, 1
	s_sub_i32 s25, s13, s7
	s_cmp_ge_u32 s13, s7
	s_cselect_b32 s23, s24, s23
	s_cselect_b32 s13, s25, s13
	s_add_i32 s24, s23, 1
	s_cmp_ge_u32 s13, s7
	s_cselect_b32 s13, s24, s23
	s_xor_b32 s13, s13, s22
	s_sub_i32 s22, s13, s22
	s_ashr_i32 s23, s22, 31
	v_cmp_lt_i64_e64 s[24:25], s[22:23], 1
	s_and_b64 vcc, exec, s[24:25]
	s_barrier
	s_cbranch_vccnz .LBB46_48
; %bb.27:
	v_and_b32_e32 v12, 63, v0
	v_add_co_u32_e32 v14, vcc, 32, v12
	v_addc_co_u32_e64 v15, s[24:25], 0, 0, vcc
	v_add_co_u32_e32 v16, vcc, 16, v12
	v_addc_co_u32_e64 v17, s[24:25], 0, 0, vcc
	v_add_co_u32_e32 v18, vcc, 8, v12
	v_lshrrev_b32_e32 v10, 6, v0
	v_addc_co_u32_e64 v19, s[24:25], 0, 0, vcc
	v_add_co_u32_e32 v20, vcc, 4, v12
	v_addc_co_u32_e64 v21, s[24:25], 0, 0, vcc
	v_add_co_u32_e32 v22, vcc, 2, v12
	v_mul_lo_u32 v5, s2, v10
	v_addc_co_u32_e64 v23, s[24:25], 0, 0, vcc
	v_add_co_u32_e32 v24, vcc, 1, v12
	v_lshlrev_b32_e32 v5, 2, v5
	v_lshlrev_b32_e32 v26, 2, v12
	s_movk_i32 s13, 0x100
	v_mov_b32_e32 v11, 0
	v_addc_co_u32_e64 v25, s[24:25], 0, 0, vcc
	v_add3_u32 v5, v5, v26, s13
	s_mul_i32 s13, s2, s7
	v_mov_b32_e32 v13, v11
	s_lshl_b32 s13, s13, 2
	s_mov_b64 s[24:25], 0
	v_mov_b32_e32 v37, s7
	s_mov_b64 s[26:27], src_shared_base
	s_branch .LBB46_30
.LBB46_28:                              ;   in Loop: Header=BB46_30 Depth=1
	s_or_b64 exec, exec, s[30:31]
	v_mov_b32_e32 v27, s27
	flat_load_dword v26, v[26:27] glc
	s_waitcnt vmcnt(0)
.LBB46_29:                              ;   in Loop: Header=BB46_30 Depth=1
	s_or_b64 exec, exec, s[28:29]
	s_add_u32 s24, s24, 1
	s_addc_u32 s25, s25, 0
	s_cmp_eq_u64 s[24:25], s[22:23]
	v_add_u32_e32 v5, s13, v5
	s_cbranch_scc1 .LBB46_48
.LBB46_30:                              ; =>This Loop Header: Depth=1
                                        ;     Child Loop BB46_33 Depth 2
	v_mad_u64_u32 v[30:31], s[28:29], s24, v37, v[10:11]
	s_mul_i32 s26, s25, s7
	v_add_u32_e32 v31, s26, v31
	v_cmp_gt_i64_e32 vcc, s[16:17], v[30:31]
	s_and_saveexec_b64 s[28:29], vcc
	s_cbranch_execz .LBB46_29
; %bb.31:                               ;   in Loop: Header=BB46_30 Depth=1
	v_pk_mov_b32 v[32:33], s[2:3], s[2:3] op_sel:[0,1]
	v_mul_lo_u32 v29, v31, s2
	v_mul_lo_u32 v38, v30, s3
	v_mad_u64_u32 v[32:33], s[30:31], v30, s2, v[32:33]
	v_add3_u32 v33, v29, v33, v38
	v_mov_b32_e32 v28, s21
	v_cmp_gt_i64_e32 vcc, s[20:21], v[32:33]
	s_waitcnt lgkmcnt(0)
	v_mad_u64_u32 v[26:27], s[30:31], v30, s2, v[12:13]
	v_cndmask_b32_e32 v33, v28, v33, vcc
	v_mov_b32_e32 v28, s20
	v_add3_u32 v27, v29, v27, v38
	v_cndmask_b32_e32 v32, v28, v32, vcc
	v_add_co_u32_e32 v34, vcc, 64, v26
	v_addc_co_u32_e32 v35, vcc, 0, v27, vcc
	v_cmp_lt_i64_e32 vcc, v[34:35], v[32:33]
	v_lshlrev_b32_e32 v28, 2, v26
	s_and_saveexec_b64 s[30:31], vcc
	s_cbranch_execz .LBB46_34
; %bb.32:                               ;   in Loop: Header=BB46_30 Depth=1
	ds_read_b32 v31, v28
	s_mov_b64 s[34:35], 0
	v_mov_b32_e32 v27, v5
.LBB46_33:                              ;   Parent Loop BB46_30 Depth=1
                                        ; =>  This Inner Loop Header: Depth=2
	ds_read_b32 v39, v27
	v_add_co_u32_e32 v34, vcc, 64, v34
	v_addc_co_u32_e32 v35, vcc, 0, v35, vcc
	s_waitcnt lgkmcnt(1)
	v_max_f32_e32 v31, v31, v31
	v_cmp_ge_i64_e32 vcc, v[34:35], v[32:33]
	s_waitcnt lgkmcnt(0)
	v_max_f32_e32 v39, v39, v39
	v_add_u32_e32 v27, 0x100, v27
	s_or_b64 s[34:35], vcc, s[34:35]
	v_max_f32_e32 v31, v31, v39
	ds_write_b32 v28, v31
	s_andn2_b64 exec, exec, s[34:35]
	s_cbranch_execnz .LBB46_33
.LBB46_34:                              ;   in Loop: Header=BB46_30 Depth=1
	s_or_b64 exec, exec, s[30:31]
	v_mad_u64_u32 v[30:31], s[30:31], v30, s2, 0
	v_add3_u32 v27, v31, v38, v29
	v_sub_co_u32_e32 v30, vcc, v32, v30
	v_subb_co_u32_e32 v31, vcc, v33, v27, vcc
	v_cmp_gt_i64_e32 vcc, 64, v[30:31]
	v_cndmask_b32_e32 v31, 0, v31, vcc
	v_cndmask_b32_e32 v30, 64, v30, vcc
	v_cmp_lt_i64_e32 vcc, v[14:15], v[30:31]
	s_and_saveexec_b64 s[30:31], vcc
	s_cbranch_execnz .LBB46_46
; %bb.35:                               ;   in Loop: Header=BB46_30 Depth=1
	s_or_b64 exec, exec, s[30:31]
	v_cmp_lt_i64_e32 vcc, v[16:17], v[30:31]
	s_and_saveexec_b64 s[30:31], vcc
	s_cbranch_execnz .LBB46_47
.LBB46_36:                              ;   in Loop: Header=BB46_30 Depth=1
	s_or_b64 exec, exec, s[30:31]
	v_cmp_lt_i64_e32 vcc, v[18:19], v[30:31]
	s_and_saveexec_b64 s[30:31], vcc
	s_cbranch_execz .LBB46_38
.LBB46_37:                              ;   in Loop: Header=BB46_30 Depth=1
	v_mov_b32_e32 v29, s27
	v_add_u32_e32 v32, 32, v28
	v_mov_b32_e32 v33, s27
	flat_load_dword v27, v[28:29] glc
	s_waitcnt vmcnt(0)
	flat_load_dword v34, v[32:33] glc
	s_waitcnt vmcnt(0) lgkmcnt(0)
	v_max_f32_e32 v27, v27, v27
	v_max_f32_e32 v32, v34, v34
	;; [unrolled: 1-line block ×3, first 2 shown]
	flat_store_dword v[28:29], v27
	s_waitcnt vmcnt(0)
.LBB46_38:                              ;   in Loop: Header=BB46_30 Depth=1
	s_or_b64 exec, exec, s[30:31]
	v_cmp_ge_i64_e32 vcc, v[20:21], v[30:31]
	s_and_saveexec_b64 s[30:31], vcc
	s_xor_b64 s[30:31], exec, s[30:31]
; %bb.39:                               ;   in Loop: Header=BB46_30 Depth=1
                                        ; implicit-def: $vgpr28
; %bb.40:                               ;   in Loop: Header=BB46_30 Depth=1
	s_andn2_saveexec_b64 s[30:31], s[30:31]
	s_cbranch_execz .LBB46_42
; %bb.41:                               ;   in Loop: Header=BB46_30 Depth=1
	v_mov_b32_e32 v29, s27
	v_add_u32_e32 v32, 16, v28
	v_mov_b32_e32 v33, s27
	flat_load_dword v27, v[28:29] glc
	s_waitcnt vmcnt(0)
	flat_load_dword v34, v[32:33] glc
	s_waitcnt vmcnt(0) lgkmcnt(0)
	v_max_f32_e32 v27, v27, v27
	v_max_f32_e32 v32, v34, v34
	;; [unrolled: 1-line block ×3, first 2 shown]
	flat_store_dword v[28:29], v27
	s_waitcnt vmcnt(0)
.LBB46_42:                              ;   in Loop: Header=BB46_30 Depth=1
	s_or_b64 exec, exec, s[30:31]
	v_cmp_lt_i64_e32 vcc, v[22:23], v[30:31]
	v_lshlrev_b32_e32 v26, 2, v26
	s_and_saveexec_b64 s[30:31], vcc
	s_cbranch_execz .LBB46_44
; %bb.43:                               ;   in Loop: Header=BB46_30 Depth=1
	v_mov_b32_e32 v27, s27
	v_add_u32_e32 v28, 8, v26
	v_mov_b32_e32 v29, s27
	flat_load_dword v32, v[26:27] glc
	s_waitcnt vmcnt(0)
	flat_load_dword v33, v[28:29] glc
	s_waitcnt vmcnt(0) lgkmcnt(0)
	v_max_f32_e32 v28, v32, v32
	v_max_f32_e32 v29, v33, v33
	;; [unrolled: 1-line block ×3, first 2 shown]
	flat_store_dword v[26:27], v28
	s_waitcnt vmcnt(0)
.LBB46_44:                              ;   in Loop: Header=BB46_30 Depth=1
	s_or_b64 exec, exec, s[30:31]
	v_cmp_lt_i64_e32 vcc, v[24:25], v[30:31]
	s_and_saveexec_b64 s[30:31], vcc
	s_cbranch_execz .LBB46_28
; %bb.45:                               ;   in Loop: Header=BB46_30 Depth=1
	v_mov_b32_e32 v27, s27
	v_add_u32_e32 v28, 4, v26
	v_mov_b32_e32 v29, s27
	flat_load_dword v30, v[26:27] glc
	s_waitcnt vmcnt(0)
	flat_load_dword v31, v[28:29] glc
	s_waitcnt vmcnt(0) lgkmcnt(0)
	v_max_f32_e32 v28, v30, v30
	v_max_f32_e32 v29, v31, v31
	;; [unrolled: 1-line block ×3, first 2 shown]
	flat_store_dword v[26:27], v28
	s_waitcnt vmcnt(0)
	s_branch .LBB46_28
.LBB46_46:                              ;   in Loop: Header=BB46_30 Depth=1
	v_mov_b32_e32 v29, s27
	v_add_u32_e32 v32, 0x80, v28
	v_mov_b32_e32 v33, s27
	flat_load_dword v27, v[28:29] glc
	s_waitcnt vmcnt(0)
	flat_load_dword v34, v[32:33] glc
	s_waitcnt vmcnt(0) lgkmcnt(0)
	v_max_f32_e32 v27, v27, v27
	v_max_f32_e32 v32, v34, v34
	;; [unrolled: 1-line block ×3, first 2 shown]
	flat_store_dword v[28:29], v27
	s_waitcnt vmcnt(0)
	s_or_b64 exec, exec, s[30:31]
	v_cmp_lt_i64_e32 vcc, v[16:17], v[30:31]
	s_and_saveexec_b64 s[30:31], vcc
	s_cbranch_execz .LBB46_36
.LBB46_47:                              ;   in Loop: Header=BB46_30 Depth=1
	v_mov_b32_e32 v29, s27
	v_add_u32_e32 v32, 64, v28
	v_mov_b32_e32 v33, s27
	flat_load_dword v27, v[28:29] glc
	s_waitcnt vmcnt(0)
	flat_load_dword v34, v[32:33] glc
	s_waitcnt vmcnt(0) lgkmcnt(0)
	v_max_f32_e32 v27, v27, v27
	v_max_f32_e32 v32, v34, v34
	;; [unrolled: 1-line block ×3, first 2 shown]
	flat_store_dword v[28:29], v27
	s_waitcnt vmcnt(0)
	s_or_b64 exec, exec, s[30:31]
	v_cmp_lt_i64_e32 vcc, v[18:19], v[30:31]
	s_and_saveexec_b64 s[30:31], vcc
	s_cbranch_execnz .LBB46_37
	s_branch .LBB46_38
.LBB46_48:
	v_cmp_eq_u32_e32 vcc, 0, v4
	v_cmp_lt_i64_e64 s[2:3], v[6:7], v[8:9]
	s_and_b64 s[22:23], vcc, s[2:3]
	s_mul_i32 s17, s17, s6
	s_mul_hi_u32 s21, s16, s6
	s_mul_i32 s2, s16, s6
	s_waitcnt lgkmcnt(0)
	s_barrier
	s_and_saveexec_b64 s[6:7], s[22:23]
	s_cbranch_execz .LBB46_52
; %bb.49:
	s_load_dwordx2 s[4:5], s[4:5], 0x20
	ds_read_b32 v1, v1
	s_waitcnt lgkmcnt(0)
	s_cmp_eq_u64 s[4:5], 0
	s_cbranch_scc1 .LBB46_51
; %bb.50:
	s_load_dword s3, s[4:5], 0x0
	v_max_f32_e32 v1, v1, v1
	s_waitcnt lgkmcnt(0)
	v_max_f32_e64 v4, s3, s3
	v_min_f32_e32 v1, v1, v4
.LBB46_51:
	s_mov_b32 s3, 0x43600000
	v_div_scale_f32 v4, s[4:5], s3, s3, v1
	v_rcp_f32_e32 v5, v4
	v_div_scale_f32 v6, vcc, v1, s3, v1
	v_lshlrev_b64 v[2:3], 2, v[2:3]
	v_fma_f32 v7, -v4, v5, 1.0
	v_fmac_f32_e32 v5, v7, v5
	v_mul_f32_e32 v7, v6, v5
	v_fma_f32 v8, -v4, v7, v6
	v_fmac_f32_e32 v7, v8, v5
	v_fma_f32 v4, -v4, v7, v6
	v_div_fmas_f32 v4, v4, v5, v7
	v_div_fixup_f32 v1, v4, s3, v1
	s_add_i32 s3, s21, s17
	s_lshl_b64 s[4:5], s[2:3], 2
	s_add_u32 s3, s10, s4
	s_addc_u32 s4, s11, s5
	v_mov_b32_e32 v4, s4
	v_add_co_u32_e32 v2, vcc, s3, v2
	v_max_f32_e32 v1, 0x37124925, v1
	v_addc_co_u32_e32 v3, vcc, v4, v3, vcc
	global_store_dword v[2:3], v1, off
.LBB46_52:
	s_or_b64 exec, exec, s[6:7]
	s_barrier
	s_and_saveexec_b64 s[4:5], s[0:1]
	s_cbranch_execz .LBB46_189
; %bb.53:
	s_add_u32 s13, s8, s18
	s_addc_u32 s20, s9, s19
	s_add_i32 s3, s21, s17
	s_lshl_b64 s[0:1], s[2:3], 2
	s_add_u32 s0, s10, s0
	s_addc_u32 s1, s11, s1
	s_mul_i32 s21, s47, 3
	s_lshl_b32 s22, s47, 1
	s_mov_b64 s[2:3], 0
	v_mov_b32_e32 v1, 0
	v_mov_b32_e32 v12, s44
	;; [unrolled: 1-line block ×4, first 2 shown]
	s_mov_b32 s23, 0x43800000
	s_mov_b32 s24, 0x3bffffff
	;; [unrolled: 1-line block ×4, first 2 shown]
	s_movk_i32 s27, 0x80
	s_mov_b32 s28, 0x4020c0c
	s_branch .LBB46_59
.LBB46_54:                              ;   in Loop: Header=BB46_59 Depth=1
	s_or_b64 exec, exec, s[18:19]
.LBB46_55:                              ;   in Loop: Header=BB46_59 Depth=1
	s_or_b64 exec, exec, s[10:11]
	v_lshlrev_b64 v[10:11], 2, v[0:1]
	v_mov_b32_e32 v0, s20
	v_add_co_u32_e32 v10, vcc, s13, v10
	v_addc_co_u32_e32 v11, vcc, v0, v11, vcc
	v_lshlrev_b32_e32 v0, 16, v6
	v_lshlrev_b32_e32 v3, 8, v3
	v_perm_b32 v0, v4, v0, s28
	v_and_b32_e32 v3, 0xff00, v3
	v_and_b32_e32 v4, 0xff, v8
	s_add_i32 s10, s47, s47
	v_or3_b32 v0, v0, v3, v4
	s_add_i32 s10, s10, s47
	global_store_dword v[10:11], v0, off
	v_add_u32_e32 v0, s10, v2
	v_cmp_le_u32_e32 vcc, s12, v0
	s_orn2_b64 s[10:11], vcc, exec
.LBB46_56:                              ;   in Loop: Header=BB46_59 Depth=1
	s_or_b64 exec, exec, s[8:9]
	s_orn2_b64 s[8:9], s[10:11], exec
.LBB46_57:                              ;   in Loop: Header=BB46_59 Depth=1
	s_or_b64 exec, exec, s[6:7]
	s_orn2_b64 s[6:7], s[8:9], exec
.LBB46_58:                              ;   in Loop: Header=BB46_59 Depth=1
	s_or_b64 exec, exec, s[4:5]
	s_and_b64 s[4:5], exec, s[6:7]
	s_or_b64 s[2:3], s[4:5], s[2:3]
	s_andn2_b64 exec, exec, s[2:3]
	s_cbranch_execz .LBB46_189
.LBB46_59:                              ; =>This Inner Loop Header: Depth=1
	v_lshlrev_b64 v[2:3], 3, v[0:1]
	v_add_co_u32_e32 v4, vcc, s33, v2
	v_addc_co_u32_e32 v5, vcc, v12, v3, vcc
	v_add_co_u32_e32 v10, vcc, s45, v2
	v_addc_co_u32_e32 v11, vcc, v14, v3, vcc
	global_load_dwordx2 v[4:5], v[4:5], off
	v_add_co_u32_e32 v2, vcc, s14, v2
	global_load_dwordx2 v[6:7], v[10:11], off
	v_addc_co_u32_e32 v3, vcc, v13, v3, vcc
	global_load_dwordx2 v[2:3], v[2:3], off
	v_lshrrev_b32_e32 v8, 3, v0
	v_and_b32_e32 v8, 0x7fffffc, v8
	global_load_dword v9, v8, s[0:1]
	v_mov_b32_e32 v8, 0x80
	s_waitcnt vmcnt(3)
	v_cvt_f32_f16_e32 v18, v4
	v_cvt_f32_f16_sdwa v19, v4 dst_sel:DWORD dst_unused:UNUSED_PAD src0_sel:WORD_1
	v_cvt_f32_f16_e32 v16, v5
	s_waitcnt vmcnt(2)
	v_cvt_f32_f16_e32 v20, v6
	v_cvt_f32_f16_sdwa v21, v6 dst_sel:DWORD dst_unused:UNUSED_PAD src0_sel:WORD_1
	v_cvt_f32_f16_sdwa v17, v5 dst_sel:DWORD dst_unused:UNUSED_PAD src0_sel:WORD_1
	v_cvt_f32_f16_e32 v4, v7
	v_cvt_f32_f16_sdwa v5, v7 dst_sel:DWORD dst_unused:UNUSED_PAD src0_sel:WORD_1
	v_pk_add_f32 v[6:7], v[18:19], v[20:21]
	v_cvt_f16_f32_e32 v19, v6
	v_fma_mixlo_f16 v6, v36, v6, 0
	v_pk_add_f32 v[4:5], v[16:17], v[4:5]
	s_waitcnt vmcnt(1)
	v_mul_f16_e32 v6, v2, v6
	v_cvt_f16_f32_e32 v15, v5
	v_cvt_f16_f32_e32 v16, v4
	v_cvt_f32_f16_e32 v6, v6
	v_cvt_f16_f32_e32 v18, v7
	v_pack_b32_f16 v17, v16, v15
	s_waitcnt vmcnt(0)
	v_div_scale_f32 v15, s[4:5], v9, v9, v6
	v_pack_b32_f16 v16, v19, v18
	v_rcp_f32_e32 v18, v15
	global_store_dwordx2 v[10:11], v[16:17], off
	v_div_scale_f32 v10, vcc, v6, v9, v6
	v_fma_f32 v11, -v15, v18, 1.0
	v_fmac_f32_e32 v18, v11, v18
	v_mul_f32_e32 v11, v10, v18
	v_fma_f32 v16, -v15, v11, v10
	v_fmac_f32_e32 v11, v16, v18
	v_fma_f32 v10, -v15, v11, v10
	v_div_fmas_f32 v10, v10, v18, v11
	v_div_fixup_f32 v6, v10, v9, v6
	v_min_f32_e32 v6, 0x43600000, v6
	v_max_f32_e32 v10, 0xc3600000, v6
	v_and_b32_e32 v11, 0x7fffffff, v10
	v_cmp_gt_u32_e32 vcc, s23, v11
	v_mov_b32_e32 v6, 0x80
	s_and_saveexec_b64 s[4:5], vcc
	s_cbranch_execz .LBB46_65
; %bb.60:                               ;   in Loop: Header=BB46_59 Depth=1
	v_cmp_lt_u32_e32 vcc, s24, v11
	s_mov_b64 s[6:7], 0
                                        ; implicit-def: $vgpr11
	s_and_saveexec_b64 s[8:9], vcc
	s_xor_b64 s[8:9], exec, s[8:9]
	s_cbranch_execnz .LBB46_156
; %bb.61:                               ;   in Loop: Header=BB46_59 Depth=1
	s_or_saveexec_b64 s[8:9], s[8:9]
                                        ; implicit-def: $sgpr10
	s_xor_b64 exec, exec, s[8:9]
	s_cbranch_execnz .LBB46_157
.LBB46_62:                              ;   in Loop: Header=BB46_59 Depth=1
	s_or_b64 exec, exec, s[8:9]
	v_mov_b32_e32 v6, s10
	s_and_saveexec_b64 s[8:9], s[6:7]
.LBB46_63:                              ;   in Loop: Header=BB46_59 Depth=1
	v_lshrrev_b32_e32 v6, 24, v10
	v_and_or_b32 v6, v6, s27, v11
.LBB46_64:                              ;   in Loop: Header=BB46_59 Depth=1
	s_or_b64 exec, exec, s[8:9]
.LBB46_65:                              ;   in Loop: Header=BB46_59 Depth=1
	s_or_b64 exec, exec, s[4:5]
	v_fma_mixlo_f16 v7, v36, v7, 0
	v_mul_f16_sdwa v2, v2, v7 dst_sel:DWORD dst_unused:UNUSED_PAD src0_sel:WORD_1 src1_sel:DWORD
	v_cvt_f32_f16_e32 v2, v2
	v_div_scale_f32 v7, s[4:5], v9, v9, v2
	v_rcp_f32_e32 v10, v7
	v_div_scale_f32 v11, vcc, v2, v9, v2
	v_fma_f32 v15, -v7, v10, 1.0
	v_fmac_f32_e32 v10, v15, v10
	v_mul_f32_e32 v15, v11, v10
	v_fma_f32 v16, -v7, v15, v11
	v_fmac_f32_e32 v15, v16, v10
	v_fma_f32 v7, -v7, v15, v11
	v_div_fmas_f32 v7, v7, v10, v15
	v_div_fixup_f32 v2, v7, v9, v2
	v_min_f32_e32 v2, 0x43600000, v2
	v_max_f32_e32 v2, 0xc3600000, v2
	v_and_b32_e32 v7, 0x7fffffff, v2
	v_cmp_gt_u32_e32 vcc, s23, v7
	s_and_saveexec_b64 s[4:5], vcc
	s_cbranch_execz .LBB46_71
; %bb.66:                               ;   in Loop: Header=BB46_59 Depth=1
	v_cmp_lt_u32_e32 vcc, s24, v7
	s_mov_b64 s[6:7], 0
                                        ; implicit-def: $vgpr7
	s_and_saveexec_b64 s[8:9], vcc
	s_xor_b64 s[8:9], exec, s[8:9]
	s_cbranch_execnz .LBB46_158
; %bb.67:                               ;   in Loop: Header=BB46_59 Depth=1
	s_or_saveexec_b64 s[8:9], s[8:9]
                                        ; implicit-def: $sgpr10
	s_xor_b64 exec, exec, s[8:9]
	s_cbranch_execnz .LBB46_159
.LBB46_68:                              ;   in Loop: Header=BB46_59 Depth=1
	s_or_b64 exec, exec, s[8:9]
	v_mov_b32_e32 v8, s10
	s_and_saveexec_b64 s[8:9], s[6:7]
.LBB46_69:                              ;   in Loop: Header=BB46_59 Depth=1
	v_lshrrev_b32_e32 v2, 24, v2
	v_and_or_b32 v8, v2, s27, v7
.LBB46_70:                              ;   in Loop: Header=BB46_59 Depth=1
	s_or_b64 exec, exec, s[8:9]
.LBB46_71:                              ;   in Loop: Header=BB46_59 Depth=1
	s_or_b64 exec, exec, s[4:5]
	v_fma_mixlo_f16 v2, v36, v4, 0
	v_mul_f16_e32 v2, v3, v2
	v_cvt_f32_f16_e32 v4, v2
	v_mov_b32_e32 v2, 0x80
	v_div_scale_f32 v7, s[4:5], v9, v9, v4
	v_rcp_f32_e32 v10, v7
	v_div_scale_f32 v11, vcc, v4, v9, v4
	v_fma_f32 v15, -v7, v10, 1.0
	v_fmac_f32_e32 v10, v15, v10
	v_mul_f32_e32 v15, v11, v10
	v_fma_f32 v16, -v7, v15, v11
	v_fmac_f32_e32 v15, v16, v10
	v_fma_f32 v7, -v7, v15, v11
	v_div_fmas_f32 v7, v7, v10, v15
	v_div_fixup_f32 v4, v7, v9, v4
	v_min_f32_e32 v4, 0x43600000, v4
	v_max_f32_e32 v7, 0xc3600000, v4
	v_and_b32_e32 v10, 0x7fffffff, v7
	v_cmp_gt_u32_e32 vcc, s23, v10
	v_mov_b32_e32 v4, 0x80
	s_and_saveexec_b64 s[4:5], vcc
	s_cbranch_execz .LBB46_77
; %bb.72:                               ;   in Loop: Header=BB46_59 Depth=1
	v_cmp_lt_u32_e32 vcc, s24, v10
	s_mov_b64 s[6:7], 0
                                        ; implicit-def: $vgpr10
	s_and_saveexec_b64 s[8:9], vcc
	s_xor_b64 s[8:9], exec, s[8:9]
	s_cbranch_execnz .LBB46_160
; %bb.73:                               ;   in Loop: Header=BB46_59 Depth=1
	s_or_saveexec_b64 s[8:9], s[8:9]
                                        ; implicit-def: $sgpr10
	s_xor_b64 exec, exec, s[8:9]
	s_cbranch_execnz .LBB46_161
.LBB46_74:                              ;   in Loop: Header=BB46_59 Depth=1
	s_or_b64 exec, exec, s[8:9]
	v_mov_b32_e32 v4, s10
	s_and_saveexec_b64 s[8:9], s[6:7]
.LBB46_75:                              ;   in Loop: Header=BB46_59 Depth=1
	v_lshrrev_b32_e32 v4, 24, v7
	v_and_or_b32 v4, v4, s27, v10
.LBB46_76:                              ;   in Loop: Header=BB46_59 Depth=1
	s_or_b64 exec, exec, s[8:9]
.LBB46_77:                              ;   in Loop: Header=BB46_59 Depth=1
	s_or_b64 exec, exec, s[4:5]
	v_fma_mixlo_f16 v5, v36, v5, 0
	v_mul_f16_sdwa v3, v3, v5 dst_sel:DWORD dst_unused:UNUSED_PAD src0_sel:WORD_1 src1_sel:DWORD
	v_cvt_f32_f16_e32 v3, v3
	v_div_scale_f32 v5, s[4:5], v9, v9, v3
	v_rcp_f32_e32 v7, v5
	v_div_scale_f32 v10, vcc, v3, v9, v3
	v_fma_f32 v11, -v5, v7, 1.0
	v_fmac_f32_e32 v7, v11, v7
	v_mul_f32_e32 v11, v10, v7
	v_fma_f32 v15, -v5, v11, v10
	v_fmac_f32_e32 v11, v15, v7
	v_fma_f32 v5, -v5, v11, v10
	v_div_fmas_f32 v5, v5, v7, v11
	v_div_fixup_f32 v3, v5, v9, v3
	v_min_f32_e32 v3, 0x43600000, v3
	v_max_f32_e32 v3, 0xc3600000, v3
	v_and_b32_e32 v5, 0x7fffffff, v3
	v_cmp_gt_u32_e32 vcc, s23, v5
	s_and_saveexec_b64 s[4:5], vcc
	s_cbranch_execz .LBB46_83
; %bb.78:                               ;   in Loop: Header=BB46_59 Depth=1
	v_cmp_lt_u32_e32 vcc, s24, v5
	s_mov_b64 s[6:7], 0
                                        ; implicit-def: $vgpr5
	s_and_saveexec_b64 s[8:9], vcc
	s_xor_b64 s[8:9], exec, s[8:9]
	s_cbranch_execnz .LBB46_162
; %bb.79:                               ;   in Loop: Header=BB46_59 Depth=1
	s_or_saveexec_b64 s[8:9], s[8:9]
                                        ; implicit-def: $sgpr10
	s_xor_b64 exec, exec, s[8:9]
	s_cbranch_execnz .LBB46_163
.LBB46_80:                              ;   in Loop: Header=BB46_59 Depth=1
	s_or_b64 exec, exec, s[8:9]
	v_mov_b32_e32 v2, s10
	s_and_saveexec_b64 s[8:9], s[6:7]
.LBB46_81:                              ;   in Loop: Header=BB46_59 Depth=1
	v_lshrrev_b32_e32 v2, 24, v3
	v_and_or_b32 v2, v2, s27, v5
.LBB46_82:                              ;   in Loop: Header=BB46_59 Depth=1
	s_or_b64 exec, exec, s[8:9]
.LBB46_83:                              ;   in Loop: Header=BB46_59 Depth=1
	s_or_b64 exec, exec, s[4:5]
	v_lshlrev_b64 v[10:11], 2, v[0:1]
	v_mov_b32_e32 v3, s20
	v_add_co_u32_e32 v10, vcc, s13, v10
	v_addc_co_u32_e32 v11, vcc, v3, v11, vcc
	v_lshlrev_b32_e32 v3, 16, v4
	v_perm_b32 v2, v2, v3, s28
	v_lshlrev_b32_e32 v3, 8, v8
	v_and_b32_e32 v3, 0xff00, v3
	v_and_b32_e32 v4, 0xff, v6
	v_or3_b32 v2, v2, v3, v4
	global_store_dword v[10:11], v2, off
	v_add_u32_e32 v2, s47, v0
	v_cmp_gt_u32_e32 vcc, s12, v2
	s_mov_b64 s[6:7], -1
	s_and_saveexec_b64 s[4:5], vcc
	s_cbranch_execz .LBB46_58
; %bb.84:                               ;   in Loop: Header=BB46_59 Depth=1
	v_mov_b32_e32 v3, v1
	v_lshlrev_b64 v[4:5], 3, v[2:3]
	v_mov_b32_e32 v7, s44
	v_add_co_u32_e32 v6, vcc, s33, v4
	v_addc_co_u32_e32 v7, vcc, v7, v5, vcc
	v_mov_b32_e32 v8, s46
	v_add_co_u32_e32 v16, vcc, s45, v4
	v_addc_co_u32_e32 v17, vcc, v8, v5, vcc
	global_load_dwordx2 v[6:7], v[6:7], off
	v_mov_b32_e32 v10, s15
	global_load_dwordx2 v[8:9], v[16:17], off
	v_add_co_u32_e32 v4, vcc, s14, v4
	v_addc_co_u32_e32 v5, vcc, v10, v5, vcc
	global_load_dwordx2 v[4:5], v[4:5], off
	v_lshrrev_b32_e32 v10, 3, v2
	v_and_b32_e32 v10, 0x7fffffc, v10
	global_load_dword v11, v10, s[0:1]
	v_mov_b32_e32 v10, 0x80
	s_waitcnt vmcnt(3)
	v_cvt_f32_f16_e32 v20, v6
	v_cvt_f32_f16_sdwa v21, v6 dst_sel:DWORD dst_unused:UNUSED_PAD src0_sel:WORD_1
	s_waitcnt vmcnt(2)
	v_cvt_f32_f16_e32 v22, v8
	v_cvt_f32_f16_sdwa v23, v8 dst_sel:DWORD dst_unused:UNUSED_PAD src0_sel:WORD_1
	v_cvt_f32_f16_e32 v18, v7
	v_cvt_f32_f16_sdwa v19, v7 dst_sel:DWORD dst_unused:UNUSED_PAD src0_sel:WORD_1
	;; [unrolled: 2-line block ×3, first 2 shown]
	v_pk_add_f32 v[8:9], v[20:21], v[22:23]
	v_cvt_f16_f32_e32 v21, v8
	v_fma_mixlo_f16 v8, v36, v8, 0
	v_pk_add_f32 v[6:7], v[18:19], v[6:7]
	s_waitcnt vmcnt(1)
	v_mul_f16_e32 v8, v4, v8
	v_cvt_f16_f32_e32 v15, v7
	v_cvt_f16_f32_e32 v18, v6
	v_cvt_f32_f16_e32 v8, v8
	v_cvt_f16_f32_e32 v20, v9
	v_pack_b32_f16 v19, v18, v15
	s_waitcnt vmcnt(0)
	v_div_scale_f32 v15, s[6:7], v11, v11, v8
	v_pack_b32_f16 v18, v21, v20
	v_rcp_f32_e32 v20, v15
	global_store_dwordx2 v[16:17], v[18:19], off
	v_div_scale_f32 v16, vcc, v8, v11, v8
	v_fma_f32 v17, -v15, v20, 1.0
	v_fmac_f32_e32 v20, v17, v20
	v_mul_f32_e32 v17, v16, v20
	v_fma_f32 v18, -v15, v17, v16
	v_fmac_f32_e32 v17, v18, v20
	v_fma_f32 v15, -v15, v17, v16
	v_div_fmas_f32 v15, v15, v20, v17
	v_div_fixup_f32 v8, v15, v11, v8
	v_min_f32_e32 v8, 0x43600000, v8
	v_max_f32_e32 v15, 0xc3600000, v8
	v_and_b32_e32 v16, 0x7fffffff, v15
	v_cmp_gt_u32_e32 vcc, s23, v16
	v_mov_b32_e32 v8, 0x80
	s_and_saveexec_b64 s[6:7], vcc
	s_cbranch_execz .LBB46_90
; %bb.85:                               ;   in Loop: Header=BB46_59 Depth=1
	v_cmp_lt_u32_e32 vcc, s24, v16
	s_mov_b64 s[8:9], 0
                                        ; implicit-def: $vgpr16
	s_and_saveexec_b64 s[10:11], vcc
	s_xor_b64 s[10:11], exec, s[10:11]
	s_cbranch_execnz .LBB46_164
; %bb.86:                               ;   in Loop: Header=BB46_59 Depth=1
	s_or_saveexec_b64 s[10:11], s[10:11]
                                        ; implicit-def: $sgpr16
	s_xor_b64 exec, exec, s[10:11]
	s_cbranch_execnz .LBB46_165
.LBB46_87:                              ;   in Loop: Header=BB46_59 Depth=1
	s_or_b64 exec, exec, s[10:11]
	v_mov_b32_e32 v8, s16
	s_and_saveexec_b64 s[10:11], s[8:9]
.LBB46_88:                              ;   in Loop: Header=BB46_59 Depth=1
	v_lshrrev_b32_e32 v8, 24, v15
	v_and_or_b32 v8, v8, s27, v16
.LBB46_89:                              ;   in Loop: Header=BB46_59 Depth=1
	s_or_b64 exec, exec, s[10:11]
.LBB46_90:                              ;   in Loop: Header=BB46_59 Depth=1
	s_or_b64 exec, exec, s[6:7]
	v_fma_mixlo_f16 v9, v36, v9, 0
	v_mul_f16_sdwa v4, v4, v9 dst_sel:DWORD dst_unused:UNUSED_PAD src0_sel:WORD_1 src1_sel:DWORD
	v_cvt_f32_f16_e32 v4, v4
	v_div_scale_f32 v9, s[6:7], v11, v11, v4
	v_rcp_f32_e32 v15, v9
	v_div_scale_f32 v16, vcc, v4, v11, v4
	v_fma_f32 v17, -v9, v15, 1.0
	v_fmac_f32_e32 v15, v17, v15
	v_mul_f32_e32 v17, v16, v15
	v_fma_f32 v18, -v9, v17, v16
	v_fmac_f32_e32 v17, v18, v15
	v_fma_f32 v9, -v9, v17, v16
	v_div_fmas_f32 v9, v9, v15, v17
	v_div_fixup_f32 v4, v9, v11, v4
	v_min_f32_e32 v4, 0x43600000, v4
	v_max_f32_e32 v4, 0xc3600000, v4
	v_and_b32_e32 v9, 0x7fffffff, v4
	v_cmp_gt_u32_e32 vcc, s23, v9
	s_and_saveexec_b64 s[6:7], vcc
	s_cbranch_execz .LBB46_96
; %bb.91:                               ;   in Loop: Header=BB46_59 Depth=1
	v_cmp_lt_u32_e32 vcc, s24, v9
	s_mov_b64 s[8:9], 0
                                        ; implicit-def: $vgpr9
	s_and_saveexec_b64 s[10:11], vcc
	s_xor_b64 s[10:11], exec, s[10:11]
	s_cbranch_execnz .LBB46_166
; %bb.92:                               ;   in Loop: Header=BB46_59 Depth=1
	s_or_saveexec_b64 s[10:11], s[10:11]
                                        ; implicit-def: $sgpr16
	s_xor_b64 exec, exec, s[10:11]
	s_cbranch_execnz .LBB46_167
.LBB46_93:                              ;   in Loop: Header=BB46_59 Depth=1
	s_or_b64 exec, exec, s[10:11]
	v_mov_b32_e32 v10, s16
	s_and_saveexec_b64 s[10:11], s[8:9]
.LBB46_94:                              ;   in Loop: Header=BB46_59 Depth=1
	v_lshrrev_b32_e32 v4, 24, v4
	v_and_or_b32 v10, v4, s27, v9
.LBB46_95:                              ;   in Loop: Header=BB46_59 Depth=1
	s_or_b64 exec, exec, s[10:11]
.LBB46_96:                              ;   in Loop: Header=BB46_59 Depth=1
	s_or_b64 exec, exec, s[6:7]
	v_fma_mixlo_f16 v4, v36, v6, 0
	v_mul_f16_e32 v4, v5, v4
	v_cvt_f32_f16_e32 v6, v4
	v_mov_b32_e32 v4, 0x80
	v_div_scale_f32 v9, s[6:7], v11, v11, v6
	v_rcp_f32_e32 v15, v9
	v_div_scale_f32 v16, vcc, v6, v11, v6
	v_fma_f32 v17, -v9, v15, 1.0
	v_fmac_f32_e32 v15, v17, v15
	v_mul_f32_e32 v17, v16, v15
	v_fma_f32 v18, -v9, v17, v16
	v_fmac_f32_e32 v17, v18, v15
	v_fma_f32 v9, -v9, v17, v16
	v_div_fmas_f32 v9, v9, v15, v17
	v_div_fixup_f32 v6, v9, v11, v6
	v_min_f32_e32 v6, 0x43600000, v6
	v_max_f32_e32 v9, 0xc3600000, v6
	v_and_b32_e32 v15, 0x7fffffff, v9
	v_cmp_gt_u32_e32 vcc, s23, v15
	v_mov_b32_e32 v6, 0x80
	s_and_saveexec_b64 s[6:7], vcc
	s_cbranch_execz .LBB46_102
; %bb.97:                               ;   in Loop: Header=BB46_59 Depth=1
	v_cmp_lt_u32_e32 vcc, s24, v15
	s_mov_b64 s[8:9], 0
                                        ; implicit-def: $vgpr15
	s_and_saveexec_b64 s[10:11], vcc
	s_xor_b64 s[10:11], exec, s[10:11]
	s_cbranch_execnz .LBB46_168
; %bb.98:                               ;   in Loop: Header=BB46_59 Depth=1
	s_or_saveexec_b64 s[10:11], s[10:11]
                                        ; implicit-def: $sgpr16
	s_xor_b64 exec, exec, s[10:11]
	s_cbranch_execnz .LBB46_169
.LBB46_99:                              ;   in Loop: Header=BB46_59 Depth=1
	s_or_b64 exec, exec, s[10:11]
	v_mov_b32_e32 v6, s16
	s_and_saveexec_b64 s[10:11], s[8:9]
.LBB46_100:                             ;   in Loop: Header=BB46_59 Depth=1
	v_lshrrev_b32_e32 v6, 24, v9
	v_and_or_b32 v6, v6, s27, v15
.LBB46_101:                             ;   in Loop: Header=BB46_59 Depth=1
	s_or_b64 exec, exec, s[10:11]
.LBB46_102:                             ;   in Loop: Header=BB46_59 Depth=1
	s_or_b64 exec, exec, s[6:7]
	v_fma_mixlo_f16 v7, v36, v7, 0
	v_mul_f16_sdwa v5, v5, v7 dst_sel:DWORD dst_unused:UNUSED_PAD src0_sel:WORD_1 src1_sel:DWORD
	v_cvt_f32_f16_e32 v5, v5
	v_div_scale_f32 v7, s[6:7], v11, v11, v5
	v_rcp_f32_e32 v9, v7
	v_div_scale_f32 v15, vcc, v5, v11, v5
	v_fma_f32 v16, -v7, v9, 1.0
	v_fmac_f32_e32 v9, v16, v9
	v_mul_f32_e32 v16, v15, v9
	v_fma_f32 v17, -v7, v16, v15
	v_fmac_f32_e32 v16, v17, v9
	v_fma_f32 v7, -v7, v16, v15
	v_div_fmas_f32 v7, v7, v9, v16
	v_div_fixup_f32 v5, v7, v11, v5
	v_min_f32_e32 v5, 0x43600000, v5
	v_max_f32_e32 v5, 0xc3600000, v5
	v_and_b32_e32 v7, 0x7fffffff, v5
	v_cmp_gt_u32_e32 vcc, s23, v7
	s_and_saveexec_b64 s[6:7], vcc
	s_cbranch_execz .LBB46_108
; %bb.103:                              ;   in Loop: Header=BB46_59 Depth=1
	v_cmp_lt_u32_e32 vcc, s24, v7
	s_mov_b64 s[8:9], 0
                                        ; implicit-def: $vgpr7
	s_and_saveexec_b64 s[10:11], vcc
	s_xor_b64 s[10:11], exec, s[10:11]
	s_cbranch_execnz .LBB46_170
; %bb.104:                              ;   in Loop: Header=BB46_59 Depth=1
	s_or_saveexec_b64 s[10:11], s[10:11]
                                        ; implicit-def: $sgpr16
	s_xor_b64 exec, exec, s[10:11]
	s_cbranch_execnz .LBB46_171
.LBB46_105:                             ;   in Loop: Header=BB46_59 Depth=1
	s_or_b64 exec, exec, s[10:11]
	v_mov_b32_e32 v4, s16
	s_and_saveexec_b64 s[10:11], s[8:9]
.LBB46_106:                             ;   in Loop: Header=BB46_59 Depth=1
	v_lshrrev_b32_e32 v4, 24, v5
	v_and_or_b32 v4, v4, s27, v7
.LBB46_107:                             ;   in Loop: Header=BB46_59 Depth=1
	s_or_b64 exec, exec, s[10:11]
.LBB46_108:                             ;   in Loop: Header=BB46_59 Depth=1
	s_or_b64 exec, exec, s[6:7]
	v_lshlrev_b64 v[16:17], 2, v[2:3]
	v_mov_b32_e32 v3, s20
	v_add_co_u32_e32 v16, vcc, s13, v16
	v_addc_co_u32_e32 v17, vcc, v3, v17, vcc
	v_lshlrev_b32_e32 v3, 16, v6
	v_perm_b32 v3, v4, v3, s28
	v_lshlrev_b32_e32 v4, 8, v10
	v_and_b32_e32 v4, 0xff00, v4
	v_and_b32_e32 v5, 0xff, v8
	v_or3_b32 v3, v3, v4, v5
	v_add_u32_e32 v4, s22, v0
	v_cmp_gt_u32_e32 vcc, s12, v4
	s_mov_b64 s[8:9], -1
	global_store_dword v[16:17], v3, off
	s_and_saveexec_b64 s[6:7], vcc
	s_cbranch_execz .LBB46_57
; %bb.109:                              ;   in Loop: Header=BB46_59 Depth=1
	v_mov_b32_e32 v5, v1
	v_lshlrev_b64 v[6:7], 3, v[4:5]
	v_mov_b32_e32 v3, s44
	v_add_co_u32_e32 v8, vcc, s33, v6
	v_addc_co_u32_e32 v9, vcc, v3, v7, vcc
	v_mov_b32_e32 v3, s46
	v_add_co_u32_e32 v16, vcc, s45, v6
	v_addc_co_u32_e32 v17, vcc, v3, v7, vcc
	global_load_dwordx2 v[8:9], v[8:9], off
	v_mov_b32_e32 v3, s15
	global_load_dwordx2 v[10:11], v[16:17], off
	v_add_co_u32_e32 v6, vcc, s14, v6
	v_addc_co_u32_e32 v7, vcc, v3, v7, vcc
	global_load_dwordx2 v[6:7], v[6:7], off
	v_lshrrev_b32_e32 v3, 3, v4
	v_and_b32_e32 v3, 0x7fffffc, v3
	global_load_dword v15, v3, s[0:1]
	v_mov_b32_e32 v3, 0x80
	s_waitcnt vmcnt(3)
	v_cvt_f32_f16_e32 v20, v8
	v_cvt_f32_f16_sdwa v21, v8 dst_sel:DWORD dst_unused:UNUSED_PAD src0_sel:WORD_1
	s_waitcnt vmcnt(2)
	v_cvt_f32_f16_e32 v22, v10
	v_cvt_f32_f16_sdwa v23, v10 dst_sel:DWORD dst_unused:UNUSED_PAD src0_sel:WORD_1
	v_cvt_f32_f16_e32 v18, v9
	v_cvt_f32_f16_sdwa v19, v9 dst_sel:DWORD dst_unused:UNUSED_PAD src0_sel:WORD_1
	;; [unrolled: 2-line block ×3, first 2 shown]
	v_pk_add_f32 v[10:11], v[20:21], v[22:23]
	v_cvt_f16_f32_e32 v21, v10
	v_fma_mixlo_f16 v10, v36, v10, 0
	v_pk_add_f32 v[8:9], v[18:19], v[8:9]
	s_waitcnt vmcnt(1)
	v_mul_f16_e32 v10, v6, v10
	v_cvt_f16_f32_e32 v18, v9
	v_cvt_f16_f32_e32 v19, v8
	;; [unrolled: 1-line block ×3, first 2 shown]
	v_cvt_f32_f16_e32 v10, v10
	v_pack_b32_f16 v19, v19, v18
	v_pack_b32_f16 v18, v21, v20
	s_waitcnt vmcnt(0)
	v_div_scale_f32 v20, s[8:9], v15, v15, v10
	v_rcp_f32_e32 v21, v20
	global_store_dwordx2 v[16:17], v[18:19], off
	v_div_scale_f32 v16, vcc, v10, v15, v10
	v_fma_f32 v17, -v20, v21, 1.0
	v_fmac_f32_e32 v21, v17, v21
	v_mul_f32_e32 v17, v16, v21
	v_fma_f32 v18, -v20, v17, v16
	v_fmac_f32_e32 v17, v18, v21
	v_fma_f32 v16, -v20, v17, v16
	v_div_fmas_f32 v16, v16, v21, v17
	v_div_fixup_f32 v10, v16, v15, v10
	v_min_f32_e32 v10, 0x43600000, v10
	v_max_f32_e32 v16, 0xc3600000, v10
	v_and_b32_e32 v17, 0x7fffffff, v16
	v_cmp_gt_u32_e32 vcc, s23, v17
	v_mov_b32_e32 v10, 0x80
	s_and_saveexec_b64 s[8:9], vcc
	s_cbranch_execz .LBB46_115
; %bb.110:                              ;   in Loop: Header=BB46_59 Depth=1
	v_cmp_lt_u32_e32 vcc, s24, v17
	s_mov_b64 s[10:11], 0
                                        ; implicit-def: $vgpr17
	s_and_saveexec_b64 s[16:17], vcc
	s_xor_b64 s[16:17], exec, s[16:17]
	s_cbranch_execnz .LBB46_172
; %bb.111:                              ;   in Loop: Header=BB46_59 Depth=1
	s_or_saveexec_b64 s[16:17], s[16:17]
                                        ; implicit-def: $sgpr18
	s_xor_b64 exec, exec, s[16:17]
	s_cbranch_execnz .LBB46_173
.LBB46_112:                             ;   in Loop: Header=BB46_59 Depth=1
	s_or_b64 exec, exec, s[16:17]
	v_mov_b32_e32 v10, s18
	s_and_saveexec_b64 s[16:17], s[10:11]
.LBB46_113:                             ;   in Loop: Header=BB46_59 Depth=1
	v_lshrrev_b32_e32 v10, 24, v16
	v_and_or_b32 v10, v10, s27, v17
.LBB46_114:                             ;   in Loop: Header=BB46_59 Depth=1
	s_or_b64 exec, exec, s[16:17]
.LBB46_115:                             ;   in Loop: Header=BB46_59 Depth=1
	s_or_b64 exec, exec, s[8:9]
	v_fma_mixlo_f16 v11, v36, v11, 0
	v_mul_f16_sdwa v6, v6, v11 dst_sel:DWORD dst_unused:UNUSED_PAD src0_sel:WORD_1 src1_sel:DWORD
	v_cvt_f32_f16_e32 v6, v6
	v_div_scale_f32 v11, s[8:9], v15, v15, v6
	v_rcp_f32_e32 v16, v11
	v_div_scale_f32 v17, vcc, v6, v15, v6
	v_fma_f32 v18, -v11, v16, 1.0
	v_fmac_f32_e32 v16, v18, v16
	v_mul_f32_e32 v18, v17, v16
	v_fma_f32 v19, -v11, v18, v17
	v_fmac_f32_e32 v18, v19, v16
	v_fma_f32 v11, -v11, v18, v17
	v_div_fmas_f32 v11, v11, v16, v18
	v_div_fixup_f32 v6, v11, v15, v6
	v_min_f32_e32 v6, 0x43600000, v6
	v_max_f32_e32 v6, 0xc3600000, v6
	v_and_b32_e32 v11, 0x7fffffff, v6
	v_cmp_gt_u32_e32 vcc, s23, v11
	s_and_saveexec_b64 s[8:9], vcc
	s_cbranch_execz .LBB46_121
; %bb.116:                              ;   in Loop: Header=BB46_59 Depth=1
	v_cmp_lt_u32_e32 vcc, s24, v11
	s_mov_b64 s[10:11], 0
                                        ; implicit-def: $vgpr11
	s_and_saveexec_b64 s[16:17], vcc
	s_xor_b64 s[16:17], exec, s[16:17]
	s_cbranch_execnz .LBB46_174
; %bb.117:                              ;   in Loop: Header=BB46_59 Depth=1
	s_or_saveexec_b64 s[16:17], s[16:17]
                                        ; implicit-def: $sgpr18
	s_xor_b64 exec, exec, s[16:17]
	s_cbranch_execnz .LBB46_175
.LBB46_118:                             ;   in Loop: Header=BB46_59 Depth=1
	s_or_b64 exec, exec, s[16:17]
	v_mov_b32_e32 v3, s18
	s_and_saveexec_b64 s[16:17], s[10:11]
.LBB46_119:                             ;   in Loop: Header=BB46_59 Depth=1
	v_lshrrev_b32_e32 v3, 24, v6
	v_and_or_b32 v3, v3, s27, v11
.LBB46_120:                             ;   in Loop: Header=BB46_59 Depth=1
	s_or_b64 exec, exec, s[16:17]
.LBB46_121:                             ;   in Loop: Header=BB46_59 Depth=1
	s_or_b64 exec, exec, s[8:9]
	v_fma_mixlo_f16 v6, v36, v8, 0
	v_mul_f16_e32 v6, v7, v6
	v_cvt_f32_f16_e32 v8, v6
	v_mov_b32_e32 v6, 0x80
	v_div_scale_f32 v11, s[8:9], v15, v15, v8
	v_rcp_f32_e32 v16, v11
	v_div_scale_f32 v17, vcc, v8, v15, v8
	v_fma_f32 v18, -v11, v16, 1.0
	v_fmac_f32_e32 v16, v18, v16
	v_mul_f32_e32 v18, v17, v16
	v_fma_f32 v19, -v11, v18, v17
	v_fmac_f32_e32 v18, v19, v16
	v_fma_f32 v11, -v11, v18, v17
	v_div_fmas_f32 v11, v11, v16, v18
	v_div_fixup_f32 v8, v11, v15, v8
	v_min_f32_e32 v8, 0x43600000, v8
	v_max_f32_e32 v11, 0xc3600000, v8
	v_and_b32_e32 v16, 0x7fffffff, v11
	v_cmp_gt_u32_e32 vcc, s23, v16
	v_mov_b32_e32 v8, 0x80
	s_and_saveexec_b64 s[8:9], vcc
	s_cbranch_execz .LBB46_127
; %bb.122:                              ;   in Loop: Header=BB46_59 Depth=1
	v_cmp_lt_u32_e32 vcc, s24, v16
	s_mov_b64 s[10:11], 0
                                        ; implicit-def: $vgpr16
	s_and_saveexec_b64 s[16:17], vcc
	s_xor_b64 s[16:17], exec, s[16:17]
	s_cbranch_execnz .LBB46_176
; %bb.123:                              ;   in Loop: Header=BB46_59 Depth=1
	s_or_saveexec_b64 s[16:17], s[16:17]
                                        ; implicit-def: $sgpr18
	s_xor_b64 exec, exec, s[16:17]
	s_cbranch_execnz .LBB46_177
.LBB46_124:                             ;   in Loop: Header=BB46_59 Depth=1
	s_or_b64 exec, exec, s[16:17]
	v_mov_b32_e32 v8, s18
	s_and_saveexec_b64 s[16:17], s[10:11]
.LBB46_125:                             ;   in Loop: Header=BB46_59 Depth=1
	v_lshrrev_b32_e32 v8, 24, v11
	v_and_or_b32 v8, v8, s27, v16
.LBB46_126:                             ;   in Loop: Header=BB46_59 Depth=1
	s_or_b64 exec, exec, s[16:17]
.LBB46_127:                             ;   in Loop: Header=BB46_59 Depth=1
	s_or_b64 exec, exec, s[8:9]
	v_fma_mixlo_f16 v9, v36, v9, 0
	v_mul_f16_sdwa v7, v7, v9 dst_sel:DWORD dst_unused:UNUSED_PAD src0_sel:WORD_1 src1_sel:DWORD
	v_cvt_f32_f16_e32 v7, v7
	v_div_scale_f32 v9, s[8:9], v15, v15, v7
	v_rcp_f32_e32 v11, v9
	v_div_scale_f32 v16, vcc, v7, v15, v7
	v_fma_f32 v17, -v9, v11, 1.0
	v_fmac_f32_e32 v11, v17, v11
	v_mul_f32_e32 v17, v16, v11
	v_fma_f32 v18, -v9, v17, v16
	v_fmac_f32_e32 v17, v18, v11
	v_fma_f32 v9, -v9, v17, v16
	v_div_fmas_f32 v9, v9, v11, v17
	v_div_fixup_f32 v7, v9, v15, v7
	v_min_f32_e32 v7, 0x43600000, v7
	v_max_f32_e32 v7, 0xc3600000, v7
	v_and_b32_e32 v9, 0x7fffffff, v7
	v_cmp_gt_u32_e32 vcc, s23, v9
	s_and_saveexec_b64 s[8:9], vcc
	s_cbranch_execz .LBB46_133
; %bb.128:                              ;   in Loop: Header=BB46_59 Depth=1
	v_cmp_lt_u32_e32 vcc, s24, v9
	s_mov_b64 s[10:11], 0
                                        ; implicit-def: $vgpr9
	s_and_saveexec_b64 s[16:17], vcc
	s_xor_b64 s[16:17], exec, s[16:17]
	s_cbranch_execnz .LBB46_178
; %bb.129:                              ;   in Loop: Header=BB46_59 Depth=1
	s_or_saveexec_b64 s[16:17], s[16:17]
                                        ; implicit-def: $sgpr18
	s_xor_b64 exec, exec, s[16:17]
	s_cbranch_execnz .LBB46_179
.LBB46_130:                             ;   in Loop: Header=BB46_59 Depth=1
	s_or_b64 exec, exec, s[16:17]
	v_mov_b32_e32 v6, s18
	s_and_saveexec_b64 s[16:17], s[10:11]
.LBB46_131:                             ;   in Loop: Header=BB46_59 Depth=1
	v_lshrrev_b32_e32 v6, 24, v7
	v_and_or_b32 v6, v6, s27, v9
.LBB46_132:                             ;   in Loop: Header=BB46_59 Depth=1
	s_or_b64 exec, exec, s[16:17]
.LBB46_133:                             ;   in Loop: Header=BB46_59 Depth=1
	s_or_b64 exec, exec, s[8:9]
	v_lshlrev_b64 v[4:5], 2, v[4:5]
	v_mov_b32_e32 v7, s20
	v_add_co_u32_e32 v4, vcc, s13, v4
	v_addc_co_u32_e32 v5, vcc, v7, v5, vcc
	v_lshlrev_b32_e32 v7, 16, v8
	v_lshlrev_b32_e32 v3, 8, v3
	v_perm_b32 v6, v6, v7, s28
	v_and_b32_e32 v3, 0xff00, v3
	v_and_b32_e32 v7, 0xff, v10
	v_add_u32_e32 v0, s21, v0
	v_or3_b32 v3, v6, v3, v7
	v_cmp_gt_u32_e32 vcc, s12, v0
	s_mov_b64 s[10:11], -1
	global_store_dword v[4:5], v3, off
	s_and_saveexec_b64 s[8:9], vcc
	s_cbranch_execz .LBB46_56
; %bb.134:                              ;   in Loop: Header=BB46_59 Depth=1
	v_lshlrev_b64 v[4:5], 3, v[0:1]
	v_mov_b32_e32 v3, s44
	v_add_co_u32_e32 v6, vcc, s33, v4
	v_addc_co_u32_e32 v7, vcc, v3, v5, vcc
	v_mov_b32_e32 v3, s46
	v_add_co_u32_e32 v16, vcc, s45, v4
	v_addc_co_u32_e32 v17, vcc, v3, v5, vcc
	global_load_dwordx2 v[6:7], v[6:7], off
	v_mov_b32_e32 v3, s15
	global_load_dwordx2 v[8:9], v[16:17], off
	v_add_co_u32_e32 v4, vcc, s14, v4
	v_addc_co_u32_e32 v5, vcc, v3, v5, vcc
	global_load_dwordx2 v[4:5], v[4:5], off
	v_lshrrev_b32_e32 v3, 3, v0
	v_and_b32_e32 v3, 0x7fffffc, v3
	global_load_dword v10, v3, s[0:1]
	v_mov_b32_e32 v3, 0x80
	s_waitcnt vmcnt(3)
	v_cvt_f32_f16_e32 v20, v6
	v_cvt_f32_f16_sdwa v21, v6 dst_sel:DWORD dst_unused:UNUSED_PAD src0_sel:WORD_1
	s_waitcnt vmcnt(2)
	v_cvt_f32_f16_e32 v22, v8
	v_cvt_f32_f16_sdwa v23, v8 dst_sel:DWORD dst_unused:UNUSED_PAD src0_sel:WORD_1
	v_cvt_f32_f16_e32 v18, v7
	v_cvt_f32_f16_sdwa v19, v7 dst_sel:DWORD dst_unused:UNUSED_PAD src0_sel:WORD_1
	;; [unrolled: 2-line block ×3, first 2 shown]
	v_pk_add_f32 v[8:9], v[20:21], v[22:23]
	v_cvt_f16_f32_e32 v20, v8
	v_fma_mixlo_f16 v8, v36, v8, 0
	v_pk_add_f32 v[6:7], v[18:19], v[6:7]
	s_waitcnt vmcnt(1)
	v_mul_f16_e32 v8, v4, v8
	v_cvt_f16_f32_e32 v11, v7
	v_cvt_f16_f32_e32 v15, v6
	v_cvt_f32_f16_e32 v8, v8
	v_cvt_f16_f32_e32 v18, v9
	v_pack_b32_f16 v19, v15, v11
	s_waitcnt vmcnt(0)
	v_div_scale_f32 v11, s[10:11], v10, v10, v8
	v_rcp_f32_e32 v15, v11
	v_pack_b32_f16 v18, v20, v18
	global_store_dwordx2 v[16:17], v[18:19], off
	v_div_scale_f32 v16, vcc, v8, v10, v8
	v_fma_f32 v17, -v11, v15, 1.0
	v_fmac_f32_e32 v15, v17, v15
	v_mul_f32_e32 v17, v16, v15
	v_fma_f32 v18, -v11, v17, v16
	v_fmac_f32_e32 v17, v18, v15
	v_fma_f32 v11, -v11, v17, v16
	v_div_fmas_f32 v11, v11, v15, v17
	v_div_fixup_f32 v8, v11, v10, v8
	v_min_f32_e32 v8, 0x43600000, v8
	v_max_f32_e32 v11, 0xc3600000, v8
	v_and_b32_e32 v15, 0x7fffffff, v11
	v_cmp_gt_u32_e32 vcc, s23, v15
	v_mov_b32_e32 v8, 0x80
	s_and_saveexec_b64 s[10:11], vcc
	s_cbranch_execz .LBB46_140
; %bb.135:                              ;   in Loop: Header=BB46_59 Depth=1
	v_cmp_lt_u32_e32 vcc, s24, v15
	s_mov_b64 s[16:17], 0
                                        ; implicit-def: $vgpr15
	s_and_saveexec_b64 s[18:19], vcc
	s_xor_b64 s[18:19], exec, s[18:19]
	s_cbranch_execnz .LBB46_180
; %bb.136:                              ;   in Loop: Header=BB46_59 Depth=1
	s_or_saveexec_b64 s[18:19], s[18:19]
                                        ; implicit-def: $sgpr29
	s_xor_b64 exec, exec, s[18:19]
	s_cbranch_execnz .LBB46_181
.LBB46_137:                             ;   in Loop: Header=BB46_59 Depth=1
	s_or_b64 exec, exec, s[18:19]
	v_mov_b32_e32 v8, s29
	s_and_saveexec_b64 s[18:19], s[16:17]
.LBB46_138:                             ;   in Loop: Header=BB46_59 Depth=1
	v_lshrrev_b32_e32 v8, 24, v11
	v_and_or_b32 v8, v8, s27, v15
.LBB46_139:                             ;   in Loop: Header=BB46_59 Depth=1
	s_or_b64 exec, exec, s[18:19]
.LBB46_140:                             ;   in Loop: Header=BB46_59 Depth=1
	s_or_b64 exec, exec, s[10:11]
	v_fma_mixlo_f16 v9, v36, v9, 0
	v_mul_f16_sdwa v4, v4, v9 dst_sel:DWORD dst_unused:UNUSED_PAD src0_sel:WORD_1 src1_sel:DWORD
	v_cvt_f32_f16_e32 v4, v4
	v_div_scale_f32 v9, s[10:11], v10, v10, v4
	v_rcp_f32_e32 v11, v9
	v_div_scale_f32 v15, vcc, v4, v10, v4
	v_fma_f32 v16, -v9, v11, 1.0
	v_fmac_f32_e32 v11, v16, v11
	v_mul_f32_e32 v16, v15, v11
	v_fma_f32 v17, -v9, v16, v15
	v_fmac_f32_e32 v16, v17, v11
	v_fma_f32 v9, -v9, v16, v15
	v_div_fmas_f32 v9, v9, v11, v16
	v_div_fixup_f32 v4, v9, v10, v4
	v_min_f32_e32 v4, 0x43600000, v4
	v_max_f32_e32 v4, 0xc3600000, v4
	v_and_b32_e32 v9, 0x7fffffff, v4
	v_cmp_gt_u32_e32 vcc, s23, v9
	s_and_saveexec_b64 s[10:11], vcc
	s_cbranch_execz .LBB46_146
; %bb.141:                              ;   in Loop: Header=BB46_59 Depth=1
	v_cmp_lt_u32_e32 vcc, s24, v9
	s_mov_b64 s[16:17], 0
                                        ; implicit-def: $vgpr9
	s_and_saveexec_b64 s[18:19], vcc
	s_xor_b64 s[18:19], exec, s[18:19]
	s_cbranch_execnz .LBB46_182
; %bb.142:                              ;   in Loop: Header=BB46_59 Depth=1
	s_or_saveexec_b64 s[18:19], s[18:19]
                                        ; implicit-def: $sgpr29
	s_xor_b64 exec, exec, s[18:19]
	s_cbranch_execnz .LBB46_183
.LBB46_143:                             ;   in Loop: Header=BB46_59 Depth=1
	s_or_b64 exec, exec, s[18:19]
	v_mov_b32_e32 v3, s29
	s_and_saveexec_b64 s[18:19], s[16:17]
.LBB46_144:                             ;   in Loop: Header=BB46_59 Depth=1
	v_lshrrev_b32_e32 v3, 24, v4
	v_and_or_b32 v3, v3, s27, v9
.LBB46_145:                             ;   in Loop: Header=BB46_59 Depth=1
	s_or_b64 exec, exec, s[18:19]
.LBB46_146:                             ;   in Loop: Header=BB46_59 Depth=1
	s_or_b64 exec, exec, s[10:11]
	v_fma_mixlo_f16 v4, v36, v6, 0
	v_mul_f16_e32 v4, v5, v4
	v_cvt_f32_f16_e32 v6, v4
	v_mov_b32_e32 v4, 0x80
	v_div_scale_f32 v9, s[10:11], v10, v10, v6
	v_rcp_f32_e32 v11, v9
	v_div_scale_f32 v15, vcc, v6, v10, v6
	v_fma_f32 v16, -v9, v11, 1.0
	v_fmac_f32_e32 v11, v16, v11
	v_mul_f32_e32 v16, v15, v11
	v_fma_f32 v17, -v9, v16, v15
	v_fmac_f32_e32 v16, v17, v11
	v_fma_f32 v9, -v9, v16, v15
	v_div_fmas_f32 v9, v9, v11, v16
	v_div_fixup_f32 v6, v9, v10, v6
	v_min_f32_e32 v6, 0x43600000, v6
	v_max_f32_e32 v9, 0xc3600000, v6
	v_and_b32_e32 v11, 0x7fffffff, v9
	v_cmp_gt_u32_e32 vcc, s23, v11
	v_mov_b32_e32 v6, 0x80
	s_and_saveexec_b64 s[10:11], vcc
	s_cbranch_execz .LBB46_152
; %bb.147:                              ;   in Loop: Header=BB46_59 Depth=1
	v_cmp_lt_u32_e32 vcc, s24, v11
	s_mov_b64 s[16:17], 0
                                        ; implicit-def: $vgpr11
	s_and_saveexec_b64 s[18:19], vcc
	s_xor_b64 s[18:19], exec, s[18:19]
	s_cbranch_execnz .LBB46_184
; %bb.148:                              ;   in Loop: Header=BB46_59 Depth=1
	s_or_saveexec_b64 s[18:19], s[18:19]
                                        ; implicit-def: $sgpr29
	s_xor_b64 exec, exec, s[18:19]
	s_cbranch_execnz .LBB46_185
.LBB46_149:                             ;   in Loop: Header=BB46_59 Depth=1
	s_or_b64 exec, exec, s[18:19]
	v_mov_b32_e32 v6, s29
	s_and_saveexec_b64 s[18:19], s[16:17]
.LBB46_150:                             ;   in Loop: Header=BB46_59 Depth=1
	v_lshrrev_b32_e32 v6, 24, v9
	v_and_or_b32 v6, v6, s27, v11
.LBB46_151:                             ;   in Loop: Header=BB46_59 Depth=1
	s_or_b64 exec, exec, s[18:19]
.LBB46_152:                             ;   in Loop: Header=BB46_59 Depth=1
	s_or_b64 exec, exec, s[10:11]
	v_fma_mixlo_f16 v7, v36, v7, 0
	v_mul_f16_sdwa v5, v5, v7 dst_sel:DWORD dst_unused:UNUSED_PAD src0_sel:WORD_1 src1_sel:DWORD
	v_cvt_f32_f16_e32 v5, v5
	v_div_scale_f32 v7, s[10:11], v10, v10, v5
	v_rcp_f32_e32 v9, v7
	v_div_scale_f32 v11, vcc, v5, v10, v5
	v_fma_f32 v15, -v7, v9, 1.0
	v_fmac_f32_e32 v9, v15, v9
	v_mul_f32_e32 v15, v11, v9
	v_fma_f32 v16, -v7, v15, v11
	v_fmac_f32_e32 v15, v16, v9
	v_fma_f32 v7, -v7, v15, v11
	v_div_fmas_f32 v7, v7, v9, v15
	v_div_fixup_f32 v5, v7, v10, v5
	v_min_f32_e32 v5, 0x43600000, v5
	v_max_f32_e32 v5, 0xc3600000, v5
	v_and_b32_e32 v7, 0x7fffffff, v5
	v_cmp_gt_u32_e32 vcc, s23, v7
	s_and_saveexec_b64 s[10:11], vcc
	s_cbranch_execz .LBB46_55
; %bb.153:                              ;   in Loop: Header=BB46_59 Depth=1
	v_cmp_lt_u32_e32 vcc, s24, v7
	s_mov_b64 s[16:17], 0
                                        ; implicit-def: $vgpr7
	s_and_saveexec_b64 s[18:19], vcc
	s_xor_b64 s[18:19], exec, s[18:19]
	s_cbranch_execnz .LBB46_186
; %bb.154:                              ;   in Loop: Header=BB46_59 Depth=1
	s_or_saveexec_b64 s[18:19], s[18:19]
                                        ; implicit-def: $sgpr29
	s_xor_b64 exec, exec, s[18:19]
	s_cbranch_execnz .LBB46_187
.LBB46_155:                             ;   in Loop: Header=BB46_59 Depth=1
	s_or_b64 exec, exec, s[18:19]
	v_mov_b32_e32 v4, s29
	s_and_saveexec_b64 s[18:19], s[16:17]
	s_cbranch_execz .LBB46_54
	s_branch .LBB46_188
.LBB46_156:                             ;   in Loop: Header=BB46_59 Depth=1
	v_bfe_u32 v6, v10, 20, 1
	v_add3_u32 v6, v10, v6, s25
	s_mov_b64 s[6:7], exec
	v_lshrrev_b32_e32 v11, 20, v6
	s_or_saveexec_b64 s[8:9], s[8:9]
                                        ; implicit-def: $sgpr10
	s_xor_b64 exec, exec, s[8:9]
	s_cbranch_execz .LBB46_62
.LBB46_157:                             ;   in Loop: Header=BB46_59 Depth=1
	v_add_f32_e64 v6, |v10|, s26
	v_and_b32_e32 v11, 0xff, v6
	v_cmp_ne_u32_e32 vcc, 0, v11
	s_andn2_b64 s[6:7], s[6:7], exec
	s_and_b64 s[16:17], vcc, exec
	s_mov_b32 s10, 0
	s_or_b64 s[6:7], s[6:7], s[16:17]
	s_or_b64 exec, exec, s[8:9]
	v_mov_b32_e32 v6, s10
	s_and_saveexec_b64 s[8:9], s[6:7]
	s_cbranch_execnz .LBB46_63
	s_branch .LBB46_64
.LBB46_158:                             ;   in Loop: Header=BB46_59 Depth=1
	v_bfe_u32 v7, v2, 20, 1
	v_add3_u32 v7, v2, v7, s25
	s_mov_b64 s[6:7], exec
	v_lshrrev_b32_e32 v7, 20, v7
	s_or_saveexec_b64 s[8:9], s[8:9]
                                        ; implicit-def: $sgpr10
	s_xor_b64 exec, exec, s[8:9]
	s_cbranch_execz .LBB46_68
.LBB46_159:                             ;   in Loop: Header=BB46_59 Depth=1
	v_add_f32_e64 v7, |v2|, s26
	v_and_b32_e32 v7, 0xff, v7
	v_cmp_ne_u32_e32 vcc, 0, v7
	s_andn2_b64 s[6:7], s[6:7], exec
	s_and_b64 s[16:17], vcc, exec
	s_mov_b32 s10, 0
	s_or_b64 s[6:7], s[6:7], s[16:17]
	s_or_b64 exec, exec, s[8:9]
	v_mov_b32_e32 v8, s10
	s_and_saveexec_b64 s[8:9], s[6:7]
	s_cbranch_execnz .LBB46_69
	s_branch .LBB46_70
.LBB46_160:                             ;   in Loop: Header=BB46_59 Depth=1
	v_bfe_u32 v4, v7, 20, 1
	v_add3_u32 v4, v7, v4, s25
	s_mov_b64 s[6:7], exec
	v_lshrrev_b32_e32 v10, 20, v4
	s_or_saveexec_b64 s[8:9], s[8:9]
                                        ; implicit-def: $sgpr10
	s_xor_b64 exec, exec, s[8:9]
	s_cbranch_execz .LBB46_74
.LBB46_161:                             ;   in Loop: Header=BB46_59 Depth=1
	v_add_f32_e64 v4, |v7|, s26
	v_and_b32_e32 v10, 0xff, v4
	v_cmp_ne_u32_e32 vcc, 0, v10
	s_andn2_b64 s[6:7], s[6:7], exec
	s_and_b64 s[16:17], vcc, exec
	s_mov_b32 s10, 0
	s_or_b64 s[6:7], s[6:7], s[16:17]
	s_or_b64 exec, exec, s[8:9]
	v_mov_b32_e32 v4, s10
	s_and_saveexec_b64 s[8:9], s[6:7]
	s_cbranch_execnz .LBB46_75
	s_branch .LBB46_76
.LBB46_162:                             ;   in Loop: Header=BB46_59 Depth=1
	v_bfe_u32 v2, v3, 20, 1
	v_add3_u32 v2, v3, v2, s25
	s_mov_b64 s[6:7], exec
	v_lshrrev_b32_e32 v5, 20, v2
	s_or_saveexec_b64 s[8:9], s[8:9]
                                        ; implicit-def: $sgpr10
	s_xor_b64 exec, exec, s[8:9]
	s_cbranch_execz .LBB46_80
.LBB46_163:                             ;   in Loop: Header=BB46_59 Depth=1
	v_add_f32_e64 v2, |v3|, s26
	v_and_b32_e32 v5, 0xff, v2
	v_cmp_ne_u32_e32 vcc, 0, v5
	s_andn2_b64 s[6:7], s[6:7], exec
	s_and_b64 s[16:17], vcc, exec
	s_mov_b32 s10, 0
	s_or_b64 s[6:7], s[6:7], s[16:17]
	s_or_b64 exec, exec, s[8:9]
	v_mov_b32_e32 v2, s10
	s_and_saveexec_b64 s[8:9], s[6:7]
	s_cbranch_execnz .LBB46_81
	s_branch .LBB46_82
.LBB46_164:                             ;   in Loop: Header=BB46_59 Depth=1
	v_bfe_u32 v8, v15, 20, 1
	v_add3_u32 v8, v15, v8, s25
	s_mov_b64 s[8:9], exec
	v_lshrrev_b32_e32 v16, 20, v8
	s_or_saveexec_b64 s[10:11], s[10:11]
                                        ; implicit-def: $sgpr16
	s_xor_b64 exec, exec, s[10:11]
	s_cbranch_execz .LBB46_87
.LBB46_165:                             ;   in Loop: Header=BB46_59 Depth=1
	v_add_f32_e64 v8, |v15|, s26
	v_and_b32_e32 v16, 0xff, v8
	v_cmp_ne_u32_e32 vcc, 0, v16
	s_andn2_b64 s[8:9], s[8:9], exec
	s_and_b64 s[18:19], vcc, exec
	s_mov_b32 s16, 0
	s_or_b64 s[8:9], s[8:9], s[18:19]
	s_or_b64 exec, exec, s[10:11]
	v_mov_b32_e32 v8, s16
	s_and_saveexec_b64 s[10:11], s[8:9]
	s_cbranch_execnz .LBB46_88
	s_branch .LBB46_89
.LBB46_166:                             ;   in Loop: Header=BB46_59 Depth=1
	v_bfe_u32 v9, v4, 20, 1
	v_add3_u32 v9, v4, v9, s25
	s_mov_b64 s[8:9], exec
	v_lshrrev_b32_e32 v9, 20, v9
	s_or_saveexec_b64 s[10:11], s[10:11]
                                        ; implicit-def: $sgpr16
	s_xor_b64 exec, exec, s[10:11]
	s_cbranch_execz .LBB46_93
.LBB46_167:                             ;   in Loop: Header=BB46_59 Depth=1
	v_add_f32_e64 v9, |v4|, s26
	v_and_b32_e32 v9, 0xff, v9
	v_cmp_ne_u32_e32 vcc, 0, v9
	s_andn2_b64 s[8:9], s[8:9], exec
	s_and_b64 s[18:19], vcc, exec
	s_mov_b32 s16, 0
	s_or_b64 s[8:9], s[8:9], s[18:19]
	s_or_b64 exec, exec, s[10:11]
	v_mov_b32_e32 v10, s16
	s_and_saveexec_b64 s[10:11], s[8:9]
	s_cbranch_execnz .LBB46_94
	s_branch .LBB46_95
.LBB46_168:                             ;   in Loop: Header=BB46_59 Depth=1
	v_bfe_u32 v6, v9, 20, 1
	v_add3_u32 v6, v9, v6, s25
	s_mov_b64 s[8:9], exec
	v_lshrrev_b32_e32 v15, 20, v6
	s_or_saveexec_b64 s[10:11], s[10:11]
                                        ; implicit-def: $sgpr16
	s_xor_b64 exec, exec, s[10:11]
	s_cbranch_execz .LBB46_99
.LBB46_169:                             ;   in Loop: Header=BB46_59 Depth=1
	v_add_f32_e64 v6, |v9|, s26
	v_and_b32_e32 v15, 0xff, v6
	v_cmp_ne_u32_e32 vcc, 0, v15
	s_andn2_b64 s[8:9], s[8:9], exec
	s_and_b64 s[18:19], vcc, exec
	s_mov_b32 s16, 0
	s_or_b64 s[8:9], s[8:9], s[18:19]
	s_or_b64 exec, exec, s[10:11]
	v_mov_b32_e32 v6, s16
	s_and_saveexec_b64 s[10:11], s[8:9]
	s_cbranch_execnz .LBB46_100
	s_branch .LBB46_101
.LBB46_170:                             ;   in Loop: Header=BB46_59 Depth=1
	v_bfe_u32 v4, v5, 20, 1
	v_add3_u32 v4, v5, v4, s25
	s_mov_b64 s[8:9], exec
	v_lshrrev_b32_e32 v7, 20, v4
	s_or_saveexec_b64 s[10:11], s[10:11]
                                        ; implicit-def: $sgpr16
	s_xor_b64 exec, exec, s[10:11]
	s_cbranch_execz .LBB46_105
.LBB46_171:                             ;   in Loop: Header=BB46_59 Depth=1
	v_add_f32_e64 v4, |v5|, s26
	v_and_b32_e32 v7, 0xff, v4
	v_cmp_ne_u32_e32 vcc, 0, v7
	s_andn2_b64 s[8:9], s[8:9], exec
	s_and_b64 s[18:19], vcc, exec
	s_mov_b32 s16, 0
	s_or_b64 s[8:9], s[8:9], s[18:19]
	s_or_b64 exec, exec, s[10:11]
	v_mov_b32_e32 v4, s16
	s_and_saveexec_b64 s[10:11], s[8:9]
	s_cbranch_execnz .LBB46_106
	s_branch .LBB46_107
.LBB46_172:                             ;   in Loop: Header=BB46_59 Depth=1
	v_bfe_u32 v10, v16, 20, 1
	v_add3_u32 v10, v16, v10, s25
	s_mov_b64 s[10:11], exec
	v_lshrrev_b32_e32 v17, 20, v10
	s_or_saveexec_b64 s[16:17], s[16:17]
                                        ; implicit-def: $sgpr18
	s_xor_b64 exec, exec, s[16:17]
	s_cbranch_execz .LBB46_112
.LBB46_173:                             ;   in Loop: Header=BB46_59 Depth=1
	v_add_f32_e64 v10, |v16|, s26
	v_and_b32_e32 v17, 0xff, v10
	v_cmp_ne_u32_e32 vcc, 0, v17
	s_andn2_b64 s[10:11], s[10:11], exec
	s_and_b64 s[30:31], vcc, exec
	s_mov_b32 s18, 0
	s_or_b64 s[10:11], s[10:11], s[30:31]
	s_or_b64 exec, exec, s[16:17]
	v_mov_b32_e32 v10, s18
	s_and_saveexec_b64 s[16:17], s[10:11]
	s_cbranch_execnz .LBB46_113
	s_branch .LBB46_114
.LBB46_174:                             ;   in Loop: Header=BB46_59 Depth=1
	v_bfe_u32 v3, v6, 20, 1
	v_add3_u32 v3, v6, v3, s25
	s_mov_b64 s[10:11], exec
	v_lshrrev_b32_e32 v11, 20, v3
	s_or_saveexec_b64 s[16:17], s[16:17]
                                        ; implicit-def: $sgpr18
	s_xor_b64 exec, exec, s[16:17]
	s_cbranch_execz .LBB46_118
.LBB46_175:                             ;   in Loop: Header=BB46_59 Depth=1
	v_add_f32_e64 v3, |v6|, s26
	v_and_b32_e32 v11, 0xff, v3
	v_cmp_ne_u32_e32 vcc, 0, v11
	s_andn2_b64 s[10:11], s[10:11], exec
	s_and_b64 s[30:31], vcc, exec
	s_mov_b32 s18, 0
	s_or_b64 s[10:11], s[10:11], s[30:31]
	s_or_b64 exec, exec, s[16:17]
	v_mov_b32_e32 v3, s18
	s_and_saveexec_b64 s[16:17], s[10:11]
	s_cbranch_execnz .LBB46_119
	s_branch .LBB46_120
.LBB46_176:                             ;   in Loop: Header=BB46_59 Depth=1
	v_bfe_u32 v8, v11, 20, 1
	v_add3_u32 v8, v11, v8, s25
	s_mov_b64 s[10:11], exec
	v_lshrrev_b32_e32 v16, 20, v8
	s_or_saveexec_b64 s[16:17], s[16:17]
                                        ; implicit-def: $sgpr18
	s_xor_b64 exec, exec, s[16:17]
	s_cbranch_execz .LBB46_124
.LBB46_177:                             ;   in Loop: Header=BB46_59 Depth=1
	v_add_f32_e64 v8, |v11|, s26
	v_and_b32_e32 v16, 0xff, v8
	v_cmp_ne_u32_e32 vcc, 0, v16
	s_andn2_b64 s[10:11], s[10:11], exec
	s_and_b64 s[30:31], vcc, exec
	s_mov_b32 s18, 0
	s_or_b64 s[10:11], s[10:11], s[30:31]
	s_or_b64 exec, exec, s[16:17]
	v_mov_b32_e32 v8, s18
	s_and_saveexec_b64 s[16:17], s[10:11]
	s_cbranch_execnz .LBB46_125
	s_branch .LBB46_126
.LBB46_178:                             ;   in Loop: Header=BB46_59 Depth=1
	v_bfe_u32 v6, v7, 20, 1
	v_add3_u32 v6, v7, v6, s25
	s_mov_b64 s[10:11], exec
	v_lshrrev_b32_e32 v9, 20, v6
	s_or_saveexec_b64 s[16:17], s[16:17]
                                        ; implicit-def: $sgpr18
	s_xor_b64 exec, exec, s[16:17]
	s_cbranch_execz .LBB46_130
.LBB46_179:                             ;   in Loop: Header=BB46_59 Depth=1
	v_add_f32_e64 v6, |v7|, s26
	v_and_b32_e32 v9, 0xff, v6
	v_cmp_ne_u32_e32 vcc, 0, v9
	s_andn2_b64 s[10:11], s[10:11], exec
	s_and_b64 s[30:31], vcc, exec
	s_mov_b32 s18, 0
	s_or_b64 s[10:11], s[10:11], s[30:31]
	s_or_b64 exec, exec, s[16:17]
	v_mov_b32_e32 v6, s18
	s_and_saveexec_b64 s[16:17], s[10:11]
	s_cbranch_execnz .LBB46_131
	s_branch .LBB46_132
.LBB46_180:                             ;   in Loop: Header=BB46_59 Depth=1
	v_bfe_u32 v8, v11, 20, 1
	v_add3_u32 v8, v11, v8, s25
	s_mov_b64 s[16:17], exec
	v_lshrrev_b32_e32 v15, 20, v8
	s_or_saveexec_b64 s[18:19], s[18:19]
                                        ; implicit-def: $sgpr29
	s_xor_b64 exec, exec, s[18:19]
	s_cbranch_execz .LBB46_137
.LBB46_181:                             ;   in Loop: Header=BB46_59 Depth=1
	v_add_f32_e64 v8, |v11|, s26
	v_and_b32_e32 v15, 0xff, v8
	v_cmp_ne_u32_e32 vcc, 0, v15
	s_andn2_b64 s[16:17], s[16:17], exec
	s_and_b64 s[30:31], vcc, exec
	s_mov_b32 s29, 0
	s_or_b64 s[16:17], s[16:17], s[30:31]
	s_or_b64 exec, exec, s[18:19]
	v_mov_b32_e32 v8, s29
	s_and_saveexec_b64 s[18:19], s[16:17]
	s_cbranch_execnz .LBB46_138
	s_branch .LBB46_139
.LBB46_182:                             ;   in Loop: Header=BB46_59 Depth=1
	v_bfe_u32 v3, v4, 20, 1
	v_add3_u32 v3, v4, v3, s25
	s_mov_b64 s[16:17], exec
	v_lshrrev_b32_e32 v9, 20, v3
	s_or_saveexec_b64 s[18:19], s[18:19]
                                        ; implicit-def: $sgpr29
	s_xor_b64 exec, exec, s[18:19]
	s_cbranch_execz .LBB46_143
.LBB46_183:                             ;   in Loop: Header=BB46_59 Depth=1
	v_add_f32_e64 v3, |v4|, s26
	v_and_b32_e32 v9, 0xff, v3
	v_cmp_ne_u32_e32 vcc, 0, v9
	s_andn2_b64 s[16:17], s[16:17], exec
	s_and_b64 s[30:31], vcc, exec
	s_mov_b32 s29, 0
	s_or_b64 s[16:17], s[16:17], s[30:31]
	s_or_b64 exec, exec, s[18:19]
	v_mov_b32_e32 v3, s29
	s_and_saveexec_b64 s[18:19], s[16:17]
	s_cbranch_execnz .LBB46_144
	s_branch .LBB46_145
.LBB46_184:                             ;   in Loop: Header=BB46_59 Depth=1
	v_bfe_u32 v6, v9, 20, 1
	v_add3_u32 v6, v9, v6, s25
	s_mov_b64 s[16:17], exec
	v_lshrrev_b32_e32 v11, 20, v6
	s_or_saveexec_b64 s[18:19], s[18:19]
                                        ; implicit-def: $sgpr29
	s_xor_b64 exec, exec, s[18:19]
	s_cbranch_execz .LBB46_149
.LBB46_185:                             ;   in Loop: Header=BB46_59 Depth=1
	v_add_f32_e64 v6, |v9|, s26
	v_and_b32_e32 v11, 0xff, v6
	v_cmp_ne_u32_e32 vcc, 0, v11
	s_andn2_b64 s[16:17], s[16:17], exec
	s_and_b64 s[30:31], vcc, exec
	s_mov_b32 s29, 0
	s_or_b64 s[16:17], s[16:17], s[30:31]
	s_or_b64 exec, exec, s[18:19]
	v_mov_b32_e32 v6, s29
	s_and_saveexec_b64 s[18:19], s[16:17]
	s_cbranch_execnz .LBB46_150
	s_branch .LBB46_151
.LBB46_186:                             ;   in Loop: Header=BB46_59 Depth=1
	v_bfe_u32 v4, v5, 20, 1
	v_add3_u32 v4, v5, v4, s25
	s_mov_b64 s[16:17], exec
	v_lshrrev_b32_e32 v7, 20, v4
	s_or_saveexec_b64 s[18:19], s[18:19]
                                        ; implicit-def: $sgpr29
	s_xor_b64 exec, exec, s[18:19]
	s_cbranch_execz .LBB46_155
.LBB46_187:                             ;   in Loop: Header=BB46_59 Depth=1
	v_add_f32_e64 v4, |v5|, s26
	v_and_b32_e32 v7, 0xff, v4
	v_cmp_ne_u32_e32 vcc, 0, v7
	s_andn2_b64 s[16:17], s[16:17], exec
	s_and_b64 s[30:31], vcc, exec
	s_mov_b32 s29, 0
	s_or_b64 s[16:17], s[16:17], s[30:31]
	s_or_b64 exec, exec, s[18:19]
	v_mov_b32_e32 v4, s29
	s_and_saveexec_b64 s[18:19], s[16:17]
	s_cbranch_execz .LBB46_54
.LBB46_188:                             ;   in Loop: Header=BB46_59 Depth=1
	v_lshrrev_b32_e32 v4, 24, v5
	v_and_or_b32 v4, v4, s27, v7
	s_branch .LBB46_54
.LBB46_189:
	s_endpgm
	.section	.rodata,"a",@progbits
	.p2align	6, 0x0
	.amdhsa_kernel _ZN4vllm31rms_norm_per_block_quant_kernelIN3c104HalfENS1_15Float8_e4m3fnuzELb1ELb0ELi128EEEvPT0_PfPKT_S9_PKffiiPS7_l
		.amdhsa_group_segment_fixed_size 4164
		.amdhsa_private_segment_fixed_size 0
		.amdhsa_kernarg_size 328
		.amdhsa_user_sgpr_count 6
		.amdhsa_user_sgpr_private_segment_buffer 1
		.amdhsa_user_sgpr_dispatch_ptr 0
		.amdhsa_user_sgpr_queue_ptr 0
		.amdhsa_user_sgpr_kernarg_segment_ptr 1
		.amdhsa_user_sgpr_dispatch_id 0
		.amdhsa_user_sgpr_flat_scratch_init 0
		.amdhsa_user_sgpr_kernarg_preload_length 0
		.amdhsa_user_sgpr_kernarg_preload_offset 0
		.amdhsa_user_sgpr_private_segment_size 0
		.amdhsa_uses_dynamic_stack 0
		.amdhsa_system_sgpr_private_segment_wavefront_offset 0
		.amdhsa_system_sgpr_workgroup_id_x 1
		.amdhsa_system_sgpr_workgroup_id_y 0
		.amdhsa_system_sgpr_workgroup_id_z 0
		.amdhsa_system_sgpr_workgroup_info 0
		.amdhsa_system_vgpr_workitem_id 0
		.amdhsa_next_free_vgpr 40
		.amdhsa_next_free_sgpr 48
		.amdhsa_accum_offset 40
		.amdhsa_reserve_vcc 1
		.amdhsa_reserve_flat_scratch 0
		.amdhsa_float_round_mode_32 0
		.amdhsa_float_round_mode_16_64 0
		.amdhsa_float_denorm_mode_32 3
		.amdhsa_float_denorm_mode_16_64 3
		.amdhsa_dx10_clamp 1
		.amdhsa_ieee_mode 1
		.amdhsa_fp16_overflow 0
		.amdhsa_tg_split 0
		.amdhsa_exception_fp_ieee_invalid_op 0
		.amdhsa_exception_fp_denorm_src 0
		.amdhsa_exception_fp_ieee_div_zero 0
		.amdhsa_exception_fp_ieee_overflow 0
		.amdhsa_exception_fp_ieee_underflow 0
		.amdhsa_exception_fp_ieee_inexact 0
		.amdhsa_exception_int_div_zero 0
	.end_amdhsa_kernel
	.section	.text._ZN4vllm31rms_norm_per_block_quant_kernelIN3c104HalfENS1_15Float8_e4m3fnuzELb1ELb0ELi128EEEvPT0_PfPKT_S9_PKffiiPS7_l,"axG",@progbits,_ZN4vllm31rms_norm_per_block_quant_kernelIN3c104HalfENS1_15Float8_e4m3fnuzELb1ELb0ELi128EEEvPT0_PfPKT_S9_PKffiiPS7_l,comdat
.Lfunc_end46:
	.size	_ZN4vllm31rms_norm_per_block_quant_kernelIN3c104HalfENS1_15Float8_e4m3fnuzELb1ELb0ELi128EEEvPT0_PfPKT_S9_PKffiiPS7_l, .Lfunc_end46-_ZN4vllm31rms_norm_per_block_quant_kernelIN3c104HalfENS1_15Float8_e4m3fnuzELb1ELb0ELi128EEEvPT0_PfPKT_S9_PKffiiPS7_l
                                        ; -- End function
	.section	.AMDGPU.csdata,"",@progbits
; Kernel info:
; codeLenInByte = 10620
; NumSgprs: 52
; NumVgprs: 40
; NumAgprs: 0
; TotalNumVgprs: 40
; ScratchSize: 0
; MemoryBound: 0
; FloatMode: 240
; IeeeMode: 1
; LDSByteSize: 4164 bytes/workgroup (compile time only)
; SGPRBlocks: 6
; VGPRBlocks: 4
; NumSGPRsForWavesPerEU: 52
; NumVGPRsForWavesPerEU: 40
; AccumOffset: 40
; Occupancy: 8
; WaveLimiterHint : 0
; COMPUTE_PGM_RSRC2:SCRATCH_EN: 0
; COMPUTE_PGM_RSRC2:USER_SGPR: 6
; COMPUTE_PGM_RSRC2:TRAP_HANDLER: 0
; COMPUTE_PGM_RSRC2:TGID_X_EN: 1
; COMPUTE_PGM_RSRC2:TGID_Y_EN: 0
; COMPUTE_PGM_RSRC2:TGID_Z_EN: 0
; COMPUTE_PGM_RSRC2:TIDIG_COMP_CNT: 0
; COMPUTE_PGM_RSRC3_GFX90A:ACCUM_OFFSET: 9
; COMPUTE_PGM_RSRC3_GFX90A:TG_SPLIT: 0
	.section	.text._ZN4vllm31rms_norm_per_block_quant_kernelIN3c104HalfEaLb1ELb0ELi128EEEvPT0_PfPKT_S8_PKffiiPS6_l,"axG",@progbits,_ZN4vllm31rms_norm_per_block_quant_kernelIN3c104HalfEaLb1ELb0ELi128EEEvPT0_PfPKT_S8_PKffiiPS6_l,comdat
	.protected	_ZN4vllm31rms_norm_per_block_quant_kernelIN3c104HalfEaLb1ELb0ELi128EEEvPT0_PfPKT_S8_PKffiiPS6_l ; -- Begin function _ZN4vllm31rms_norm_per_block_quant_kernelIN3c104HalfEaLb1ELb0ELi128EEEvPT0_PfPKT_S8_PKffiiPS6_l
	.globl	_ZN4vllm31rms_norm_per_block_quant_kernelIN3c104HalfEaLb1ELb0ELi128EEEvPT0_PfPKT_S8_PKffiiPS6_l
	.p2align	8
	.type	_ZN4vllm31rms_norm_per_block_quant_kernelIN3c104HalfEaLb1ELb0ELi128EEEvPT0_PfPKT_S8_PKffiiPS6_l,@function
_ZN4vllm31rms_norm_per_block_quant_kernelIN3c104HalfEaLb1ELb0ELi128EEEvPT0_PfPKT_S8_PKffiiPS6_l: ; @_ZN4vllm31rms_norm_per_block_quant_kernelIN3c104HalfEaLb1ELb0ELi128EEEvPT0_PfPKT_S8_PKffiiPS6_l
; %bb.0:
	s_load_dwordx4 s[16:19], s[4:5], 0x28
	s_load_dwordx8 s[8:15], s[4:5], 0x0
	s_load_dwordx2 s[0:1], s[4:5], 0x38
	v_mov_b32_e32 v1, 0
	s_waitcnt lgkmcnt(0)
	s_ashr_i32 s2, s18, 31
	s_mul_hi_u32 s3, s18, s6
	s_mul_i32 s2, s2, s6
	s_ashr_i32 s21, s17, 31
	s_add_i32 s3, s3, s2
	s_mul_i32 s2, s18, s6
	s_mul_hi_u32 s7, s17, s6
	s_mul_i32 s18, s21, s6
	s_add_i32 s19, s7, s18
	s_lshl_b64 s[2:3], s[2:3], 1
	s_mul_i32 s18, s17, s6
	s_add_u32 s33, s12, s2
	s_addc_u32 s44, s13, s3
	s_lshl_b64 s[2:3], s[18:19], 1
	s_add_u32 s45, s0, s2
	s_addc_u32 s46, s1, s3
	s_ashr_i32 s12, s17, 2
	s_add_u32 s2, s4, 0x48
	s_mov_b32 s20, s17
	v_cmp_gt_u32_e64 s[0:1], s12, v0
	s_addc_u32 s3, s5, 0
	s_and_saveexec_b64 s[22:23], s[0:1]
	s_cbranch_execz .LBB47_10
; %bb.1:
	s_load_dword s7, s[2:3], 0x0
	v_mov_b32_e32 v3, 0
	v_mov_b32_e32 v9, s44
	;; [unrolled: 1-line block ×4, first 2 shown]
	s_waitcnt lgkmcnt(0)
	s_cmp_lt_u32 s6, s7
	s_cselect_b32 s7, 12, 18
	s_add_u32 s24, s2, s7
	s_addc_u32 s25, s3, 0
	global_load_ushort v8, v3, s[24:25]
	s_mov_b64 s[24:25], 0
	v_mov_b32_e32 v1, v3
                                        ; implicit-def: $sgpr26_sgpr27
	s_waitcnt vmcnt(0)
	v_mul_lo_u32 v11, v8, 3
	v_lshlrev_b32_e32 v12, 1, v8
	s_branch .LBB47_5
.LBB47_2:                               ;   in Loop: Header=BB47_5 Depth=1
	s_or_b64 exec, exec, s[34:35]
	s_orn2_b64 s[34:35], s[36:37], exec
.LBB47_3:                               ;   in Loop: Header=BB47_5 Depth=1
	s_or_b64 exec, exec, s[30:31]
	s_andn2_b64 s[26:27], s[26:27], exec
	s_and_b64 s[30:31], s[34:35], exec
	s_or_b64 s[26:27], s[26:27], s[30:31]
.LBB47_4:                               ;   in Loop: Header=BB47_5 Depth=1
	s_or_b64 exec, exec, s[28:29]
	s_and_b64 s[28:29], exec, s[26:27]
	s_or_b64 s[24:25], s[28:29], s[24:25]
	s_andn2_b64 exec, exec, s[24:25]
	s_cbranch_execz .LBB47_9
.LBB47_5:                               ; =>This Inner Loop Header: Depth=1
	v_lshlrev_b64 v[4:5], 3, v[2:3]
	v_add_co_u32_e32 v6, vcc, s33, v4
	v_addc_co_u32_e32 v7, vcc, v9, v5, vcc
	v_add_co_u32_e32 v4, vcc, s45, v4
	v_addc_co_u32_e32 v5, vcc, v10, v5, vcc
	global_load_dwordx2 v[6:7], v[6:7], off
	s_or_b64 s[26:27], s[26:27], exec
	global_load_dwordx2 v[4:5], v[4:5], off
	s_waitcnt vmcnt(1)
	v_cvt_f32_f16_e32 v14, v6
	v_cvt_f32_f16_sdwa v15, v6 dst_sel:DWORD dst_unused:UNUSED_PAD src0_sel:WORD_1
	s_waitcnt vmcnt(0)
	v_cvt_f32_f16_e32 v16, v4
	v_cvt_f32_f16_sdwa v17, v4 dst_sel:DWORD dst_unused:UNUSED_PAD src0_sel:WORD_1
	v_cvt_f32_f16_e32 v6, v7
	v_cvt_f32_f16_sdwa v7, v7 dst_sel:DWORD dst_unused:UNUSED_PAD src0_sel:WORD_1
	;; [unrolled: 2-line block ×3, first 2 shown]
	v_pk_add_f32 v[14:15], v[14:15], v[16:17]
	v_pk_mul_f32 v[14:15], v[14:15], v[14:15]
	v_add_f32_e32 v1, v1, v14
	v_pk_add_f32 v[6:7], v[6:7], v[18:19]
	v_pk_mul_f32 v[6:7], v[6:7], v[6:7]
	v_add_f32_e32 v1, v1, v15
	v_add_u32_e32 v4, v2, v8
	v_add_f32_e32 v1, v1, v6
	v_cmp_gt_u32_e32 vcc, s12, v4
	v_add_f32_e32 v1, v1, v7
	s_and_saveexec_b64 s[28:29], vcc
	s_cbranch_execz .LBB47_4
; %bb.6:                                ;   in Loop: Header=BB47_5 Depth=1
	v_mov_b32_e32 v5, v3
	v_lshlrev_b64 v[6:7], 3, v[4:5]
	v_add_co_u32_e32 v14, vcc, s33, v6
	v_addc_co_u32_e32 v15, vcc, v9, v7, vcc
	v_add_co_u32_e32 v6, vcc, s45, v6
	v_addc_co_u32_e32 v7, vcc, v10, v7, vcc
	global_load_dwordx2 v[14:15], v[14:15], off
	s_mov_b64 s[34:35], -1
	global_load_dwordx2 v[6:7], v[6:7], off
	s_waitcnt vmcnt(1)
	v_cvt_f32_f16_e32 v16, v14
	v_cvt_f32_f16_sdwa v17, v14 dst_sel:DWORD dst_unused:UNUSED_PAD src0_sel:WORD_1
	s_waitcnt vmcnt(0)
	v_cvt_f32_f16_e32 v18, v6
	v_cvt_f32_f16_sdwa v19, v6 dst_sel:DWORD dst_unused:UNUSED_PAD src0_sel:WORD_1
	v_cvt_f32_f16_e32 v14, v15
	v_cvt_f32_f16_sdwa v15, v15 dst_sel:DWORD dst_unused:UNUSED_PAD src0_sel:WORD_1
	v_cvt_f32_f16_e32 v20, v7
	v_cvt_f32_f16_sdwa v21, v7 dst_sel:DWORD dst_unused:UNUSED_PAD src0_sel:WORD_1
	v_pk_add_f32 v[16:17], v[16:17], v[18:19]
	v_pk_mul_f32 v[16:17], v[16:17], v[16:17]
	v_add_f32_e32 v1, v1, v16
	v_pk_add_f32 v[14:15], v[14:15], v[20:21]
	v_pk_mul_f32 v[14:15], v[14:15], v[14:15]
	v_add_f32_e32 v1, v1, v17
	v_add_u32_e32 v6, v12, v2
	v_add_f32_e32 v1, v1, v14
	v_cmp_gt_u32_e32 vcc, s12, v6
	v_add_f32_e32 v1, v1, v15
	s_and_saveexec_b64 s[30:31], vcc
	s_cbranch_execz .LBB47_3
; %bb.7:                                ;   in Loop: Header=BB47_5 Depth=1
	v_mov_b32_e32 v7, v3
	v_lshlrev_b64 v[6:7], 3, v[6:7]
	v_mov_b32_e32 v5, s44
	v_add_co_u32_e32 v14, vcc, s33, v6
	v_addc_co_u32_e32 v15, vcc, v5, v7, vcc
	v_mov_b32_e32 v5, s46
	v_add_co_u32_e32 v6, vcc, s45, v6
	v_addc_co_u32_e32 v7, vcc, v5, v7, vcc
	global_load_dwordx2 v[14:15], v[14:15], off
	v_add_u32_e32 v2, v11, v2
	global_load_dwordx2 v[6:7], v[6:7], off
	v_cmp_gt_u32_e32 vcc, s12, v2
	s_mov_b64 s[36:37], -1
	s_waitcnt vmcnt(1)
	v_cvt_f32_f16_e32 v16, v14
	v_cvt_f32_f16_sdwa v17, v14 dst_sel:DWORD dst_unused:UNUSED_PAD src0_sel:WORD_1
	s_waitcnt vmcnt(0)
	v_cvt_f32_f16_e32 v18, v6
	v_cvt_f32_f16_sdwa v19, v6 dst_sel:DWORD dst_unused:UNUSED_PAD src0_sel:WORD_1
	v_cvt_f32_f16_e32 v14, v15
	v_cvt_f32_f16_sdwa v15, v15 dst_sel:DWORD dst_unused:UNUSED_PAD src0_sel:WORD_1
	;; [unrolled: 2-line block ×3, first 2 shown]
	v_pk_add_f32 v[16:17], v[16:17], v[18:19]
	v_pk_add_f32 v[6:7], v[14:15], v[6:7]
	v_pk_mul_f32 v[14:15], v[16:17], v[16:17]
	v_add_f32_e32 v1, v1, v14
	v_pk_mul_f32 v[6:7], v[6:7], v[6:7]
	v_add_f32_e32 v1, v1, v15
	v_add_f32_e32 v1, v1, v6
	;; [unrolled: 1-line block ×3, first 2 shown]
	s_and_saveexec_b64 s[34:35], vcc
	s_xor_b64 s[34:35], exec, s[34:35]
	s_cbranch_execz .LBB47_2
; %bb.8:                                ;   in Loop: Header=BB47_5 Depth=1
	v_lshlrev_b64 v[6:7], 3, v[2:3]
	v_mov_b32_e32 v2, s44
	v_add_co_u32_e32 v14, vcc, s33, v6
	v_addc_co_u32_e32 v15, vcc, v2, v7, vcc
	v_mov_b32_e32 v2, s46
	v_add_co_u32_e32 v6, vcc, s45, v6
	v_addc_co_u32_e32 v7, vcc, v2, v7, vcc
	global_load_dwordx2 v[14:15], v[14:15], off
	v_add_u32_e32 v2, v8, v8
	global_load_dwordx2 v[6:7], v[6:7], off
	v_add_u32_e32 v2, v2, v8
	v_add_u32_e32 v2, v2, v4
	v_cmp_le_u32_e32 vcc, s12, v2
	s_orn2_b64 s[36:37], vcc, exec
	s_waitcnt vmcnt(1)
	v_cvt_f32_f16_e32 v16, v14
	v_cvt_f32_f16_sdwa v17, v14 dst_sel:DWORD dst_unused:UNUSED_PAD src0_sel:WORD_1
	s_waitcnt vmcnt(0)
	v_cvt_f32_f16_e32 v18, v6
	v_cvt_f32_f16_sdwa v19, v6 dst_sel:DWORD dst_unused:UNUSED_PAD src0_sel:WORD_1
	v_cvt_f32_f16_e32 v14, v15
	v_cvt_f32_f16_sdwa v15, v15 dst_sel:DWORD dst_unused:UNUSED_PAD src0_sel:WORD_1
	v_cvt_f32_f16_e32 v6, v7
	v_cvt_f32_f16_sdwa v7, v7 dst_sel:DWORD dst_unused:UNUSED_PAD src0_sel:WORD_1
	v_pk_add_f32 v[4:5], v[16:17], v[18:19]
	v_pk_mul_f32 v[4:5], v[4:5], v[4:5]
	v_add_f32_e32 v1, v1, v4
	v_pk_add_f32 v[6:7], v[14:15], v[6:7]
	v_pk_mul_f32 v[6:7], v[6:7], v[6:7]
	v_add_f32_e32 v1, v1, v5
	v_add_f32_e32 v1, v1, v6
	;; [unrolled: 1-line block ×3, first 2 shown]
	s_branch .LBB47_2
.LBB47_9:
	s_or_b64 exec, exec, s[24:25]
.LBB47_10:
	s_or_b64 exec, exec, s[22:23]
	v_mbcnt_lo_u32_b32 v2, -1, 0
	v_mbcnt_hi_u32_b32 v2, -1, v2
	v_and_b32_e32 v3, 63, v2
	v_cmp_ne_u32_e32 vcc, 63, v3
	s_load_dword s2, s[2:3], 0xc
	v_addc_co_u32_e32 v4, vcc, 0, v2, vcc
	v_lshlrev_b32_e32 v4, 2, v4
	ds_bpermute_b32 v4, v4, v1
	s_waitcnt lgkmcnt(0)
	s_and_b32 s47, s2, 0xffff
	v_and_b32_e32 v5, 0x3c0, v0
	v_sub_u32_e64 v5, s47, v5 clamp
	v_add_u32_e32 v6, 1, v2
	v_add_f32_e32 v4, v1, v4
	v_cmp_lt_u32_e32 vcc, v6, v5
	v_cndmask_b32_e32 v1, v1, v4, vcc
	v_cmp_gt_u32_e32 vcc, 62, v3
	v_cndmask_b32_e64 v4, 0, 1, vcc
	v_lshlrev_b32_e32 v4, 1, v4
	v_add_lshl_u32 v4, v4, v2, 2
	ds_bpermute_b32 v4, v4, v1
	v_add_u32_e32 v6, 2, v2
	v_cmp_lt_u32_e32 vcc, v6, v5
	v_add_u32_e32 v6, 4, v2
	s_waitcnt lgkmcnt(0)
	v_add_f32_e32 v4, v1, v4
	v_cndmask_b32_e32 v1, v1, v4, vcc
	v_cmp_gt_u32_e32 vcc, 60, v3
	v_cndmask_b32_e64 v4, 0, 1, vcc
	v_lshlrev_b32_e32 v4, 2, v4
	v_add_lshl_u32 v4, v4, v2, 2
	ds_bpermute_b32 v4, v4, v1
	v_cmp_lt_u32_e32 vcc, v6, v5
	v_add_u32_e32 v6, 8, v2
	s_waitcnt lgkmcnt(0)
	v_add_f32_e32 v4, v1, v4
	v_cndmask_b32_e32 v1, v1, v4, vcc
	v_cmp_gt_u32_e32 vcc, 56, v3
	v_cndmask_b32_e64 v4, 0, 1, vcc
	v_lshlrev_b32_e32 v4, 3, v4
	v_add_lshl_u32 v4, v4, v2, 2
	ds_bpermute_b32 v4, v4, v1
	;; [unrolled: 10-line block ×3, first 2 shown]
	v_cmp_lt_u32_e32 vcc, v6, v5
	s_waitcnt lgkmcnt(0)
	v_add_f32_e32 v4, v1, v4
	v_cndmask_b32_e32 v1, v1, v4, vcc
	v_cmp_gt_u32_e32 vcc, 32, v3
	v_cndmask_b32_e64 v3, 0, 1, vcc
	v_lshlrev_b32_e32 v3, 5, v3
	v_add_lshl_u32 v3, v3, v2, 2
	ds_bpermute_b32 v3, v3, v1
	v_add_u32_e32 v4, 32, v2
	v_cmp_lt_u32_e32 vcc, v4, v5
	s_waitcnt lgkmcnt(0)
	v_add_f32_e32 v3, v1, v3
	v_cndmask_b32_e32 v1, v1, v3, vcc
	v_cmp_eq_u32_e32 vcc, 0, v2
	s_and_saveexec_b64 s[2:3], vcc
	s_cbranch_execz .LBB47_12
; %bb.11:
	v_lshrrev_b32_e32 v3, 4, v0
	v_and_b32_e32 v3, 60, v3
	ds_write_b32 v3, v1 offset:4096
.LBB47_12:
	s_or_b64 exec, exec, s[2:3]
	v_cmp_gt_u32_e32 vcc, 16, v0
	s_waitcnt lgkmcnt(0)
	s_barrier
	s_and_saveexec_b64 s[22:23], vcc
	s_cbranch_execz .LBB47_14
; %bb.13:
	v_lshlrev_b32_e32 v1, 2, v2
	ds_read_b32 v1, v1 offset:4096
	v_and_b32_e32 v3, 15, v2
	v_cmp_ne_u32_e32 vcc, 15, v3
	v_addc_co_u32_e32 v4, vcc, 0, v2, vcc
	v_lshlrev_b32_e32 v4, 2, v4
	s_waitcnt lgkmcnt(0)
	ds_bpermute_b32 v4, v4, v1
	s_add_i32 s2, s47, 63
	s_lshr_b32 s7, s2, 6
	v_add_u32_e32 v5, 1, v3
	v_cmp_gt_u32_e64 s[2:3], 14, v3
	v_cmp_gt_u32_e32 vcc, s7, v5
	v_cndmask_b32_e64 v5, 0, 1, s[2:3]
	s_waitcnt lgkmcnt(0)
	v_add_f32_e32 v4, v1, v4
	v_lshlrev_b32_e32 v5, 1, v5
	v_cndmask_b32_e32 v4, v1, v4, vcc
	v_add_lshl_u32 v5, v5, v2, 2
	ds_bpermute_b32 v5, v5, v4
	v_add_u32_e32 v6, 2, v3
	v_cmp_gt_u32_e64 s[2:3], s7, v6
	v_add_u32_e32 v6, 4, v3
	s_waitcnt lgkmcnt(0)
	v_add_f32_e32 v5, v4, v5
	v_cndmask_b32_e64 v4, v4, v5, s[2:3]
	v_cmp_gt_u32_e64 s[2:3], 12, v3
	v_cndmask_b32_e64 v5, 0, 1, s[2:3]
	v_lshlrev_b32_e32 v5, 2, v5
	v_add_lshl_u32 v5, v5, v2, 2
	ds_bpermute_b32 v5, v5, v4
	v_cmp_gt_u32_e64 s[2:3], s7, v6
	s_waitcnt lgkmcnt(0)
	v_add_f32_e32 v5, v4, v5
	v_cndmask_b32_e64 v4, v4, v5, s[2:3]
	v_cmp_gt_u32_e64 s[2:3], 8, v3
	v_cndmask_b32_e64 v5, 0, 1, s[2:3]
	v_lshlrev_b32_e32 v5, 3, v5
	v_add_lshl_u32 v2, v5, v2, 2
	ds_bpermute_b32 v2, v2, v4
	v_add_u32_e32 v3, 8, v3
	v_cmp_gt_u32_e64 s[2:3], s7, v3
	s_waitcnt lgkmcnt(0)
	v_add_f32_e32 v2, v4, v2
	v_cndmask_b32_e64 v2, v4, v2, s[2:3]
	v_cndmask_b32_e32 v1, v1, v2, vcc
.LBB47_14:
	s_or_b64 exec, exec, s[22:23]
	v_cmp_eq_u32_e32 vcc, 0, v0
	s_and_saveexec_b64 s[2:3], vcc
	s_cbranch_execz .LBB47_16
; %bb.15:
	v_cvt_f32_i32_e32 v2, s20
	s_mov_b32 s7, 0x800000
	v_div_scale_f32 v3, s[22:23], v2, v2, v1
	v_rcp_f32_e32 v4, v3
	v_div_scale_f32 v5, vcc, v1, v2, v1
	v_fma_f32 v6, -v3, v4, 1.0
	v_fmac_f32_e32 v4, v6, v4
	v_mul_f32_e32 v6, v5, v4
	v_fma_f32 v7, -v3, v6, v5
	v_fmac_f32_e32 v6, v7, v4
	v_fma_f32 v3, -v3, v6, v5
	v_div_fmas_f32 v3, v3, v4, v6
	v_div_fixup_f32 v1, v3, v2, v1
	v_add_f32_e32 v1, s16, v1
	v_mul_f32_e32 v2, 0x4b800000, v1
	v_cmp_gt_f32_e32 vcc, s7, v1
	v_cndmask_b32_e32 v1, v1, v2, vcc
	v_rsq_f32_e32 v1, v1
	v_mul_f32_e32 v2, 0x45800000, v1
	v_cndmask_b32_e32 v1, v1, v2, vcc
	v_mov_b32_e32 v2, 0
	ds_write_b32 v2, v1 offset:4160
.LBB47_16:
	s_or_b64 exec, exec, s[2:3]
	s_ashr_i32 s2, s20, 31
	s_lshr_b32 s2, s2, 25
	s_add_i32 s2, s20, s2
	s_ashr_i32 s16, s2, 7
	s_abs_i32 s3, s16
	v_cvt_f32_u32_e32 v1, s3
	s_sub_i32 s7, 0, s3
	s_ashr_i32 s2, s2, 31
	v_mov_b32_e32 v5, 0
	v_rcp_iflag_f32_e32 v1, v1
	s_waitcnt lgkmcnt(0)
	s_barrier
	v_mul_f32_e32 v1, 0x4f7ffffe, v1
	v_cvt_u32_f32_e32 v1, v1
	ds_read_b32 v36, v5 offset:4160
	v_readfirstlane_b32 s13, v1
	s_mul_i32 s7, s7, s13
	s_mul_hi_u32 s7, s13, s7
	s_add_i32 s13, s13, s7
	s_mul_hi_u32 s7, s47, s13
	s_mul_i32 s13, s7, s3
	s_sub_i32 s13, s47, s13
	s_add_i32 s17, s7, 1
	s_sub_i32 s22, s13, s3
	s_cmp_ge_u32 s13, s3
	s_cselect_b32 s7, s17, s7
	s_cselect_b32 s13, s22, s13
	s_add_i32 s17, s7, 1
	s_cmp_ge_u32 s13, s3
	s_cselect_b32 s3, s17, s7
	s_xor_b32 s3, s3, s2
	s_sub_i32 s2, s3, s2
	s_abs_i32 s7, s2
	v_cvt_f32_u32_e32 v1, s7
	s_sub_i32 s13, 0, s7
	s_ashr_i32 s3, s2, 31
	v_rcp_iflag_f32_e32 v1, v1
	v_mul_f32_e32 v1, 0x4f7ffffe, v1
	v_cvt_u32_f32_e32 v1, v1
	v_mul_lo_u32 v2, s13, v1
	v_mul_hi_u32 v2, v1, v2
	v_add_u32_e32 v1, v1, v2
	v_mul_hi_u32 v1, v0, v1
	v_mul_lo_u32 v2, v1, s7
	v_sub_u32_e32 v2, v0, v2
	v_add_u32_e32 v3, 1, v1
	v_cmp_le_u32_e32 vcc, s7, v2
	v_cndmask_b32_e32 v1, v1, v3, vcc
	v_subrev_u32_e32 v3, s7, v2
	v_cndmask_b32_e32 v2, v2, v3, vcc
	v_add_u32_e32 v3, 1, v1
	v_cmp_le_u32_e32 vcc, s7, v2
	v_cndmask_b32_e32 v1, v1, v3, vcc
	v_xor_b32_e32 v1, s3, v1
	v_subrev_u32_e32 v2, s3, v1
	v_mul_lo_u32 v1, v2, s2
	v_ashrrev_i32_e32 v3, 31, v2
	v_sub_u32_e32 v4, v0, v1
	v_lshlrev_b64 v[8:9], 5, v[2:3]
	v_add_co_u32_e32 v6, vcc, v8, v4
	v_addc_co_u32_e32 v7, vcc, 0, v9, vcc
	v_add_co_u32_e32 v8, vcc, 32, v8
	v_addc_co_u32_e32 v9, vcc, 0, v9, vcc
	s_ashr_i32 s13, s12, 31
	v_mov_b32_e32 v1, s13
	v_cmp_gt_i64_e32 vcc, s[12:13], v[8:9]
	v_cndmask_b32_e32 v9, v1, v9, vcc
	v_mov_b32_e32 v1, s12
	v_cndmask_b32_e32 v8, v1, v8, vcc
	v_ashrrev_i32_e32 v11, 31, v8
	v_mov_b32_e32 v10, v8
	v_cmp_lt_i64_e32 vcc, v[6:7], v[10:11]
	s_and_saveexec_b64 s[22:23], vcc
	s_cbranch_execz .LBB47_26
; %bb.17:
	v_lshlrev_b64 v[12:13], 8, v[2:3]
	v_lshlrev_b64 v[14:15], 3, v[4:5]
	v_add_co_u32_e32 v12, vcc, v12, v14
	v_addc_co_u32_e32 v1, vcc, v13, v15, vcc
	s_lshl_b64 s[24:25], s[2:3], 5
	s_mul_hi_i32 s7, s2, 3
	s_mul_i32 s13, s2, 3
	s_lshl_b64 s[26:27], s[2:3], 1
	s_lshl_b64 s[30:31], s[2:3], 3
	s_mov_b64 s[28:29], 0
	v_mov_b32_e32 v5, 0
	v_mov_b32_e32 v13, s44
	;; [unrolled: 1-line block ×5, first 2 shown]
	v_pk_mov_b32 v[14:15], v[6:7], v[6:7] op_sel:[0,1]
                                        ; implicit-def: $sgpr34_sgpr35
	s_branch .LBB47_21
.LBB47_18:                              ;   in Loop: Header=BB47_21 Depth=1
	s_or_b64 exec, exec, s[40:41]
	s_orn2_b64 s[40:41], s[42:43], exec
.LBB47_19:                              ;   in Loop: Header=BB47_21 Depth=1
	s_or_b64 exec, exec, s[38:39]
	s_andn2_b64 s[34:35], s[34:35], exec
	s_and_b64 s[38:39], s[40:41], exec
	s_or_b64 s[34:35], s[34:35], s[38:39]
.LBB47_20:                              ;   in Loop: Header=BB47_21 Depth=1
	s_or_b64 exec, exec, s[36:37]
	s_and_b64 s[36:37], exec, s[34:35]
	s_or_b64 s[28:29], s[36:37], s[28:29]
	s_andn2_b64 exec, exec, s[28:29]
	s_cbranch_execz .LBB47_25
.LBB47_21:                              ; =>This Inner Loop Header: Depth=1
	v_add_co_u32_e32 v18, vcc, s33, v12
	v_addc_co_u32_e32 v19, vcc, v13, v1, vcc
	v_add_co_u32_e32 v22, vcc, s45, v12
	v_addc_co_u32_e32 v23, vcc, v25, v1, vcc
	global_load_dwordx2 v[16:17], v[18:19], off
	global_load_dwordx2 v[28:29], v[22:23], off
	v_add_co_u32_e32 v20, vcc, s14, v12
	v_addc_co_u32_e32 v21, vcc, v24, v1, vcc
	global_load_dwordx2 v[30:31], v[20:21], off
	s_or_b64 s[34:35], s[34:35], exec
	s_waitcnt vmcnt(2)
	v_cvt_f32_f16_e32 v27, v16
	v_cvt_f32_f16_sdwa v16, v16 dst_sel:DWORD dst_unused:UNUSED_PAD src0_sel:WORD_1
	s_waitcnt vmcnt(1)
	v_cvt_f32_f16_e32 v33, v28
	v_cvt_f32_f16_sdwa v28, v28 dst_sel:DWORD dst_unused:UNUSED_PAD src0_sel:WORD_1
	v_cvt_f32_f16_e32 v32, v17
	v_cvt_f32_f16_sdwa v17, v17 dst_sel:DWORD dst_unused:UNUSED_PAD src0_sel:WORD_1
	;; [unrolled: 2-line block ×3, first 2 shown]
	v_add_f32_e32 v27, v27, v33
	v_add_f32_e32 v16, v16, v28
	;; [unrolled: 1-line block ×4, first 2 shown]
	s_waitcnt lgkmcnt(0)
	v_fma_mixlo_f16 v27, v36, v27, 0
	v_fma_mixlo_f16 v16, v36, v16, 0
	;; [unrolled: 1-line block ×4, first 2 shown]
	s_waitcnt vmcnt(0)
	v_mul_f16_e32 v27, v30, v27
	v_mul_f16_sdwa v16, v30, v16 dst_sel:DWORD dst_unused:UNUSED_PAD src0_sel:WORD_1 src1_sel:DWORD
	v_mul_f16_e32 v28, v31, v28
	v_mul_f16_sdwa v17, v31, v17 dst_sel:DWORD dst_unused:UNUSED_PAD src0_sel:WORD_1 src1_sel:DWORD
	v_cvt_f32_f16_e64 v27, |v27|
	v_cvt_f32_f16_e64 v29, |v16|
	;; [unrolled: 1-line block ×4, first 2 shown]
	v_add_co_u32_e32 v16, vcc, s2, v14
	v_addc_co_u32_e32 v17, vcc, v15, v26, vcc
	v_max3_f32 v5, v5, v27, v29
	v_cmp_lt_i64_e32 vcc, v[16:17], v[10:11]
	v_max3_f32 v5, v5, v28, v30
	s_and_saveexec_b64 s[36:37], vcc
	s_cbranch_execz .LBB47_20
; %bb.22:                               ;   in Loop: Header=BB47_21 Depth=1
	v_mov_b32_e32 v27, s31
	v_add_co_u32_e32 v18, vcc, s30, v18
	v_addc_co_u32_e32 v19, vcc, v19, v27, vcc
	v_add_co_u32_e32 v22, vcc, s30, v22
	v_addc_co_u32_e32 v23, vcc, v23, v27, vcc
	global_load_dwordx2 v[28:29], v[18:19], off
	global_load_dwordx2 v[30:31], v[22:23], off
	v_add_co_u32_e32 v20, vcc, s30, v20
	v_addc_co_u32_e32 v21, vcc, v21, v27, vcc
	global_load_dwordx2 v[32:33], v[20:21], off
	v_mov_b32_e32 v27, s27
	s_mov_b64 s[40:41], -1
	s_waitcnt vmcnt(2)
	v_cvt_f32_f16_e32 v34, v28
	v_cvt_f32_f16_sdwa v28, v28 dst_sel:DWORD dst_unused:UNUSED_PAD src0_sel:WORD_1
	s_waitcnt vmcnt(1)
	v_cvt_f32_f16_e32 v37, v30
	v_cvt_f32_f16_sdwa v30, v30 dst_sel:DWORD dst_unused:UNUSED_PAD src0_sel:WORD_1
	v_cvt_f32_f16_e32 v35, v29
	v_cvt_f32_f16_sdwa v29, v29 dst_sel:DWORD dst_unused:UNUSED_PAD src0_sel:WORD_1
	;; [unrolled: 2-line block ×3, first 2 shown]
	v_add_f32_e32 v34, v34, v37
	v_add_f32_e32 v28, v28, v30
	;; [unrolled: 1-line block ×4, first 2 shown]
	v_fma_mixlo_f16 v31, v36, v34, 0
	v_fma_mixlo_f16 v28, v36, v28, 0
	;; [unrolled: 1-line block ×4, first 2 shown]
	s_waitcnt vmcnt(0)
	v_mul_f16_e32 v31, v32, v31
	v_mul_f16_sdwa v28, v32, v28 dst_sel:DWORD dst_unused:UNUSED_PAD src0_sel:WORD_1 src1_sel:DWORD
	v_mul_f16_e32 v30, v33, v30
	v_mul_f16_sdwa v29, v33, v29 dst_sel:DWORD dst_unused:UNUSED_PAD src0_sel:WORD_1 src1_sel:DWORD
	v_cvt_f32_f16_e64 v31, |v31|
	v_cvt_f32_f16_e64 v32, |v28|
	;; [unrolled: 1-line block ×4, first 2 shown]
	v_add_co_u32_e32 v28, vcc, s26, v14
	v_addc_co_u32_e32 v29, vcc, v27, v15, vcc
	v_max3_f32 v5, v5, v31, v32
	v_cmp_lt_i64_e32 vcc, v[28:29], v[10:11]
	v_max3_f32 v5, v5, v30, v33
	s_and_saveexec_b64 s[38:39], vcc
	s_cbranch_execz .LBB47_19
; %bb.23:                               ;   in Loop: Header=BB47_21 Depth=1
	v_mov_b32_e32 v27, s31
	v_add_co_u32_e32 v18, vcc, s30, v18
	v_addc_co_u32_e32 v19, vcc, v19, v27, vcc
	v_add_co_u32_e32 v22, vcc, s30, v22
	v_addc_co_u32_e32 v23, vcc, v23, v27, vcc
	global_load_dwordx2 v[28:29], v[18:19], off
	global_load_dwordx2 v[30:31], v[22:23], off
	v_add_co_u32_e32 v20, vcc, s30, v20
	v_addc_co_u32_e32 v21, vcc, v21, v27, vcc
	global_load_dwordx2 v[32:33], v[20:21], off
	v_mov_b32_e32 v27, s7
	v_add_co_u32_e32 v14, vcc, s13, v14
	v_addc_co_u32_e32 v15, vcc, v27, v15, vcc
	v_cmp_lt_i64_e32 vcc, v[14:15], v[10:11]
	s_mov_b64 s[42:43], -1
                                        ; implicit-def: $vgpr14_vgpr15
	s_waitcnt vmcnt(2)
	v_cvt_f32_f16_e32 v34, v28
	v_cvt_f32_f16_sdwa v28, v28 dst_sel:DWORD dst_unused:UNUSED_PAD src0_sel:WORD_1
	s_waitcnt vmcnt(1)
	v_cvt_f32_f16_e32 v37, v30
	v_cvt_f32_f16_sdwa v30, v30 dst_sel:DWORD dst_unused:UNUSED_PAD src0_sel:WORD_1
	v_cvt_f32_f16_e32 v35, v29
	v_cvt_f32_f16_sdwa v29, v29 dst_sel:DWORD dst_unused:UNUSED_PAD src0_sel:WORD_1
	;; [unrolled: 2-line block ×3, first 2 shown]
	v_add_f32_e32 v34, v34, v37
	v_add_f32_e32 v28, v28, v30
	;; [unrolled: 1-line block ×4, first 2 shown]
	v_fma_mixlo_f16 v31, v36, v34, 0
	v_fma_mixlo_f16 v28, v36, v28, 0
	;; [unrolled: 1-line block ×4, first 2 shown]
	s_waitcnt vmcnt(0)
	v_mul_f16_e32 v31, v32, v31
	v_mul_f16_sdwa v28, v32, v28 dst_sel:DWORD dst_unused:UNUSED_PAD src0_sel:WORD_1 src1_sel:DWORD
	v_mul_f16_e32 v30, v33, v30
	v_mul_f16_sdwa v29, v33, v29 dst_sel:DWORD dst_unused:UNUSED_PAD src0_sel:WORD_1 src1_sel:DWORD
	v_cvt_f32_f16_e64 v31, |v31|
	v_cvt_f32_f16_e64 v28, |v28|
	v_cvt_f32_f16_e64 v30, |v30|
	v_cvt_f32_f16_e64 v29, |v29|
	v_max3_f32 v5, v5, v31, v28
	v_max3_f32 v5, v5, v30, v29
	s_and_saveexec_b64 s[40:41], vcc
	s_xor_b64 s[40:41], exec, s[40:41]
	s_cbranch_execz .LBB47_18
; %bb.24:                               ;   in Loop: Header=BB47_21 Depth=1
	v_mov_b32_e32 v27, s31
	v_add_co_u32_e32 v14, vcc, s30, v18
	v_addc_co_u32_e32 v15, vcc, v19, v27, vcc
	v_add_co_u32_e32 v18, vcc, s30, v22
	v_addc_co_u32_e32 v19, vcc, v23, v27, vcc
	global_load_dwordx2 v[14:15], v[14:15], off
	v_add_co_u32_e32 v20, vcc, s30, v20
	global_load_dwordx2 v[18:19], v[18:19], off
	v_addc_co_u32_e32 v21, vcc, v21, v27, vcc
	global_load_dwordx2 v[20:21], v[20:21], off
	s_add_u32 s17, s2, s2
	s_addc_u32 s42, s3, s3
	v_mov_b32_e32 v22, s25
	v_add_co_u32_e32 v12, vcc, s24, v12
	s_add_u32 s17, s17, s2
	v_addc_co_u32_e32 v1, vcc, v1, v22, vcc
	s_addc_u32 s42, s42, s3
	v_mov_b32_e32 v22, s42
	s_waitcnt vmcnt(2)
	v_cvt_f32_f16_e32 v23, v14
	v_cvt_f32_f16_sdwa v14, v14 dst_sel:DWORD dst_unused:UNUSED_PAD src0_sel:WORD_1
	v_cvt_f32_f16_e32 v27, v15
	s_waitcnt vmcnt(1)
	v_cvt_f32_f16_e32 v28, v18
	v_cvt_f32_f16_sdwa v18, v18 dst_sel:DWORD dst_unused:UNUSED_PAD src0_sel:WORD_1
	v_cvt_f32_f16_sdwa v15, v15 dst_sel:DWORD dst_unused:UNUSED_PAD src0_sel:WORD_1
	v_cvt_f32_f16_e32 v29, v19
	v_cvt_f32_f16_sdwa v19, v19 dst_sel:DWORD dst_unused:UNUSED_PAD src0_sel:WORD_1
	v_add_f32_e32 v23, v23, v28
	v_add_f32_e32 v14, v14, v18
	;; [unrolled: 1-line block ×4, first 2 shown]
	v_fma_mixlo_f16 v19, v36, v23, 0
	v_fma_mixlo_f16 v14, v36, v14, 0
	;; [unrolled: 1-line block ×4, first 2 shown]
	s_waitcnt vmcnt(0)
	v_mul_f16_e32 v19, v20, v19
	v_mul_f16_sdwa v14, v20, v14 dst_sel:DWORD dst_unused:UNUSED_PAD src0_sel:WORD_1 src1_sel:DWORD
	v_mul_f16_e32 v18, v21, v18
	v_mul_f16_sdwa v15, v21, v15 dst_sel:DWORD dst_unused:UNUSED_PAD src0_sel:WORD_1 src1_sel:DWORD
	v_cvt_f32_f16_e64 v19, |v19|
	v_cvt_f32_f16_e64 v20, |v14|
	;; [unrolled: 1-line block ×4, first 2 shown]
	v_add_co_u32_e32 v14, vcc, s17, v16
	v_addc_co_u32_e32 v15, vcc, v22, v17, vcc
	v_cmp_ge_i64_e32 vcc, v[14:15], v[10:11]
	v_max3_f32 v5, v5, v19, v20
	v_max3_f32 v5, v5, v18, v21
	s_orn2_b64 s[42:43], vcc, exec
	s_branch .LBB47_18
.LBB47_25:
	s_or_b64 exec, exec, s[28:29]
.LBB47_26:
	s_or_b64 exec, exec, s[22:23]
	s_lshr_b32 s7, s47, 6
	v_cvt_f32_u32_e32 v10, s7
	v_lshlrev_b32_e32 v1, 2, v0
	ds_write_b32 v1, v5
	s_sub_i32 s23, 0, s7
	v_rcp_iflag_f32_e32 v5, v10
	s_add_i32 s13, s16, s7
	s_add_i32 s13, s13, -1
	s_ashr_i32 s22, s13, 31
	v_mul_f32_e32 v5, 0x4f7ffffe, v5
	v_cvt_u32_f32_e32 v5, v5
	s_abs_i32 s13, s13
	s_ashr_i32 s17, s16, 31
	s_waitcnt lgkmcnt(0)
	v_readfirstlane_b32 s24, v5
	s_mul_i32 s23, s23, s24
	s_mul_hi_u32 s23, s24, s23
	s_add_i32 s24, s24, s23
	s_mul_hi_u32 s23, s13, s24
	s_mul_i32 s24, s23, s7
	s_sub_i32 s13, s13, s24
	s_add_i32 s24, s23, 1
	s_sub_i32 s25, s13, s7
	s_cmp_ge_u32 s13, s7
	s_cselect_b32 s23, s24, s23
	s_cselect_b32 s13, s25, s13
	s_add_i32 s24, s23, 1
	s_cmp_ge_u32 s13, s7
	s_cselect_b32 s13, s24, s23
	s_xor_b32 s13, s13, s22
	s_sub_i32 s22, s13, s22
	s_ashr_i32 s23, s22, 31
	v_cmp_lt_i64_e64 s[24:25], s[22:23], 1
	s_and_b64 vcc, exec, s[24:25]
	s_barrier
	s_cbranch_vccnz .LBB47_48
; %bb.27:
	v_and_b32_e32 v12, 63, v0
	v_add_co_u32_e32 v14, vcc, 32, v12
	v_addc_co_u32_e64 v15, s[24:25], 0, 0, vcc
	v_add_co_u32_e32 v16, vcc, 16, v12
	v_addc_co_u32_e64 v17, s[24:25], 0, 0, vcc
	v_add_co_u32_e32 v18, vcc, 8, v12
	v_lshrrev_b32_e32 v10, 6, v0
	v_addc_co_u32_e64 v19, s[24:25], 0, 0, vcc
	v_add_co_u32_e32 v20, vcc, 4, v12
	v_addc_co_u32_e64 v21, s[24:25], 0, 0, vcc
	v_add_co_u32_e32 v22, vcc, 2, v12
	v_mul_lo_u32 v5, s2, v10
	v_addc_co_u32_e64 v23, s[24:25], 0, 0, vcc
	v_add_co_u32_e32 v24, vcc, 1, v12
	v_lshlrev_b32_e32 v5, 2, v5
	v_lshlrev_b32_e32 v26, 2, v12
	s_movk_i32 s13, 0x100
	v_mov_b32_e32 v11, 0
	v_addc_co_u32_e64 v25, s[24:25], 0, 0, vcc
	v_add3_u32 v5, v5, v26, s13
	s_mul_i32 s13, s2, s7
	v_mov_b32_e32 v13, v11
	s_lshl_b32 s13, s13, 2
	s_mov_b64 s[24:25], 0
	v_mov_b32_e32 v37, s7
	s_mov_b64 s[26:27], src_shared_base
	s_branch .LBB47_30
.LBB47_28:                              ;   in Loop: Header=BB47_30 Depth=1
	s_or_b64 exec, exec, s[30:31]
	v_mov_b32_e32 v27, s27
	flat_load_dword v26, v[26:27] glc
	s_waitcnt vmcnt(0)
.LBB47_29:                              ;   in Loop: Header=BB47_30 Depth=1
	s_or_b64 exec, exec, s[28:29]
	s_add_u32 s24, s24, 1
	s_addc_u32 s25, s25, 0
	s_cmp_eq_u64 s[24:25], s[22:23]
	v_add_u32_e32 v5, s13, v5
	s_cbranch_scc1 .LBB47_48
.LBB47_30:                              ; =>This Loop Header: Depth=1
                                        ;     Child Loop BB47_33 Depth 2
	v_mad_u64_u32 v[30:31], s[28:29], s24, v37, v[10:11]
	s_mul_i32 s26, s25, s7
	v_add_u32_e32 v31, s26, v31
	v_cmp_gt_i64_e32 vcc, s[16:17], v[30:31]
	s_and_saveexec_b64 s[28:29], vcc
	s_cbranch_execz .LBB47_29
; %bb.31:                               ;   in Loop: Header=BB47_30 Depth=1
	v_pk_mov_b32 v[32:33], s[2:3], s[2:3] op_sel:[0,1]
	v_mul_lo_u32 v29, v31, s2
	v_mul_lo_u32 v38, v30, s3
	v_mad_u64_u32 v[32:33], s[30:31], v30, s2, v[32:33]
	v_add3_u32 v33, v29, v33, v38
	v_mov_b32_e32 v28, s21
	v_cmp_gt_i64_e32 vcc, s[20:21], v[32:33]
	s_waitcnt lgkmcnt(0)
	v_mad_u64_u32 v[26:27], s[30:31], v30, s2, v[12:13]
	v_cndmask_b32_e32 v33, v28, v33, vcc
	v_mov_b32_e32 v28, s20
	v_add3_u32 v27, v29, v27, v38
	v_cndmask_b32_e32 v32, v28, v32, vcc
	v_add_co_u32_e32 v34, vcc, 64, v26
	v_addc_co_u32_e32 v35, vcc, 0, v27, vcc
	v_cmp_lt_i64_e32 vcc, v[34:35], v[32:33]
	v_lshlrev_b32_e32 v28, 2, v26
	s_and_saveexec_b64 s[30:31], vcc
	s_cbranch_execz .LBB47_34
; %bb.32:                               ;   in Loop: Header=BB47_30 Depth=1
	ds_read_b32 v31, v28
	s_mov_b64 s[34:35], 0
	v_mov_b32_e32 v27, v5
.LBB47_33:                              ;   Parent Loop BB47_30 Depth=1
                                        ; =>  This Inner Loop Header: Depth=2
	ds_read_b32 v39, v27
	v_add_co_u32_e32 v34, vcc, 64, v34
	v_addc_co_u32_e32 v35, vcc, 0, v35, vcc
	s_waitcnt lgkmcnt(1)
	v_max_f32_e32 v31, v31, v31
	v_cmp_ge_i64_e32 vcc, v[34:35], v[32:33]
	s_waitcnt lgkmcnt(0)
	v_max_f32_e32 v39, v39, v39
	v_add_u32_e32 v27, 0x100, v27
	s_or_b64 s[34:35], vcc, s[34:35]
	v_max_f32_e32 v31, v31, v39
	ds_write_b32 v28, v31
	s_andn2_b64 exec, exec, s[34:35]
	s_cbranch_execnz .LBB47_33
.LBB47_34:                              ;   in Loop: Header=BB47_30 Depth=1
	s_or_b64 exec, exec, s[30:31]
	v_mad_u64_u32 v[30:31], s[30:31], v30, s2, 0
	v_add3_u32 v27, v31, v38, v29
	v_sub_co_u32_e32 v30, vcc, v32, v30
	v_subb_co_u32_e32 v31, vcc, v33, v27, vcc
	v_cmp_gt_i64_e32 vcc, 64, v[30:31]
	v_cndmask_b32_e32 v31, 0, v31, vcc
	v_cndmask_b32_e32 v30, 64, v30, vcc
	v_cmp_lt_i64_e32 vcc, v[14:15], v[30:31]
	s_and_saveexec_b64 s[30:31], vcc
	s_cbranch_execnz .LBB47_46
; %bb.35:                               ;   in Loop: Header=BB47_30 Depth=1
	s_or_b64 exec, exec, s[30:31]
	v_cmp_lt_i64_e32 vcc, v[16:17], v[30:31]
	s_and_saveexec_b64 s[30:31], vcc
	s_cbranch_execnz .LBB47_47
.LBB47_36:                              ;   in Loop: Header=BB47_30 Depth=1
	s_or_b64 exec, exec, s[30:31]
	v_cmp_lt_i64_e32 vcc, v[18:19], v[30:31]
	s_and_saveexec_b64 s[30:31], vcc
	s_cbranch_execz .LBB47_38
.LBB47_37:                              ;   in Loop: Header=BB47_30 Depth=1
	v_mov_b32_e32 v29, s27
	v_add_u32_e32 v32, 32, v28
	v_mov_b32_e32 v33, s27
	flat_load_dword v27, v[28:29] glc
	s_waitcnt vmcnt(0)
	flat_load_dword v34, v[32:33] glc
	s_waitcnt vmcnt(0) lgkmcnt(0)
	v_max_f32_e32 v27, v27, v27
	v_max_f32_e32 v32, v34, v34
	;; [unrolled: 1-line block ×3, first 2 shown]
	flat_store_dword v[28:29], v27
	s_waitcnt vmcnt(0)
.LBB47_38:                              ;   in Loop: Header=BB47_30 Depth=1
	s_or_b64 exec, exec, s[30:31]
	v_cmp_ge_i64_e32 vcc, v[20:21], v[30:31]
	s_and_saveexec_b64 s[30:31], vcc
	s_xor_b64 s[30:31], exec, s[30:31]
; %bb.39:                               ;   in Loop: Header=BB47_30 Depth=1
                                        ; implicit-def: $vgpr28
; %bb.40:                               ;   in Loop: Header=BB47_30 Depth=1
	s_andn2_saveexec_b64 s[30:31], s[30:31]
	s_cbranch_execz .LBB47_42
; %bb.41:                               ;   in Loop: Header=BB47_30 Depth=1
	v_mov_b32_e32 v29, s27
	v_add_u32_e32 v32, 16, v28
	v_mov_b32_e32 v33, s27
	flat_load_dword v27, v[28:29] glc
	s_waitcnt vmcnt(0)
	flat_load_dword v34, v[32:33] glc
	s_waitcnt vmcnt(0) lgkmcnt(0)
	v_max_f32_e32 v27, v27, v27
	v_max_f32_e32 v32, v34, v34
	;; [unrolled: 1-line block ×3, first 2 shown]
	flat_store_dword v[28:29], v27
	s_waitcnt vmcnt(0)
.LBB47_42:                              ;   in Loop: Header=BB47_30 Depth=1
	s_or_b64 exec, exec, s[30:31]
	v_cmp_lt_i64_e32 vcc, v[22:23], v[30:31]
	v_lshlrev_b32_e32 v26, 2, v26
	s_and_saveexec_b64 s[30:31], vcc
	s_cbranch_execz .LBB47_44
; %bb.43:                               ;   in Loop: Header=BB47_30 Depth=1
	v_mov_b32_e32 v27, s27
	v_add_u32_e32 v28, 8, v26
	v_mov_b32_e32 v29, s27
	flat_load_dword v32, v[26:27] glc
	s_waitcnt vmcnt(0)
	flat_load_dword v33, v[28:29] glc
	s_waitcnt vmcnt(0) lgkmcnt(0)
	v_max_f32_e32 v28, v32, v32
	v_max_f32_e32 v29, v33, v33
	;; [unrolled: 1-line block ×3, first 2 shown]
	flat_store_dword v[26:27], v28
	s_waitcnt vmcnt(0)
.LBB47_44:                              ;   in Loop: Header=BB47_30 Depth=1
	s_or_b64 exec, exec, s[30:31]
	v_cmp_lt_i64_e32 vcc, v[24:25], v[30:31]
	s_and_saveexec_b64 s[30:31], vcc
	s_cbranch_execz .LBB47_28
; %bb.45:                               ;   in Loop: Header=BB47_30 Depth=1
	v_mov_b32_e32 v27, s27
	v_add_u32_e32 v28, 4, v26
	v_mov_b32_e32 v29, s27
	flat_load_dword v30, v[26:27] glc
	s_waitcnt vmcnt(0)
	flat_load_dword v31, v[28:29] glc
	s_waitcnt vmcnt(0) lgkmcnt(0)
	v_max_f32_e32 v28, v30, v30
	v_max_f32_e32 v29, v31, v31
	;; [unrolled: 1-line block ×3, first 2 shown]
	flat_store_dword v[26:27], v28
	s_waitcnt vmcnt(0)
	s_branch .LBB47_28
.LBB47_46:                              ;   in Loop: Header=BB47_30 Depth=1
	v_mov_b32_e32 v29, s27
	v_add_u32_e32 v32, 0x80, v28
	v_mov_b32_e32 v33, s27
	flat_load_dword v27, v[28:29] glc
	s_waitcnt vmcnt(0)
	flat_load_dword v34, v[32:33] glc
	s_waitcnt vmcnt(0) lgkmcnt(0)
	v_max_f32_e32 v27, v27, v27
	v_max_f32_e32 v32, v34, v34
	;; [unrolled: 1-line block ×3, first 2 shown]
	flat_store_dword v[28:29], v27
	s_waitcnt vmcnt(0)
	s_or_b64 exec, exec, s[30:31]
	v_cmp_lt_i64_e32 vcc, v[16:17], v[30:31]
	s_and_saveexec_b64 s[30:31], vcc
	s_cbranch_execz .LBB47_36
.LBB47_47:                              ;   in Loop: Header=BB47_30 Depth=1
	v_mov_b32_e32 v29, s27
	v_add_u32_e32 v32, 64, v28
	v_mov_b32_e32 v33, s27
	flat_load_dword v27, v[28:29] glc
	s_waitcnt vmcnt(0)
	flat_load_dword v34, v[32:33] glc
	s_waitcnt vmcnt(0) lgkmcnt(0)
	v_max_f32_e32 v27, v27, v27
	v_max_f32_e32 v32, v34, v34
	;; [unrolled: 1-line block ×3, first 2 shown]
	flat_store_dword v[28:29], v27
	s_waitcnt vmcnt(0)
	s_or_b64 exec, exec, s[30:31]
	v_cmp_lt_i64_e32 vcc, v[18:19], v[30:31]
	s_and_saveexec_b64 s[30:31], vcc
	s_cbranch_execnz .LBB47_37
	s_branch .LBB47_38
.LBB47_48:
	v_cmp_eq_u32_e32 vcc, 0, v4
	v_cmp_lt_i64_e64 s[2:3], v[6:7], v[8:9]
	s_and_b64 s[22:23], vcc, s[2:3]
	s_mul_i32 s17, s17, s6
	s_mul_hi_u32 s20, s16, s6
	s_mul_i32 s2, s16, s6
	s_waitcnt lgkmcnt(0)
	s_barrier
	s_and_saveexec_b64 s[6:7], s[22:23]
	s_cbranch_execz .LBB47_52
; %bb.49:
	s_load_dwordx2 s[4:5], s[4:5], 0x20
	ds_read_b32 v1, v1
	s_waitcnt lgkmcnt(0)
	s_cmp_eq_u64 s[4:5], 0
	s_cbranch_scc1 .LBB47_51
; %bb.50:
	s_load_dword s3, s[4:5], 0x0
	v_max_f32_e32 v1, v1, v1
	s_waitcnt lgkmcnt(0)
	v_max_f32_e64 v4, s3, s3
	v_min_f32_e32 v1, v1, v4
.LBB47_51:
	s_mov_b32 s3, 0x42fe0000
	v_div_scale_f32 v4, s[4:5], s3, s3, v1
	v_rcp_f32_e32 v5, v4
	v_div_scale_f32 v6, vcc, v1, s3, v1
	v_lshlrev_b64 v[2:3], 2, v[2:3]
	v_fma_f32 v7, -v4, v5, 1.0
	v_fmac_f32_e32 v5, v7, v5
	v_mul_f32_e32 v7, v6, v5
	v_fma_f32 v8, -v4, v7, v6
	v_fmac_f32_e32 v7, v8, v5
	v_fma_f32 v4, -v4, v7, v6
	v_div_fmas_f32 v4, v4, v5, v7
	v_div_fixup_f32 v1, v4, s3, v1
	s_add_i32 s3, s20, s17
	s_lshl_b64 s[4:5], s[2:3], 2
	s_add_u32 s3, s10, s4
	s_addc_u32 s4, s11, s5
	v_mov_b32_e32 v4, s4
	v_add_co_u32_e32 v2, vcc, s3, v2
	v_max_f32_e32 v1, 0x34000000, v1
	v_addc_co_u32_e32 v3, vcc, v4, v3, vcc
	global_store_dword v[2:3], v1, off
.LBB47_52:
	s_or_b64 exec, exec, s[6:7]
	s_barrier
	s_and_saveexec_b64 s[4:5], s[0:1]
	s_cbranch_execz .LBB47_61
; %bb.53:
	s_add_u32 s13, s8, s18
	s_addc_u32 s18, s9, s19
	s_add_i32 s3, s20, s17
	s_lshl_b64 s[0:1], s[2:3], 2
	s_add_u32 s2, s10, s0
	s_addc_u32 s3, s11, s1
	s_add_i32 s23, s47, s47
	s_mul_i32 s19, s47, 3
	s_lshl_b32 s20, s47, 1
	s_mov_b64 s[4:5], 0
	v_mov_b32_e32 v1, 0
	v_mov_b32_e32 v6, s44
	;; [unrolled: 1-line block ×4, first 2 shown]
	s_mov_b32 s21, 0x42fe0000
	v_mov_b32_e32 v9, 0x42fe0000
	s_mov_b32 s22, 0xc3000000
	v_mov_b32_e32 v10, 0xc3000000
	v_mov_b32_e32 v11, s18
	s_add_i32 s23, s23, s47
	v_mov_b32_e32 v12, 8
                                        ; implicit-def: $sgpr6_sgpr7
	s_branch .LBB47_57
.LBB47_54:                              ;   in Loop: Header=BB47_57 Depth=1
	s_or_b64 exec, exec, s[16:17]
	s_orn2_b64 s[16:17], s[0:1], exec
.LBB47_55:                              ;   in Loop: Header=BB47_57 Depth=1
	s_or_b64 exec, exec, s[10:11]
	s_andn2_b64 s[0:1], s[6:7], exec
	s_and_b64 s[6:7], s[16:17], exec
	s_or_b64 s[6:7], s[0:1], s[6:7]
.LBB47_56:                              ;   in Loop: Header=BB47_57 Depth=1
	s_or_b64 exec, exec, s[8:9]
	s_and_b64 s[0:1], exec, s[6:7]
	s_or_b64 s[4:5], s[0:1], s[4:5]
	s_andn2_b64 exec, exec, s[4:5]
	s_cbranch_execz .LBB47_61
.LBB47_57:                              ; =>This Inner Loop Header: Depth=1
	v_lshlrev_b64 v[2:3], 3, v[0:1]
	v_add_co_u32_e32 v4, vcc, s33, v2
	v_addc_co_u32_e32 v5, vcc, v6, v3, vcc
	v_lshrrev_b32_e32 v13, 3, v0
	global_load_dwordx2 v[14:15], v[4:5], off
	v_add_co_u32_e32 v4, vcc, s45, v2
	v_and_b32_e32 v13, 0x7fffffc, v13
	v_addc_co_u32_e32 v5, vcc, v8, v3, vcc
	global_load_dword v13, v13, s[2:3]
	v_add_co_u32_e32 v2, vcc, s14, v2
	global_load_dwordx2 v[16:17], v[4:5], off
	v_addc_co_u32_e32 v3, vcc, v7, v3, vcc
	global_load_dwordx2 v[18:19], v[2:3], off
	v_lshlrev_b64 v[20:21], 2, v[0:1]
	v_add_co_u32_e32 v20, vcc, s13, v20
	v_addc_co_u32_e32 v21, vcc, v11, v21, vcc
	v_add_u32_e32 v2, s47, v0
	v_cmp_gt_u32_e64 s[0:1], s12, v2
	s_or_b64 s[6:7], s[6:7], exec
	s_waitcnt vmcnt(3)
	v_cvt_f32_f16_e32 v24, v14
	v_cvt_f32_f16_sdwa v25, v14 dst_sel:DWORD dst_unused:UNUSED_PAD src0_sel:WORD_1
	v_cvt_f32_f16_e32 v22, v15
	v_cvt_f32_f16_sdwa v23, v15 dst_sel:DWORD dst_unused:UNUSED_PAD src0_sel:WORD_1
	s_waitcnt vmcnt(2)
	v_div_scale_f32 v3, s[8:9], v13, v13, 1.0
	v_rcp_f32_e32 v29, v3
	s_waitcnt vmcnt(1)
	v_cvt_f32_f16_e32 v26, v16
	v_cvt_f32_f16_sdwa v27, v16 dst_sel:DWORD dst_unused:UNUSED_PAD src0_sel:WORD_1
	v_cvt_f32_f16_e32 v14, v17
	v_cvt_f32_f16_sdwa v15, v17 dst_sel:DWORD dst_unused:UNUSED_PAD src0_sel:WORD_1
	v_div_scale_f32 v28, vcc, 1.0, v13, 1.0
	v_pk_add_f32 v[16:17], v[24:25], v[26:27]
	v_fma_f32 v26, -v3, v29, 1.0
	v_cvt_f16_f32_e32 v24, v17
	v_cvt_f16_f32_e32 v25, v16
	v_fma_mixlo_f16 v16, v36, v16, 0
	v_fma_mixlo_f16 v17, v36, v17, 0
	v_fmac_f32_e32 v29, v26, v29
	v_pk_add_f32 v[14:15], v[22:23], v[14:15]
	s_waitcnt vmcnt(0)
	v_mul_f16_e32 v16, v18, v16
	v_mul_f16_sdwa v17, v18, v17 dst_sel:DWORD dst_unused:UNUSED_PAD src0_sel:WORD_1 src1_sel:DWORD
	v_mul_f32_e32 v18, v28, v29
	v_cvt_f16_f32_e32 v22, v15
	v_cvt_f16_f32_e32 v23, v14
	v_fma_f32 v27, -v3, v18, v28
	v_fma_mixlo_f16 v14, v36, v14, 0
	v_cvt_f32_f16_e32 v16, v16
	v_fmac_f32_e32 v18, v27, v29
	v_fma_mixlo_f16 v15, v36, v15, 0
	v_mul_f16_e32 v14, v19, v14
	v_cvt_f32_f16_e32 v17, v17
	v_fma_f32 v3, -v3, v18, v28
	v_mul_f16_sdwa v15, v19, v15 dst_sel:DWORD dst_unused:UNUSED_PAD src0_sel:WORD_1 src1_sel:DWORD
	v_cvt_f32_f16_e32 v19, v14
	v_div_fmas_f32 v3, v3, v29, v18
	v_cvt_f32_f16_e32 v26, v15
	v_pack_b32_f16 v15, v23, v22
	v_pack_b32_f16 v14, v25, v24
	v_div_fixup_f32 v3, v3, v13, 1.0
	global_store_dwordx2 v[4:5], v[14:15], off
	v_mul_f32_e32 v4, v3, v16
	v_mul_f32_e32 v5, v3, v17
	v_rndne_f32_e32 v4, v4
	v_mul_f32_e32 v13, v3, v19
	v_rndne_f32_e32 v5, v5
	v_cmp_nlt_f32_e32 vcc, s21, v4
	v_mul_f32_e32 v3, v3, v26
	v_rndne_f32_e32 v13, v13
	v_cndmask_b32_e32 v14, v9, v4, vcc
	v_cmp_nlt_f32_e32 vcc, s21, v5
	v_rndne_f32_e32 v3, v3
	v_cndmask_b32_e32 v15, v9, v5, vcc
	v_cmp_nlt_f32_e32 vcc, s21, v13
	v_cndmask_b32_e32 v16, v9, v13, vcc
	v_cmp_nlt_f32_e32 vcc, s21, v3
	v_cndmask_b32_e32 v17, v9, v3, vcc
	v_cmp_ngt_f32_e32 vcc, s22, v4
	v_cndmask_b32_e32 v4, v10, v14, vcc
	v_cmp_ngt_f32_e32 vcc, s22, v5
	v_cndmask_b32_e32 v5, v10, v15, vcc
	v_cmp_ngt_f32_e32 vcc, s22, v13
	v_cndmask_b32_e32 v13, v10, v16, vcc
	v_cmp_ngt_f32_e32 vcc, s22, v3
	v_cvt_i32_f32_e32 v13, v13
	v_cndmask_b32_e32 v3, v10, v17, vcc
	v_cvt_i32_f32_e32 v5, v5
	v_cvt_i32_f32_e32 v4, v4
	;; [unrolled: 1-line block ×3, first 2 shown]
	v_and_b32_e32 v13, 0xff, v13
	v_lshlrev_b32_e32 v13, 16, v13
	v_lshlrev_b32_sdwa v5, v12, v5 dst_sel:DWORD dst_unused:UNUSED_PAD src0_sel:DWORD src1_sel:BYTE_0
	v_and_b32_e32 v4, 0xff, v4
	v_lshl_or_b32 v3, v3, 24, v13
	v_or3_b32 v3, v3, v5, v4
	global_store_dword v[20:21], v3, off
	s_and_saveexec_b64 s[8:9], s[0:1]
	s_cbranch_execz .LBB47_56
; %bb.58:                               ;   in Loop: Header=BB47_57 Depth=1
	v_mov_b32_e32 v3, v1
	v_lshlrev_b64 v[4:5], 3, v[2:3]
	v_add_co_u32_e32 v14, vcc, s33, v4
	v_addc_co_u32_e32 v15, vcc, v6, v5, vcc
	v_lshrrev_b32_e32 v13, 3, v2
	v_and_b32_e32 v13, 0x7fffffc, v13
	v_add_co_u32_e32 v16, vcc, s45, v4
	global_load_dword v13, v13, s[2:3]
	v_addc_co_u32_e32 v17, vcc, v8, v5, vcc
	global_load_dwordx2 v[14:15], v[14:15], off
	v_add_co_u32_e32 v4, vcc, s14, v4
	global_load_dwordx2 v[18:19], v[16:17], off
	v_addc_co_u32_e32 v5, vcc, v7, v5, vcc
	global_load_dwordx2 v[20:21], v[4:5], off
	v_lshlrev_b64 v[22:23], 2, v[2:3]
	v_add_co_u32_e32 v22, vcc, s13, v22
	v_addc_co_u32_e32 v23, vcc, v11, v23, vcc
	v_add_u32_e32 v4, s20, v0
	v_cmp_gt_u32_e64 s[0:1], s12, v4
	s_mov_b64 s[16:17], -1
	s_waitcnt vmcnt(3)
	v_div_scale_f32 v3, s[10:11], v13, v13, 1.0
	v_rcp_f32_e32 v5, v3
	s_waitcnt vmcnt(2)
	v_cvt_f32_f16_e32 v24, v15
	v_cvt_f32_f16_sdwa v25, v15 dst_sel:DWORD dst_unused:UNUSED_PAD src0_sel:WORD_1
	v_cvt_f32_f16_e32 v26, v14
	v_cvt_f32_f16_sdwa v27, v14 dst_sel:DWORD dst_unused:UNUSED_PAD src0_sel:WORD_1
	s_waitcnt vmcnt(1)
	v_cvt_f32_f16_e32 v14, v19
	v_cvt_f32_f16_sdwa v15, v19 dst_sel:DWORD dst_unused:UNUSED_PAD src0_sel:WORD_1
	v_cvt_f32_f16_e32 v28, v18
	v_cvt_f32_f16_sdwa v29, v18 dst_sel:DWORD dst_unused:UNUSED_PAD src0_sel:WORD_1
	v_div_scale_f32 v30, vcc, 1.0, v13, 1.0
	v_pk_add_f32 v[14:15], v[24:25], v[14:15]
	v_fma_f32 v24, -v3, v5, 1.0
	v_pk_add_f32 v[18:19], v[26:27], v[28:29]
	v_fmac_f32_e32 v5, v24, v5
	v_cvt_f16_f32_e32 v27, v19
	v_cvt_f16_f32_e32 v28, v18
	v_fma_mixlo_f16 v18, v36, v18, 0
	v_fma_mixlo_f16 v19, v36, v19, 0
	v_mul_f32_e32 v24, v30, v5
	s_waitcnt vmcnt(0)
	v_mul_f16_e32 v18, v20, v18
	v_mul_f16_sdwa v19, v20, v19 dst_sel:DWORD dst_unused:UNUSED_PAD src0_sel:WORD_1 src1_sel:DWORD
	v_fma_f32 v20, -v3, v24, v30
	v_cvt_f16_f32_e32 v26, v14
	v_fma_mixlo_f16 v14, v36, v14, 0
	v_cvt_f32_f16_e32 v18, v18
	v_fmac_f32_e32 v24, v20, v5
	v_cvt_f16_f32_e32 v25, v15
	v_fma_mixlo_f16 v15, v36, v15, 0
	v_mul_f16_e32 v14, v21, v14
	v_cvt_f32_f16_e32 v19, v19
	v_fma_f32 v3, -v3, v24, v30
	v_mul_f16_sdwa v15, v21, v15 dst_sel:DWORD dst_unused:UNUSED_PAD src0_sel:WORD_1 src1_sel:DWORD
	v_cvt_f32_f16_e32 v21, v14
	v_div_fmas_f32 v3, v3, v5, v24
	v_cvt_f32_f16_e32 v29, v15
	v_div_fixup_f32 v3, v3, v13, 1.0
	v_mul_f32_e32 v5, v3, v18
	v_pack_b32_f16 v15, v26, v25
	v_pack_b32_f16 v14, v28, v27
	v_mul_f32_e32 v13, v3, v19
	v_rndne_f32_e32 v5, v5
	global_store_dwordx2 v[16:17], v[14:15], off
	v_mul_f32_e32 v14, v3, v21
	v_rndne_f32_e32 v13, v13
	v_cmp_nlt_f32_e32 vcc, s21, v5
	v_mul_f32_e32 v3, v3, v29
	v_rndne_f32_e32 v14, v14
	v_cndmask_b32_e32 v15, v9, v5, vcc
	v_cmp_nlt_f32_e32 vcc, s21, v13
	v_rndne_f32_e32 v3, v3
	v_cndmask_b32_e32 v16, v9, v13, vcc
	v_cmp_nlt_f32_e32 vcc, s21, v14
	v_cndmask_b32_e32 v17, v9, v14, vcc
	v_cmp_nlt_f32_e32 vcc, s21, v3
	v_cndmask_b32_e32 v18, v9, v3, vcc
	v_cmp_ngt_f32_e32 vcc, s22, v5
	v_cndmask_b32_e32 v5, v10, v15, vcc
	v_cmp_ngt_f32_e32 vcc, s22, v13
	;; [unrolled: 2-line block ×4, first 2 shown]
	v_cvt_i32_f32_e32 v14, v14
	v_cndmask_b32_e32 v3, v10, v18, vcc
	v_cvt_i32_f32_e32 v13, v13
	v_cvt_i32_f32_e32 v5, v5
	v_cvt_i32_f32_e32 v3, v3
	v_and_b32_e32 v14, 0xff, v14
	v_lshlrev_b32_e32 v14, 16, v14
	v_lshlrev_b32_sdwa v13, v12, v13 dst_sel:DWORD dst_unused:UNUSED_PAD src0_sel:DWORD src1_sel:BYTE_0
	v_and_b32_e32 v5, 0xff, v5
	v_lshl_or_b32 v3, v3, 24, v14
	v_or3_b32 v3, v3, v13, v5
	global_store_dword v[22:23], v3, off
	s_and_saveexec_b64 s[10:11], s[0:1]
	s_cbranch_execz .LBB47_55
; %bb.59:                               ;   in Loop: Header=BB47_57 Depth=1
	v_mov_b32_e32 v5, v1
	v_lshlrev_b64 v[14:15], 3, v[4:5]
	v_mov_b32_e32 v3, s44
	v_add_co_u32_e32 v16, vcc, s33, v14
	v_addc_co_u32_e32 v17, vcc, v3, v15, vcc
	v_lshrrev_b32_e32 v13, 3, v4
	v_mov_b32_e32 v3, s46
	v_and_b32_e32 v13, 0x7fffffc, v13
	v_add_co_u32_e32 v18, vcc, s45, v14
	global_load_dword v13, v13, s[2:3]
	v_addc_co_u32_e32 v19, vcc, v3, v15, vcc
	global_load_dwordx2 v[16:17], v[16:17], off
	v_mov_b32_e32 v3, s15
	global_load_dwordx2 v[20:21], v[18:19], off
	v_add_co_u32_e32 v14, vcc, s14, v14
	v_addc_co_u32_e32 v15, vcc, v3, v15, vcc
	global_load_dwordx2 v[14:15], v[14:15], off
	v_lshlrev_b64 v[4:5], 2, v[4:5]
	v_mov_b32_e32 v3, s18
	v_add_co_u32_e32 v4, vcc, s13, v4
	v_addc_co_u32_e32 v5, vcc, v3, v5, vcc
	v_add_u32_e32 v0, s19, v0
	s_waitcnt vmcnt(3)
	v_div_scale_f32 v3, s[0:1], v13, v13, 1.0
	v_rcp_f32_e32 v28, v3
	s_waitcnt vmcnt(2)
	v_cvt_f32_f16_e32 v22, v17
	v_cvt_f32_f16_sdwa v23, v17 dst_sel:DWORD dst_unused:UNUSED_PAD src0_sel:WORD_1
	v_cvt_f32_f16_e32 v24, v16
	v_cvt_f32_f16_sdwa v25, v16 dst_sel:DWORD dst_unused:UNUSED_PAD src0_sel:WORD_1
	s_waitcnt vmcnt(1)
	v_cvt_f32_f16_e32 v16, v21
	v_cvt_f32_f16_sdwa v17, v21 dst_sel:DWORD dst_unused:UNUSED_PAD src0_sel:WORD_1
	v_cvt_f32_f16_e32 v26, v20
	v_cvt_f32_f16_sdwa v27, v20 dst_sel:DWORD dst_unused:UNUSED_PAD src0_sel:WORD_1
	v_div_scale_f32 v29, vcc, 1.0, v13, 1.0
	v_pk_add_f32 v[16:17], v[22:23], v[16:17]
	v_fma_f32 v22, -v3, v28, 1.0
	v_pk_add_f32 v[20:21], v[24:25], v[26:27]
	v_fmac_f32_e32 v28, v22, v28
	v_cvt_f16_f32_e32 v23, v17
	v_cvt_f16_f32_e32 v24, v16
	;; [unrolled: 1-line block ×3, first 2 shown]
	v_fma_mixlo_f16 v20, v36, v20, 0
	v_fma_mixlo_f16 v16, v36, v16, 0
	;; [unrolled: 1-line block ×3, first 2 shown]
	v_mul_f32_e32 v22, v29, v28
	v_cvt_f16_f32_e32 v25, v21
	v_fma_mixlo_f16 v21, v36, v21, 0
	s_waitcnt vmcnt(0)
	v_mul_f16_e32 v20, v14, v20
	v_mul_f16_e32 v16, v15, v16
	v_mul_f16_sdwa v15, v15, v17 dst_sel:DWORD dst_unused:UNUSED_PAD src0_sel:WORD_1 src1_sel:DWORD
	v_fma_f32 v17, -v3, v22, v29
	v_mul_f16_sdwa v14, v14, v21 dst_sel:DWORD dst_unused:UNUSED_PAD src0_sel:WORD_1 src1_sel:DWORD
	v_cvt_f32_f16_e32 v20, v20
	v_fmac_f32_e32 v22, v17, v28
	v_cvt_f32_f16_e32 v21, v14
	v_fma_f32 v3, -v3, v22, v29
	v_cvt_f32_f16_e32 v16, v16
	v_div_fmas_f32 v3, v3, v28, v22
	v_cvt_f32_f16_e32 v27, v15
	v_div_fixup_f32 v3, v3, v13, 1.0
	v_pack_b32_f16 v15, v24, v23
	v_pack_b32_f16 v14, v26, v25
	v_mul_f32_e32 v13, v3, v20
	global_store_dwordx2 v[18:19], v[14:15], off
	v_mul_f32_e32 v14, v3, v21
	v_rndne_f32_e32 v13, v13
	v_mul_f32_e32 v15, v3, v16
	v_rndne_f32_e32 v14, v14
	v_cmp_nlt_f32_e32 vcc, s21, v13
	v_mul_f32_e32 v3, v3, v27
	v_rndne_f32_e32 v15, v15
	v_cndmask_b32_e32 v16, v9, v13, vcc
	v_cmp_nlt_f32_e32 vcc, s21, v14
	v_rndne_f32_e32 v3, v3
	v_cndmask_b32_e32 v17, v9, v14, vcc
	v_cmp_nlt_f32_e32 vcc, s21, v15
	v_cndmask_b32_e32 v18, v9, v15, vcc
	v_cmp_nlt_f32_e32 vcc, s21, v3
	v_cndmask_b32_e32 v19, v9, v3, vcc
	v_cmp_ngt_f32_e32 vcc, s22, v13
	v_cndmask_b32_e32 v13, v10, v16, vcc
	v_cmp_ngt_f32_e32 vcc, s22, v14
	;; [unrolled: 2-line block ×4, first 2 shown]
	v_cvt_i32_f32_e32 v15, v15
	v_cndmask_b32_e32 v3, v10, v19, vcc
	v_cvt_i32_f32_e32 v14, v14
	v_cvt_i32_f32_e32 v13, v13
	;; [unrolled: 1-line block ×3, first 2 shown]
	v_and_b32_e32 v15, 0xff, v15
	v_lshlrev_b32_e32 v15, 16, v15
	v_lshlrev_b32_sdwa v14, v12, v14 dst_sel:DWORD dst_unused:UNUSED_PAD src0_sel:DWORD src1_sel:BYTE_0
	v_and_b32_e32 v13, 0xff, v13
	v_lshl_or_b32 v3, v3, 24, v15
	v_or3_b32 v3, v3, v14, v13
	v_cmp_gt_u32_e32 vcc, s12, v0
	s_mov_b64 s[0:1], -1
	global_store_dword v[4:5], v3, off
	s_and_saveexec_b64 s[16:17], vcc
	s_cbranch_execz .LBB47_54
; %bb.60:                               ;   in Loop: Header=BB47_57 Depth=1
	v_lshlrev_b64 v[14:15], 3, v[0:1]
	v_mov_b32_e32 v3, s44
	v_add_co_u32_e32 v4, vcc, s33, v14
	v_addc_co_u32_e32 v5, vcc, v3, v15, vcc
	v_mov_b32_e32 v3, s46
	global_load_dwordx2 v[16:17], v[4:5], off
	v_add_co_u32_e32 v4, vcc, s45, v14
	v_addc_co_u32_e32 v5, vcc, v3, v15, vcc
	v_lshrrev_b32_e32 v3, 3, v0
	v_and_b32_e32 v3, 0x7fffffc, v3
	global_load_dwordx2 v[18:19], v[4:5], off
	global_load_dword v13, v3, s[2:3]
	v_mov_b32_e32 v3, s15
	v_add_co_u32_e32 v14, vcc, s14, v14
	v_addc_co_u32_e32 v15, vcc, v3, v15, vcc
	global_load_dwordx2 v[14:15], v[14:15], off
	v_lshlrev_b64 v[20:21], 2, v[0:1]
	v_mov_b32_e32 v3, s18
	v_add_u32_e32 v0, s23, v2
	v_add_co_u32_e32 v2, vcc, s13, v20
	v_addc_co_u32_e32 v3, vcc, v3, v21, vcc
	v_cmp_le_u32_e64 s[0:1], s12, v0
	s_orn2_b64 s[0:1], s[0:1], exec
	s_waitcnt vmcnt(3)
	v_cvt_f32_f16_e32 v20, v17
	v_cvt_f32_f16_sdwa v21, v17 dst_sel:DWORD dst_unused:UNUSED_PAD src0_sel:WORD_1
	v_cvt_f32_f16_e32 v22, v16
	v_cvt_f32_f16_sdwa v23, v16 dst_sel:DWORD dst_unused:UNUSED_PAD src0_sel:WORD_1
	s_waitcnt vmcnt(2)
	v_cvt_f32_f16_e32 v16, v19
	v_cvt_f32_f16_sdwa v17, v19 dst_sel:DWORD dst_unused:UNUSED_PAD src0_sel:WORD_1
	v_cvt_f32_f16_e32 v24, v18
	v_cvt_f32_f16_sdwa v25, v18 dst_sel:DWORD dst_unused:UNUSED_PAD src0_sel:WORD_1
	s_waitcnt vmcnt(1)
	v_div_scale_f32 v26, s[24:25], v13, v13, 1.0
	v_rcp_f32_e32 v28, v26
	v_pk_add_f32 v[18:19], v[22:23], v[24:25]
	v_pk_add_f32 v[16:17], v[20:21], v[16:17]
	v_cvt_f16_f32_e32 v20, v17
	v_cvt_f16_f32_e32 v21, v16
	;; [unrolled: 1-line block ×4, first 2 shown]
	v_fma_f32 v24, -v26, v28, 1.0
	v_div_scale_f32 v27, vcc, 1.0, v13, 1.0
	v_fma_mixlo_f16 v16, v36, v16, 0
	v_fma_mixlo_f16 v17, v36, v17, 0
	v_fmac_f32_e32 v28, v24, v28
	v_fma_mixlo_f16 v18, v36, v18, 0
	v_fma_mixlo_f16 v19, v36, v19, 0
	s_waitcnt vmcnt(0)
	v_mul_f16_e32 v16, v15, v16
	v_mul_f16_sdwa v15, v15, v17 dst_sel:DWORD dst_unused:UNUSED_PAD src0_sel:WORD_1 src1_sel:DWORD
	v_mul_f32_e32 v17, v27, v28
	v_mul_f16_e32 v18, v14, v18
	v_mul_f16_sdwa v14, v14, v19 dst_sel:DWORD dst_unused:UNUSED_PAD src0_sel:WORD_1 src1_sel:DWORD
	v_fma_f32 v25, -v26, v17, v27
	v_cvt_f32_f16_e32 v18, v18
	v_cvt_f32_f16_e32 v19, v14
	v_cvt_f32_f16_e32 v24, v15
	v_pack_b32_f16 v15, v21, v20
	v_pack_b32_f16 v14, v23, v22
	v_fmac_f32_e32 v17, v25, v28
	global_store_dwordx2 v[4:5], v[14:15], off
	v_fma_f32 v4, -v26, v17, v27
	v_cvt_f32_f16_e32 v16, v16
	v_div_fmas_f32 v4, v4, v28, v17
	v_div_fixup_f32 v4, v4, v13, 1.0
	v_mul_f32_e32 v5, v4, v18
	v_mul_f32_e32 v13, v4, v19
	v_rndne_f32_e32 v5, v5
	v_mul_f32_e32 v14, v4, v16
	v_rndne_f32_e32 v13, v13
	v_cmp_nlt_f32_e32 vcc, s21, v5
	v_mul_f32_e32 v4, v4, v24
	v_rndne_f32_e32 v14, v14
	v_cndmask_b32_e32 v15, v9, v5, vcc
	v_cmp_nlt_f32_e32 vcc, s21, v13
	v_rndne_f32_e32 v4, v4
	v_cndmask_b32_e32 v16, v9, v13, vcc
	v_cmp_nlt_f32_e32 vcc, s21, v14
	v_cndmask_b32_e32 v17, v9, v14, vcc
	v_cmp_nlt_f32_e32 vcc, s21, v4
	v_cndmask_b32_e32 v18, v9, v4, vcc
	v_cmp_ngt_f32_e32 vcc, s22, v5
	v_cndmask_b32_e32 v5, v10, v15, vcc
	v_cmp_ngt_f32_e32 vcc, s22, v13
	;; [unrolled: 2-line block ×4, first 2 shown]
	v_cvt_i32_f32_e32 v14, v14
	v_cndmask_b32_e32 v4, v10, v18, vcc
	v_cvt_i32_f32_e32 v13, v13
	v_cvt_i32_f32_e32 v5, v5
	;; [unrolled: 1-line block ×3, first 2 shown]
	v_and_b32_e32 v14, 0xff, v14
	v_lshlrev_b32_e32 v14, 16, v14
	v_lshlrev_b32_sdwa v13, v12, v13 dst_sel:DWORD dst_unused:UNUSED_PAD src0_sel:DWORD src1_sel:BYTE_0
	v_and_b32_e32 v5, 0xff, v5
	v_lshl_or_b32 v4, v4, 24, v14
	v_or3_b32 v4, v4, v13, v5
	global_store_dword v[2:3], v4, off
	s_branch .LBB47_54
.LBB47_61:
	s_endpgm
	.section	.rodata,"a",@progbits
	.p2align	6, 0x0
	.amdhsa_kernel _ZN4vllm31rms_norm_per_block_quant_kernelIN3c104HalfEaLb1ELb0ELi128EEEvPT0_PfPKT_S8_PKffiiPS6_l
		.amdhsa_group_segment_fixed_size 4164
		.amdhsa_private_segment_fixed_size 0
		.amdhsa_kernarg_size 328
		.amdhsa_user_sgpr_count 6
		.amdhsa_user_sgpr_private_segment_buffer 1
		.amdhsa_user_sgpr_dispatch_ptr 0
		.amdhsa_user_sgpr_queue_ptr 0
		.amdhsa_user_sgpr_kernarg_segment_ptr 1
		.amdhsa_user_sgpr_dispatch_id 0
		.amdhsa_user_sgpr_flat_scratch_init 0
		.amdhsa_user_sgpr_kernarg_preload_length 0
		.amdhsa_user_sgpr_kernarg_preload_offset 0
		.amdhsa_user_sgpr_private_segment_size 0
		.amdhsa_uses_dynamic_stack 0
		.amdhsa_system_sgpr_private_segment_wavefront_offset 0
		.amdhsa_system_sgpr_workgroup_id_x 1
		.amdhsa_system_sgpr_workgroup_id_y 0
		.amdhsa_system_sgpr_workgroup_id_z 0
		.amdhsa_system_sgpr_workgroup_info 0
		.amdhsa_system_vgpr_workitem_id 0
		.amdhsa_next_free_vgpr 40
		.amdhsa_next_free_sgpr 48
		.amdhsa_accum_offset 40
		.amdhsa_reserve_vcc 1
		.amdhsa_reserve_flat_scratch 0
		.amdhsa_float_round_mode_32 0
		.amdhsa_float_round_mode_16_64 0
		.amdhsa_float_denorm_mode_32 3
		.amdhsa_float_denorm_mode_16_64 3
		.amdhsa_dx10_clamp 1
		.amdhsa_ieee_mode 1
		.amdhsa_fp16_overflow 0
		.amdhsa_tg_split 0
		.amdhsa_exception_fp_ieee_invalid_op 0
		.amdhsa_exception_fp_denorm_src 0
		.amdhsa_exception_fp_ieee_div_zero 0
		.amdhsa_exception_fp_ieee_overflow 0
		.amdhsa_exception_fp_ieee_underflow 0
		.amdhsa_exception_fp_ieee_inexact 0
		.amdhsa_exception_int_div_zero 0
	.end_amdhsa_kernel
	.section	.text._ZN4vllm31rms_norm_per_block_quant_kernelIN3c104HalfEaLb1ELb0ELi128EEEvPT0_PfPKT_S8_PKffiiPS6_l,"axG",@progbits,_ZN4vllm31rms_norm_per_block_quant_kernelIN3c104HalfEaLb1ELb0ELi128EEEvPT0_PfPKT_S8_PKffiiPS6_l,comdat
.Lfunc_end47:
	.size	_ZN4vllm31rms_norm_per_block_quant_kernelIN3c104HalfEaLb1ELb0ELi128EEEvPT0_PfPKT_S8_PKffiiPS6_l, .Lfunc_end47-_ZN4vllm31rms_norm_per_block_quant_kernelIN3c104HalfEaLb1ELb0ELi128EEEvPT0_PfPKT_S8_PKffiiPS6_l
                                        ; -- End function
	.section	.AMDGPU.csdata,"",@progbits
; Kernel info:
; codeLenInByte = 7012
; NumSgprs: 52
; NumVgprs: 40
; NumAgprs: 0
; TotalNumVgprs: 40
; ScratchSize: 0
; MemoryBound: 0
; FloatMode: 240
; IeeeMode: 1
; LDSByteSize: 4164 bytes/workgroup (compile time only)
; SGPRBlocks: 6
; VGPRBlocks: 4
; NumSGPRsForWavesPerEU: 52
; NumVGPRsForWavesPerEU: 40
; AccumOffset: 40
; Occupancy: 8
; WaveLimiterHint : 0
; COMPUTE_PGM_RSRC2:SCRATCH_EN: 0
; COMPUTE_PGM_RSRC2:USER_SGPR: 6
; COMPUTE_PGM_RSRC2:TRAP_HANDLER: 0
; COMPUTE_PGM_RSRC2:TGID_X_EN: 1
; COMPUTE_PGM_RSRC2:TGID_Y_EN: 0
; COMPUTE_PGM_RSRC2:TGID_Z_EN: 0
; COMPUTE_PGM_RSRC2:TIDIG_COMP_CNT: 0
; COMPUTE_PGM_RSRC3_GFX90A:ACCUM_OFFSET: 9
; COMPUTE_PGM_RSRC3_GFX90A:TG_SPLIT: 0
	.section	.text._ZN4vllm31rms_norm_per_block_quant_kernelIN3c104HalfENS1_13Float8_e4m3fnELb0ELb1ELi128EEEvPT0_PfPKT_S9_PKffiiPS7_l,"axG",@progbits,_ZN4vllm31rms_norm_per_block_quant_kernelIN3c104HalfENS1_13Float8_e4m3fnELb0ELb1ELi128EEEvPT0_PfPKT_S9_PKffiiPS7_l,comdat
	.protected	_ZN4vllm31rms_norm_per_block_quant_kernelIN3c104HalfENS1_13Float8_e4m3fnELb0ELb1ELi128EEEvPT0_PfPKT_S9_PKffiiPS7_l ; -- Begin function _ZN4vllm31rms_norm_per_block_quant_kernelIN3c104HalfENS1_13Float8_e4m3fnELb0ELb1ELi128EEEvPT0_PfPKT_S9_PKffiiPS7_l
	.globl	_ZN4vllm31rms_norm_per_block_quant_kernelIN3c104HalfENS1_13Float8_e4m3fnELb0ELb1ELi128EEEvPT0_PfPKT_S9_PKffiiPS7_l
	.p2align	8
	.type	_ZN4vllm31rms_norm_per_block_quant_kernelIN3c104HalfENS1_13Float8_e4m3fnELb0ELb1ELi128EEEvPT0_PfPKT_S9_PKffiiPS7_l,@function
_ZN4vllm31rms_norm_per_block_quant_kernelIN3c104HalfENS1_13Float8_e4m3fnELb0ELb1ELi128EEEvPT0_PfPKT_S9_PKffiiPS7_l: ; @_ZN4vllm31rms_norm_per_block_quant_kernelIN3c104HalfENS1_13Float8_e4m3fnELb0ELb1ELi128EEEvPT0_PfPKT_S9_PKffiiPS7_l
; %bb.0:
	s_load_dwordx4 s[16:19], s[4:5], 0x28
	s_load_dwordx8 s[8:15], s[4:5], 0x0
	s_load_dword s45, s[4:5], 0x48
	s_mov_b32 s7, 0
	v_mov_b32_e32 v1, 0
	s_waitcnt lgkmcnt(0)
	s_ashr_i32 s0, s18, 31
	s_mul_hi_u32 s1, s18, s6
	s_mul_i32 s0, s0, s6
	s_add_i32 s1, s1, s0
	s_mul_i32 s0, s18, s6
	s_lshl_b64 s[0:1], s[0:1], 1
	s_add_u32 s33, s12, s0
	s_addc_u32 s44, s13, s1
	s_ashr_i32 s12, s17, 2
	s_add_u32 s18, s4, 0x48
	s_mov_b32 s20, s17
	v_cmp_gt_u32_e64 s[0:1], s12, v0
	s_addc_u32 s19, s5, 0
	s_and_saveexec_b64 s[2:3], s[0:1]
	s_cbranch_execz .LBB48_10
; %bb.1:
	s_cmp_lt_u32 s6, s45
	s_cselect_b32 s13, 12, 18
	s_add_u32 s22, s18, s13
	s_addc_u32 s23, s19, 0
	v_mov_b32_e32 v3, 0
	global_load_ushort v8, v3, s[22:23]
	s_mov_b64 s[22:23], 0
	v_mov_b32_e32 v9, s44
	v_mov_b32_e32 v2, v0
                                        ; implicit-def: $sgpr24_sgpr25
	s_waitcnt vmcnt(0)
	v_add_u32_e32 v1, v8, v8
	v_mul_lo_u32 v10, v8, 3
	v_lshlrev_b32_e32 v11, 1, v8
	v_add_u32_e32 v12, v1, v8
	v_mov_b32_e32 v1, v3
	s_branch .LBB48_5
.LBB48_2:                               ;   in Loop: Header=BB48_5 Depth=1
	s_or_b64 exec, exec, s[30:31]
	s_orn2_b64 s[30:31], s[34:35], exec
.LBB48_3:                               ;   in Loop: Header=BB48_5 Depth=1
	s_or_b64 exec, exec, s[28:29]
	s_andn2_b64 s[24:25], s[24:25], exec
	s_and_b64 s[28:29], s[30:31], exec
	s_or_b64 s[24:25], s[24:25], s[28:29]
.LBB48_4:                               ;   in Loop: Header=BB48_5 Depth=1
	s_or_b64 exec, exec, s[26:27]
	s_and_b64 s[26:27], exec, s[24:25]
	s_or_b64 s[22:23], s[26:27], s[22:23]
	s_andn2_b64 exec, exec, s[22:23]
	s_cbranch_execz .LBB48_9
.LBB48_5:                               ; =>This Inner Loop Header: Depth=1
	v_lshlrev_b64 v[4:5], 3, v[2:3]
	v_add_co_u32_e32 v4, vcc, s33, v4
	v_addc_co_u32_e32 v5, vcc, v9, v5, vcc
	global_load_dwordx2 v[6:7], v[4:5], off
	v_add_u32_e32 v4, v2, v8
	v_cmp_gt_u32_e32 vcc, s12, v4
	s_or_b64 s[24:25], s[24:25], exec
	s_waitcnt vmcnt(0)
	v_fma_mix_f32 v1, v6, v6, v1 op_sel_hi:[1,1,0]
	v_fma_mix_f32 v1, v6, v6, v1 op_sel:[1,1,0] op_sel_hi:[1,1,0]
	v_fma_mix_f32 v1, v7, v7, v1 op_sel_hi:[1,1,0]
	v_fma_mix_f32 v1, v7, v7, v1 op_sel:[1,1,0] op_sel_hi:[1,1,0]
	s_and_saveexec_b64 s[26:27], vcc
	s_cbranch_execz .LBB48_4
; %bb.6:                                ;   in Loop: Header=BB48_5 Depth=1
	v_mov_b32_e32 v5, v3
	v_lshlrev_b64 v[6:7], 3, v[4:5]
	v_add_co_u32_e32 v6, vcc, s33, v6
	v_addc_co_u32_e32 v7, vcc, v9, v7, vcc
	global_load_dwordx2 v[14:15], v[6:7], off
	v_add_u32_e32 v6, v11, v2
	v_cmp_gt_u32_e32 vcc, s12, v6
	s_mov_b64 s[30:31], -1
	s_waitcnt vmcnt(0)
	v_fma_mix_f32 v1, v14, v14, v1 op_sel_hi:[1,1,0]
	v_fma_mix_f32 v1, v14, v14, v1 op_sel:[1,1,0] op_sel_hi:[1,1,0]
	v_fma_mix_f32 v1, v15, v15, v1 op_sel_hi:[1,1,0]
	v_fma_mix_f32 v1, v15, v15, v1 op_sel:[1,1,0] op_sel_hi:[1,1,0]
	s_and_saveexec_b64 s[28:29], vcc
	s_cbranch_execz .LBB48_3
; %bb.7:                                ;   in Loop: Header=BB48_5 Depth=1
	v_mov_b32_e32 v7, v3
	v_lshlrev_b64 v[6:7], 3, v[6:7]
	v_add_co_u32_e32 v6, vcc, s33, v6
	v_addc_co_u32_e32 v7, vcc, v9, v7, vcc
	global_load_dwordx2 v[6:7], v[6:7], off
	v_add_u32_e32 v2, v10, v2
	v_cmp_gt_u32_e32 vcc, s12, v2
	s_mov_b64 s[34:35], -1
	s_waitcnt vmcnt(0)
	v_fma_mix_f32 v1, v6, v6, v1 op_sel_hi:[1,1,0]
	v_fma_mix_f32 v1, v6, v6, v1 op_sel:[1,1,0] op_sel_hi:[1,1,0]
	v_fma_mix_f32 v1, v7, v7, v1 op_sel_hi:[1,1,0]
	v_fma_mix_f32 v1, v7, v7, v1 op_sel:[1,1,0] op_sel_hi:[1,1,0]
	s_and_saveexec_b64 s[30:31], vcc
	s_xor_b64 s[30:31], exec, s[30:31]
	s_cbranch_execz .LBB48_2
; %bb.8:                                ;   in Loop: Header=BB48_5 Depth=1
	v_lshlrev_b64 v[6:7], 3, v[2:3]
	v_add_co_u32_e32 v6, vcc, s33, v6
	v_addc_co_u32_e32 v7, vcc, v9, v7, vcc
	global_load_dwordx2 v[6:7], v[6:7], off
	v_add_u32_e32 v2, v12, v4
	v_cmp_le_u32_e32 vcc, s12, v2
	s_orn2_b64 s[34:35], vcc, exec
	s_waitcnt vmcnt(0)
	v_fma_mix_f32 v1, v6, v6, v1 op_sel_hi:[1,1,0]
	v_fma_mix_f32 v1, v6, v6, v1 op_sel:[1,1,0] op_sel_hi:[1,1,0]
	v_fma_mix_f32 v1, v7, v7, v1 op_sel_hi:[1,1,0]
	v_fma_mix_f32 v1, v7, v7, v1 op_sel:[1,1,0] op_sel_hi:[1,1,0]
	s_branch .LBB48_2
.LBB48_9:
	s_or_b64 exec, exec, s[22:23]
.LBB48_10:
	s_or_b64 exec, exec, s[2:3]
	v_mbcnt_lo_u32_b32 v2, -1, 0
	v_mbcnt_hi_u32_b32 v2, -1, v2
	v_and_b32_e32 v3, 63, v2
	v_cmp_ne_u32_e32 vcc, 63, v3
	s_load_dword s2, s[18:19], 0xc
	v_addc_co_u32_e32 v4, vcc, 0, v2, vcc
	v_lshlrev_b32_e32 v4, 2, v4
	ds_bpermute_b32 v4, v4, v1
	s_waitcnt lgkmcnt(0)
	s_and_b32 s13, s2, 0xffff
	v_and_b32_e32 v5, 0x3c0, v0
	v_sub_u32_e64 v5, s13, v5 clamp
	v_add_u32_e32 v6, 1, v2
	v_add_f32_e32 v4, v1, v4
	v_cmp_lt_u32_e32 vcc, v6, v5
	v_cndmask_b32_e32 v1, v1, v4, vcc
	v_cmp_gt_u32_e32 vcc, 62, v3
	v_cndmask_b32_e64 v4, 0, 1, vcc
	v_lshlrev_b32_e32 v4, 1, v4
	v_add_lshl_u32 v4, v4, v2, 2
	ds_bpermute_b32 v4, v4, v1
	v_add_u32_e32 v6, 2, v2
	v_cmp_lt_u32_e32 vcc, v6, v5
	v_add_u32_e32 v6, 4, v2
	s_waitcnt lgkmcnt(0)
	v_add_f32_e32 v4, v1, v4
	v_cndmask_b32_e32 v1, v1, v4, vcc
	v_cmp_gt_u32_e32 vcc, 60, v3
	v_cndmask_b32_e64 v4, 0, 1, vcc
	v_lshlrev_b32_e32 v4, 2, v4
	v_add_lshl_u32 v4, v4, v2, 2
	ds_bpermute_b32 v4, v4, v1
	v_cmp_lt_u32_e32 vcc, v6, v5
	v_add_u32_e32 v6, 8, v2
	s_waitcnt lgkmcnt(0)
	v_add_f32_e32 v4, v1, v4
	v_cndmask_b32_e32 v1, v1, v4, vcc
	v_cmp_gt_u32_e32 vcc, 56, v3
	v_cndmask_b32_e64 v4, 0, 1, vcc
	v_lshlrev_b32_e32 v4, 3, v4
	v_add_lshl_u32 v4, v4, v2, 2
	ds_bpermute_b32 v4, v4, v1
	;; [unrolled: 10-line block ×3, first 2 shown]
	v_cmp_lt_u32_e32 vcc, v6, v5
	s_waitcnt lgkmcnt(0)
	v_add_f32_e32 v4, v1, v4
	v_cndmask_b32_e32 v1, v1, v4, vcc
	v_cmp_gt_u32_e32 vcc, 32, v3
	v_cndmask_b32_e64 v3, 0, 1, vcc
	v_lshlrev_b32_e32 v3, 5, v3
	v_add_lshl_u32 v3, v3, v2, 2
	ds_bpermute_b32 v3, v3, v1
	v_add_u32_e32 v4, 32, v2
	v_cmp_lt_u32_e32 vcc, v4, v5
	s_waitcnt lgkmcnt(0)
	v_add_f32_e32 v3, v1, v3
	v_cndmask_b32_e32 v1, v1, v3, vcc
	v_cmp_eq_u32_e32 vcc, 0, v2
	s_and_saveexec_b64 s[2:3], vcc
	s_cbranch_execz .LBB48_12
; %bb.11:
	v_lshrrev_b32_e32 v3, 4, v0
	v_and_b32_e32 v3, 60, v3
	ds_write_b32 v3, v1 offset:4096
.LBB48_12:
	s_or_b64 exec, exec, s[2:3]
	v_cmp_gt_u32_e32 vcc, 16, v0
	s_waitcnt lgkmcnt(0)
	s_barrier
	s_and_saveexec_b64 s[22:23], vcc
	s_cbranch_execz .LBB48_14
; %bb.13:
	v_lshlrev_b32_e32 v1, 2, v2
	ds_read_b32 v1, v1 offset:4096
	v_and_b32_e32 v3, 15, v2
	v_cmp_ne_u32_e32 vcc, 15, v3
	v_addc_co_u32_e32 v4, vcc, 0, v2, vcc
	v_lshlrev_b32_e32 v4, 2, v4
	s_waitcnt lgkmcnt(0)
	ds_bpermute_b32 v4, v4, v1
	s_add_i32 s13, s13, 63
	s_lshr_b32 s13, s13, 6
	v_add_u32_e32 v5, 1, v3
	v_cmp_gt_u32_e64 s[2:3], 14, v3
	v_cmp_gt_u32_e32 vcc, s13, v5
	v_cndmask_b32_e64 v5, 0, 1, s[2:3]
	s_waitcnt lgkmcnt(0)
	v_add_f32_e32 v4, v1, v4
	v_lshlrev_b32_e32 v5, 1, v5
	v_cndmask_b32_e32 v4, v1, v4, vcc
	v_add_lshl_u32 v5, v5, v2, 2
	ds_bpermute_b32 v5, v5, v4
	v_add_u32_e32 v6, 2, v3
	v_cmp_gt_u32_e64 s[2:3], s13, v6
	v_add_u32_e32 v6, 4, v3
	s_waitcnt lgkmcnt(0)
	v_add_f32_e32 v5, v4, v5
	v_cndmask_b32_e64 v4, v4, v5, s[2:3]
	v_cmp_gt_u32_e64 s[2:3], 12, v3
	v_cndmask_b32_e64 v5, 0, 1, s[2:3]
	v_lshlrev_b32_e32 v5, 2, v5
	v_add_lshl_u32 v5, v5, v2, 2
	ds_bpermute_b32 v5, v5, v4
	v_cmp_gt_u32_e64 s[2:3], s13, v6
	s_waitcnt lgkmcnt(0)
	v_add_f32_e32 v5, v4, v5
	v_cndmask_b32_e64 v4, v4, v5, s[2:3]
	v_cmp_gt_u32_e64 s[2:3], 8, v3
	v_cndmask_b32_e64 v5, 0, 1, s[2:3]
	v_lshlrev_b32_e32 v5, 3, v5
	v_add_lshl_u32 v2, v5, v2, 2
	ds_bpermute_b32 v2, v2, v4
	v_add_u32_e32 v3, 8, v3
	v_cmp_gt_u32_e64 s[2:3], s13, v3
	s_waitcnt lgkmcnt(0)
	v_add_f32_e32 v2, v4, v2
	v_cndmask_b32_e64 v2, v4, v2, s[2:3]
	v_cndmask_b32_e32 v1, v1, v2, vcc
.LBB48_14:
	s_or_b64 exec, exec, s[22:23]
	v_cmp_eq_u32_e32 vcc, 0, v0
	s_and_saveexec_b64 s[2:3], vcc
	s_cbranch_execz .LBB48_16
; %bb.15:
	v_cvt_f32_i32_e32 v2, s17
	s_mov_b32 s13, 0x800000
	v_div_scale_f32 v3, s[22:23], v2, v2, v1
	v_rcp_f32_e32 v4, v3
	v_div_scale_f32 v5, vcc, v1, v2, v1
	v_fma_f32 v6, -v3, v4, 1.0
	v_fmac_f32_e32 v4, v6, v4
	v_mul_f32_e32 v6, v5, v4
	v_fma_f32 v7, -v3, v6, v5
	v_fmac_f32_e32 v6, v7, v4
	v_fma_f32 v3, -v3, v6, v5
	v_div_fmas_f32 v3, v3, v4, v6
	v_div_fixup_f32 v1, v3, v2, v1
	v_add_f32_e32 v1, s16, v1
	v_mul_f32_e32 v2, 0x4b800000, v1
	v_cmp_gt_f32_e32 vcc, s13, v1
	v_cndmask_b32_e32 v1, v1, v2, vcc
	v_rsq_f32_e32 v1, v1
	v_mul_f32_e32 v2, 0x45800000, v1
	v_cndmask_b32_e32 v1, v1, v2, vcc
	v_mov_b32_e32 v2, 0
	ds_write_b32 v2, v1 offset:4160
.LBB48_16:
	s_or_b64 exec, exec, s[2:3]
	s_ashr_i32 s21, s17, 31
	s_lshr_b32 s2, s21, 25
	s_add_i32 s3, s17, s2
	s_ashr_i32 s2, s3, 7
	s_cmp_lt_u32 s6, s45
	s_cselect_b32 s13, 12, 18
	s_add_u32 s18, s18, s13
	v_mov_b32_e32 v5, 0
	s_addc_u32 s19, s19, 0
	s_waitcnt lgkmcnt(0)
	s_barrier
	global_load_ushort v1, v5, s[18:19]
	ds_read_b32 v36, v5 offset:4160
	s_abs_i32 s13, s2
	v_cvt_f32_u32_e32 v2, s13
	s_sub_i32 s16, 0, s13
	s_ashr_i32 s3, s3, 31
	v_mov_b32_e32 v10, s12
	v_rcp_iflag_f32_e32 v2, v2
	v_mul_f32_e32 v2, 0x4f7ffffe, v2
	v_cvt_u32_f32_e32 v2, v2
	v_readfirstlane_b32 s18, v2
	s_mul_i32 s16, s16, s18
	s_mul_hi_u32 s16, s18, s16
	s_add_i32 s18, s18, s16
	s_waitcnt vmcnt(0)
	v_readfirstlane_b32 s16, v1
	s_mul_hi_u32 s18, s16, s18
	s_mul_i32 s19, s18, s13
	s_sub_i32 s19, s16, s19
	s_add_i32 s22, s18, 1
	s_sub_i32 s23, s19, s13
	s_cmp_ge_u32 s19, s13
	s_cselect_b32 s18, s22, s18
	s_cselect_b32 s19, s23, s19
	s_add_i32 s22, s18, 1
	s_cmp_ge_u32 s19, s13
	s_cselect_b32 s13, s22, s18
	s_xor_b32 s13, s13, s3
	s_sub_i32 s18, s13, s3
	s_abs_i32 s3, s18
	v_cvt_f32_u32_e32 v1, s3
	s_sub_i32 s22, 0, s3
	s_ashr_i32 s19, s18, 31
	s_ashr_i32 s13, s12, 31
	v_rcp_iflag_f32_e32 v1, v1
	v_mov_b32_e32 v11, s13
	v_mul_f32_e32 v1, 0x4f7ffffe, v1
	v_cvt_u32_f32_e32 v1, v1
	v_mul_lo_u32 v2, s22, v1
	v_mul_hi_u32 v2, v1, v2
	v_add_u32_e32 v1, v1, v2
	v_mul_hi_u32 v1, v0, v1
	v_mul_lo_u32 v2, v1, s3
	v_sub_u32_e32 v2, v0, v2
	v_add_u32_e32 v3, 1, v1
	v_cmp_le_u32_e32 vcc, s3, v2
	v_cndmask_b32_e32 v1, v1, v3, vcc
	v_subrev_u32_e32 v3, s3, v2
	v_cndmask_b32_e32 v2, v2, v3, vcc
	v_add_u32_e32 v3, 1, v1
	v_cmp_le_u32_e32 vcc, s3, v2
	v_cndmask_b32_e32 v1, v1, v3, vcc
	v_xor_b32_e32 v1, s19, v1
	v_subrev_u32_e32 v2, s19, v1
	v_mul_lo_u32 v1, v2, s18
	v_ashrrev_i32_e32 v3, 31, v2
	v_sub_u32_e32 v4, v0, v1
	v_lshlrev_b64 v[8:9], 5, v[2:3]
	v_add_co_u32_e32 v6, vcc, v8, v4
	v_addc_co_u32_e32 v7, vcc, 0, v9, vcc
	v_add_co_u32_e32 v8, vcc, 32, v8
	v_addc_co_u32_e32 v9, vcc, 0, v9, vcc
	v_cmp_gt_i64_e32 vcc, s[12:13], v[8:9]
	v_cndmask_b32_e32 v8, v10, v8, vcc
	v_cndmask_b32_e32 v9, v11, v9, vcc
	v_ashrrev_i32_e32 v11, 31, v8
	v_mov_b32_e32 v10, v8
	v_cmp_lt_i64_e32 vcc, v[6:7], v[10:11]
	s_and_saveexec_b64 s[22:23], vcc
	s_cbranch_execz .LBB48_26
; %bb.17:
	v_lshlrev_b64 v[12:13], 8, v[2:3]
	v_lshlrev_b64 v[14:15], 3, v[4:5]
	v_add_co_u32_e32 v12, vcc, v12, v14
	v_addc_co_u32_e32 v1, vcc, v13, v15, vcc
	s_lshl_b64 s[24:25], s[18:19], 5
	s_mul_hi_i32 s3, s18, 3
	s_mul_i32 s13, s18, 3
	s_lshl_b64 s[26:27], s[18:19], 1
	s_lshl_b64 s[30:31], s[18:19], 3
	s_mov_b64 s[28:29], 0
	v_mov_b32_e32 v5, 0
	v_mov_b32_e32 v13, s44
	;; [unrolled: 1-line block ×4, first 2 shown]
	v_pk_mov_b32 v[14:15], v[6:7], v[6:7] op_sel:[0,1]
                                        ; implicit-def: $sgpr34_sgpr35
	s_branch .LBB48_21
.LBB48_18:                              ;   in Loop: Header=BB48_21 Depth=1
	s_or_b64 exec, exec, s[40:41]
	s_orn2_b64 s[40:41], s[42:43], exec
.LBB48_19:                              ;   in Loop: Header=BB48_21 Depth=1
	s_or_b64 exec, exec, s[38:39]
	s_andn2_b64 s[34:35], s[34:35], exec
	s_and_b64 s[38:39], s[40:41], exec
	s_or_b64 s[34:35], s[34:35], s[38:39]
.LBB48_20:                              ;   in Loop: Header=BB48_21 Depth=1
	s_or_b64 exec, exec, s[36:37]
	s_and_b64 s[36:37], exec, s[34:35]
	s_or_b64 s[28:29], s[36:37], s[28:29]
	s_andn2_b64 exec, exec, s[28:29]
	s_cbranch_execz .LBB48_25
.LBB48_21:                              ; =>This Inner Loop Header: Depth=1
	v_add_co_u32_e32 v18, vcc, s33, v12
	v_addc_co_u32_e32 v19, vcc, v13, v1, vcc
	v_add_co_u32_e32 v20, vcc, s14, v12
	global_load_dwordx2 v[16:17], v[18:19], off
	v_addc_co_u32_e32 v21, vcc, v22, v1, vcc
	global_load_dwordx2 v[24:25], v[20:21], off
	s_or_b64 s[34:35], s[34:35], exec
	s_waitcnt vmcnt(1) lgkmcnt(0)
	v_fma_mixlo_f16 v26, v36, v16, 0 op_sel_hi:[0,1,0]
	v_fma_mixlo_f16 v16, v36, v16, 0 op_sel:[0,1,0] op_sel_hi:[0,1,0]
	v_fma_mixlo_f16 v27, v36, v17, 0 op_sel_hi:[0,1,0]
	v_fma_mixlo_f16 v17, v36, v17, 0 op_sel:[0,1,0] op_sel_hi:[0,1,0]
	s_waitcnt vmcnt(0)
	v_mul_f16_e32 v26, v24, v26
	v_mul_f16_sdwa v16, v24, v16 dst_sel:DWORD dst_unused:UNUSED_PAD src0_sel:WORD_1 src1_sel:DWORD
	v_mul_f16_e32 v24, v25, v27
	v_mul_f16_sdwa v17, v25, v17 dst_sel:DWORD dst_unused:UNUSED_PAD src0_sel:WORD_1 src1_sel:DWORD
	v_cvt_f32_f16_e64 v25, |v26|
	v_cvt_f32_f16_e64 v26, |v16|
	;; [unrolled: 1-line block ×4, first 2 shown]
	v_add_co_u32_e32 v16, vcc, s18, v14
	v_addc_co_u32_e32 v17, vcc, v15, v23, vcc
	v_max3_f32 v5, v5, v25, v26
	v_cmp_lt_i64_e32 vcc, v[16:17], v[10:11]
	v_max3_f32 v5, v5, v24, v27
	s_and_saveexec_b64 s[36:37], vcc
	s_cbranch_execz .LBB48_20
; %bb.22:                               ;   in Loop: Header=BB48_21 Depth=1
	v_mov_b32_e32 v26, s31
	v_add_co_u32_e32 v18, vcc, s30, v18
	v_addc_co_u32_e32 v19, vcc, v19, v26, vcc
	v_add_co_u32_e32 v20, vcc, s30, v20
	global_load_dwordx2 v[24:25], v[18:19], off
	v_addc_co_u32_e32 v21, vcc, v21, v26, vcc
	global_load_dwordx2 v[26:27], v[20:21], off
	v_mov_b32_e32 v28, s27
	s_mov_b64 s[40:41], -1
	s_waitcnt vmcnt(1)
	v_fma_mixlo_f16 v29, v36, v24, 0 op_sel_hi:[0,1,0]
	v_fma_mixlo_f16 v24, v36, v24, 0 op_sel:[0,1,0] op_sel_hi:[0,1,0]
	v_fma_mixlo_f16 v30, v36, v25, 0 op_sel_hi:[0,1,0]
	v_fma_mixlo_f16 v25, v36, v25, 0 op_sel:[0,1,0] op_sel_hi:[0,1,0]
	s_waitcnt vmcnt(0)
	v_mul_f16_e32 v29, v26, v29
	v_mul_f16_sdwa v24, v26, v24 dst_sel:DWORD dst_unused:UNUSED_PAD src0_sel:WORD_1 src1_sel:DWORD
	v_mul_f16_e32 v26, v27, v30
	v_mul_f16_sdwa v25, v27, v25 dst_sel:DWORD dst_unused:UNUSED_PAD src0_sel:WORD_1 src1_sel:DWORD
	v_cvt_f32_f16_e64 v27, |v29|
	v_cvt_f32_f16_e64 v29, |v24|
	;; [unrolled: 1-line block ×4, first 2 shown]
	v_add_co_u32_e32 v24, vcc, s26, v14
	v_addc_co_u32_e32 v25, vcc, v28, v15, vcc
	v_max3_f32 v5, v5, v27, v29
	v_cmp_lt_i64_e32 vcc, v[24:25], v[10:11]
	v_max3_f32 v5, v5, v26, v30
	s_and_saveexec_b64 s[38:39], vcc
	s_cbranch_execz .LBB48_19
; %bb.23:                               ;   in Loop: Header=BB48_21 Depth=1
	v_mov_b32_e32 v26, s31
	v_add_co_u32_e32 v18, vcc, s30, v18
	v_addc_co_u32_e32 v19, vcc, v19, v26, vcc
	v_add_co_u32_e32 v20, vcc, s30, v20
	global_load_dwordx2 v[24:25], v[18:19], off
	v_addc_co_u32_e32 v21, vcc, v21, v26, vcc
	global_load_dwordx2 v[26:27], v[20:21], off
	v_mov_b32_e32 v28, s3
	v_add_co_u32_e32 v14, vcc, s13, v14
	v_addc_co_u32_e32 v15, vcc, v28, v15, vcc
	v_cmp_lt_i64_e32 vcc, v[14:15], v[10:11]
	s_mov_b64 s[42:43], -1
                                        ; implicit-def: $vgpr14_vgpr15
	s_waitcnt vmcnt(1)
	v_fma_mixlo_f16 v29, v36, v24, 0 op_sel_hi:[0,1,0]
	v_fma_mixlo_f16 v24, v36, v24, 0 op_sel:[0,1,0] op_sel_hi:[0,1,0]
	v_fma_mixlo_f16 v30, v36, v25, 0 op_sel_hi:[0,1,0]
	v_fma_mixlo_f16 v25, v36, v25, 0 op_sel:[0,1,0] op_sel_hi:[0,1,0]
	s_waitcnt vmcnt(0)
	v_mul_f16_e32 v29, v26, v29
	v_mul_f16_sdwa v24, v26, v24 dst_sel:DWORD dst_unused:UNUSED_PAD src0_sel:WORD_1 src1_sel:DWORD
	v_mul_f16_e32 v26, v27, v30
	v_mul_f16_sdwa v25, v27, v25 dst_sel:DWORD dst_unused:UNUSED_PAD src0_sel:WORD_1 src1_sel:DWORD
	v_cvt_f32_f16_e64 v27, |v29|
	v_cvt_f32_f16_e64 v24, |v24|
	;; [unrolled: 1-line block ×4, first 2 shown]
	v_max3_f32 v5, v5, v27, v24
	v_max3_f32 v5, v5, v26, v25
	s_and_saveexec_b64 s[40:41], vcc
	s_xor_b64 s[40:41], exec, s[40:41]
	s_cbranch_execz .LBB48_18
; %bb.24:                               ;   in Loop: Header=BB48_21 Depth=1
	v_mov_b32_e32 v24, s31
	v_add_co_u32_e32 v14, vcc, s30, v18
	v_addc_co_u32_e32 v15, vcc, v19, v24, vcc
	v_add_co_u32_e32 v18, vcc, s30, v20
	global_load_dwordx2 v[14:15], v[14:15], off
	v_addc_co_u32_e32 v19, vcc, v21, v24, vcc
	global_load_dwordx2 v[18:19], v[18:19], off
	s_add_u32 s42, s18, s18
	s_addc_u32 s43, s19, s19
	v_mov_b32_e32 v20, s25
	v_add_co_u32_e32 v12, vcc, s24, v12
	s_add_u32 s42, s42, s18
	v_addc_co_u32_e32 v1, vcc, v1, v20, vcc
	s_addc_u32 s43, s43, s19
	v_mov_b32_e32 v20, s43
	s_waitcnt vmcnt(1)
	v_fma_mixlo_f16 v21, v36, v14, 0 op_sel_hi:[0,1,0]
	v_fma_mixlo_f16 v14, v36, v14, 0 op_sel:[0,1,0] op_sel_hi:[0,1,0]
	v_fma_mixlo_f16 v24, v36, v15, 0 op_sel_hi:[0,1,0]
	v_fma_mixlo_f16 v15, v36, v15, 0 op_sel:[0,1,0] op_sel_hi:[0,1,0]
	s_waitcnt vmcnt(0)
	v_mul_f16_e32 v21, v18, v21
	v_mul_f16_sdwa v14, v18, v14 dst_sel:DWORD dst_unused:UNUSED_PAD src0_sel:WORD_1 src1_sel:DWORD
	v_mul_f16_e32 v18, v19, v24
	v_mul_f16_sdwa v15, v19, v15 dst_sel:DWORD dst_unused:UNUSED_PAD src0_sel:WORD_1 src1_sel:DWORD
	v_cvt_f32_f16_e64 v19, |v21|
	v_cvt_f32_f16_e64 v21, |v14|
	;; [unrolled: 1-line block ×4, first 2 shown]
	v_add_co_u32_e32 v14, vcc, s42, v16
	v_addc_co_u32_e32 v15, vcc, v20, v17, vcc
	v_cmp_ge_i64_e32 vcc, v[14:15], v[10:11]
	v_max3_f32 v5, v5, v19, v21
	v_max3_f32 v5, v5, v18, v24
	s_orn2_b64 s[42:43], vcc, exec
	s_branch .LBB48_18
.LBB48_25:
	s_or_b64 exec, exec, s[28:29]
.LBB48_26:
	s_or_b64 exec, exec, s[22:23]
	s_lshr_b32 s13, s16, 6
	v_cvt_f32_u32_e32 v10, s13
	v_lshlrev_b32_e32 v1, 2, v0
	ds_write_b32 v1, v5
	s_sub_i32 s23, 0, s13
	v_rcp_iflag_f32_e32 v5, v10
	s_add_i32 s3, s2, s13
	s_add_i32 s3, s3, -1
	s_ashr_i32 s22, s3, 31
	v_mul_f32_e32 v5, 0x4f7ffffe, v5
	v_cvt_u32_f32_e32 v5, v5
	s_abs_i32 s3, s3
	s_waitcnt lgkmcnt(0)
	s_barrier
	v_readfirstlane_b32 s24, v5
	s_mul_i32 s23, s23, s24
	s_mul_hi_u32 s23, s24, s23
	s_add_i32 s24, s24, s23
	s_mul_hi_u32 s23, s3, s24
	s_mul_i32 s24, s23, s13
	s_sub_i32 s3, s3, s24
	s_add_i32 s24, s23, 1
	s_sub_i32 s25, s3, s13
	s_cmp_ge_u32 s3, s13
	s_cselect_b32 s23, s24, s23
	s_cselect_b32 s3, s25, s3
	s_add_i32 s24, s23, 1
	s_cmp_ge_u32 s3, s13
	s_cselect_b32 s3, s24, s23
	s_xor_b32 s3, s3, s22
	s_sub_i32 s22, s3, s22
	s_ashr_i32 s23, s22, 31
	v_cmp_lt_i64_e64 s[24:25], s[22:23], 1
	s_and_b64 vcc, exec, s[24:25]
	s_cbranch_vccnz .LBB48_48
; %bb.27:
	v_and_b32_e32 v12, 63, v0
	v_add_co_u32_e32 v14, vcc, 32, v12
	v_addc_co_u32_e64 v15, s[24:25], 0, 0, vcc
	v_add_co_u32_e32 v16, vcc, 16, v12
	v_addc_co_u32_e64 v17, s[24:25], 0, 0, vcc
	;; [unrolled: 2-line block ×4, first 2 shown]
	v_add_co_u32_e32 v22, vcc, 2, v12
	v_lshrrev_b32_e32 v10, 6, v0
	v_addc_co_u32_e64 v23, s[24:25], 0, 0, vcc
	v_add_co_u32_e32 v24, vcc, 1, v12
	v_addc_co_u32_e64 v25, s[24:25], 0, 0, vcc
	v_mul_lo_u32 v5, s18, v10
	v_lshlrev_b32_e32 v5, 2, v5
	v_lshlrev_b32_e32 v26, 2, v12
	s_movk_i32 s24, 0x100
	v_mov_b32_e32 v11, 0
	v_add3_u32 v5, v5, v26, s24
	s_mul_i32 s24, s18, s13
	s_ashr_i32 s3, s2, 31
	v_mov_b32_e32 v13, v11
	s_lshl_b32 s36, s24, 2
	s_mov_b64 s[24:25], 0
	v_mov_b32_e32 v37, s13
	s_mov_b64 s[26:27], src_shared_base
	s_branch .LBB48_30
.LBB48_28:                              ;   in Loop: Header=BB48_30 Depth=1
	s_or_b64 exec, exec, s[30:31]
	v_mov_b32_e32 v27, s27
	flat_load_dword v26, v[26:27] glc
	s_waitcnt vmcnt(0)
.LBB48_29:                              ;   in Loop: Header=BB48_30 Depth=1
	s_or_b64 exec, exec, s[28:29]
	s_add_u32 s24, s24, 1
	s_addc_u32 s25, s25, 0
	s_cmp_eq_u64 s[24:25], s[22:23]
	v_add_u32_e32 v5, s36, v5
	s_cbranch_scc1 .LBB48_48
.LBB48_30:                              ; =>This Loop Header: Depth=1
                                        ;     Child Loop BB48_33 Depth 2
	v_mad_u64_u32 v[30:31], s[28:29], s24, v37, v[10:11]
	s_mul_i32 s26, s25, s13
	v_add_u32_e32 v31, s26, v31
	v_cmp_gt_i64_e32 vcc, s[2:3], v[30:31]
	s_and_saveexec_b64 s[28:29], vcc
	s_cbranch_execz .LBB48_29
; %bb.31:                               ;   in Loop: Header=BB48_30 Depth=1
	v_pk_mov_b32 v[32:33], s[18:19], s[18:19] op_sel:[0,1]
	v_mul_lo_u32 v29, v31, s18
	v_mul_lo_u32 v38, v30, s19
	v_mad_u64_u32 v[32:33], s[30:31], v30, s18, v[32:33]
	v_add3_u32 v33, v29, v33, v38
	v_mov_b32_e32 v28, s21
	v_cmp_gt_i64_e32 vcc, s[20:21], v[32:33]
	s_waitcnt lgkmcnt(0)
	v_mad_u64_u32 v[26:27], s[30:31], v30, s18, v[12:13]
	v_cndmask_b32_e32 v33, v28, v33, vcc
	v_mov_b32_e32 v28, s17
	v_add3_u32 v27, v29, v27, v38
	v_cndmask_b32_e32 v32, v28, v32, vcc
	v_add_co_u32_e32 v34, vcc, 64, v26
	v_addc_co_u32_e32 v35, vcc, 0, v27, vcc
	v_cmp_lt_i64_e32 vcc, v[34:35], v[32:33]
	v_lshlrev_b32_e32 v28, 2, v26
	s_and_saveexec_b64 s[30:31], vcc
	s_cbranch_execz .LBB48_34
; %bb.32:                               ;   in Loop: Header=BB48_30 Depth=1
	ds_read_b32 v31, v28
	s_mov_b64 s[34:35], 0
	v_mov_b32_e32 v27, v5
.LBB48_33:                              ;   Parent Loop BB48_30 Depth=1
                                        ; =>  This Inner Loop Header: Depth=2
	ds_read_b32 v39, v27
	v_add_co_u32_e32 v34, vcc, 64, v34
	v_addc_co_u32_e32 v35, vcc, 0, v35, vcc
	s_waitcnt lgkmcnt(1)
	v_max_f32_e32 v31, v31, v31
	v_cmp_ge_i64_e32 vcc, v[34:35], v[32:33]
	s_waitcnt lgkmcnt(0)
	v_max_f32_e32 v39, v39, v39
	v_add_u32_e32 v27, 0x100, v27
	s_or_b64 s[34:35], vcc, s[34:35]
	v_max_f32_e32 v31, v31, v39
	ds_write_b32 v28, v31
	s_andn2_b64 exec, exec, s[34:35]
	s_cbranch_execnz .LBB48_33
.LBB48_34:                              ;   in Loop: Header=BB48_30 Depth=1
	s_or_b64 exec, exec, s[30:31]
	v_mad_u64_u32 v[30:31], s[30:31], v30, s18, 0
	v_add3_u32 v27, v31, v38, v29
	v_sub_co_u32_e32 v30, vcc, v32, v30
	v_subb_co_u32_e32 v31, vcc, v33, v27, vcc
	v_cmp_gt_i64_e32 vcc, 64, v[30:31]
	v_cndmask_b32_e32 v31, 0, v31, vcc
	v_cndmask_b32_e32 v30, 64, v30, vcc
	v_cmp_lt_i64_e32 vcc, v[14:15], v[30:31]
	s_and_saveexec_b64 s[30:31], vcc
	s_cbranch_execnz .LBB48_46
; %bb.35:                               ;   in Loop: Header=BB48_30 Depth=1
	s_or_b64 exec, exec, s[30:31]
	v_cmp_lt_i64_e32 vcc, v[16:17], v[30:31]
	s_and_saveexec_b64 s[30:31], vcc
	s_cbranch_execnz .LBB48_47
.LBB48_36:                              ;   in Loop: Header=BB48_30 Depth=1
	s_or_b64 exec, exec, s[30:31]
	v_cmp_lt_i64_e32 vcc, v[18:19], v[30:31]
	s_and_saveexec_b64 s[30:31], vcc
	s_cbranch_execz .LBB48_38
.LBB48_37:                              ;   in Loop: Header=BB48_30 Depth=1
	v_mov_b32_e32 v29, s27
	v_add_u32_e32 v32, 32, v28
	v_mov_b32_e32 v33, s27
	flat_load_dword v27, v[28:29] glc
	s_waitcnt vmcnt(0)
	flat_load_dword v34, v[32:33] glc
	s_waitcnt vmcnt(0) lgkmcnt(0)
	v_max_f32_e32 v27, v27, v27
	v_max_f32_e32 v32, v34, v34
	;; [unrolled: 1-line block ×3, first 2 shown]
	flat_store_dword v[28:29], v27
	s_waitcnt vmcnt(0)
.LBB48_38:                              ;   in Loop: Header=BB48_30 Depth=1
	s_or_b64 exec, exec, s[30:31]
	v_cmp_ge_i64_e32 vcc, v[20:21], v[30:31]
	s_and_saveexec_b64 s[30:31], vcc
	s_xor_b64 s[30:31], exec, s[30:31]
; %bb.39:                               ;   in Loop: Header=BB48_30 Depth=1
                                        ; implicit-def: $vgpr28
; %bb.40:                               ;   in Loop: Header=BB48_30 Depth=1
	s_andn2_saveexec_b64 s[30:31], s[30:31]
	s_cbranch_execz .LBB48_42
; %bb.41:                               ;   in Loop: Header=BB48_30 Depth=1
	v_mov_b32_e32 v29, s27
	v_add_u32_e32 v32, 16, v28
	v_mov_b32_e32 v33, s27
	flat_load_dword v27, v[28:29] glc
	s_waitcnt vmcnt(0)
	flat_load_dword v34, v[32:33] glc
	s_waitcnt vmcnt(0) lgkmcnt(0)
	v_max_f32_e32 v27, v27, v27
	v_max_f32_e32 v32, v34, v34
	;; [unrolled: 1-line block ×3, first 2 shown]
	flat_store_dword v[28:29], v27
	s_waitcnt vmcnt(0)
.LBB48_42:                              ;   in Loop: Header=BB48_30 Depth=1
	s_or_b64 exec, exec, s[30:31]
	v_cmp_lt_i64_e32 vcc, v[22:23], v[30:31]
	v_lshlrev_b32_e32 v26, 2, v26
	s_and_saveexec_b64 s[30:31], vcc
	s_cbranch_execz .LBB48_44
; %bb.43:                               ;   in Loop: Header=BB48_30 Depth=1
	v_mov_b32_e32 v27, s27
	v_add_u32_e32 v28, 8, v26
	v_mov_b32_e32 v29, s27
	flat_load_dword v32, v[26:27] glc
	s_waitcnt vmcnt(0)
	flat_load_dword v33, v[28:29] glc
	s_waitcnt vmcnt(0) lgkmcnt(0)
	v_max_f32_e32 v28, v32, v32
	v_max_f32_e32 v29, v33, v33
	;; [unrolled: 1-line block ×3, first 2 shown]
	flat_store_dword v[26:27], v28
	s_waitcnt vmcnt(0)
.LBB48_44:                              ;   in Loop: Header=BB48_30 Depth=1
	s_or_b64 exec, exec, s[30:31]
	v_cmp_lt_i64_e32 vcc, v[24:25], v[30:31]
	s_and_saveexec_b64 s[30:31], vcc
	s_cbranch_execz .LBB48_28
; %bb.45:                               ;   in Loop: Header=BB48_30 Depth=1
	v_mov_b32_e32 v27, s27
	v_add_u32_e32 v28, 4, v26
	v_mov_b32_e32 v29, s27
	flat_load_dword v30, v[26:27] glc
	s_waitcnt vmcnt(0)
	flat_load_dword v31, v[28:29] glc
	s_waitcnt vmcnt(0) lgkmcnt(0)
	v_max_f32_e32 v28, v30, v30
	v_max_f32_e32 v29, v31, v31
	;; [unrolled: 1-line block ×3, first 2 shown]
	flat_store_dword v[26:27], v28
	s_waitcnt vmcnt(0)
	s_branch .LBB48_28
.LBB48_46:                              ;   in Loop: Header=BB48_30 Depth=1
	v_mov_b32_e32 v29, s27
	v_add_u32_e32 v32, 0x80, v28
	v_mov_b32_e32 v33, s27
	flat_load_dword v27, v[28:29] glc
	s_waitcnt vmcnt(0)
	flat_load_dword v34, v[32:33] glc
	s_waitcnt vmcnt(0) lgkmcnt(0)
	v_max_f32_e32 v27, v27, v27
	v_max_f32_e32 v32, v34, v34
	v_max_f32_e32 v27, v27, v32
	flat_store_dword v[28:29], v27
	s_waitcnt vmcnt(0)
	s_or_b64 exec, exec, s[30:31]
	v_cmp_lt_i64_e32 vcc, v[16:17], v[30:31]
	s_and_saveexec_b64 s[30:31], vcc
	s_cbranch_execz .LBB48_36
.LBB48_47:                              ;   in Loop: Header=BB48_30 Depth=1
	v_mov_b32_e32 v29, s27
	v_add_u32_e32 v32, 64, v28
	v_mov_b32_e32 v33, s27
	flat_load_dword v27, v[28:29] glc
	s_waitcnt vmcnt(0)
	flat_load_dword v34, v[32:33] glc
	s_waitcnt vmcnt(0) lgkmcnt(0)
	v_max_f32_e32 v27, v27, v27
	v_max_f32_e32 v32, v34, v34
	;; [unrolled: 1-line block ×3, first 2 shown]
	flat_store_dword v[28:29], v27
	s_waitcnt vmcnt(0)
	s_or_b64 exec, exec, s[30:31]
	v_cmp_lt_i64_e32 vcc, v[18:19], v[30:31]
	s_and_saveexec_b64 s[30:31], vcc
	s_cbranch_execnz .LBB48_37
	s_branch .LBB48_38
.LBB48_48:
	s_load_dwordx2 s[18:19], s[4:5], 0x40
	v_cmp_eq_u32_e32 vcc, 0, v4
	v_cmp_lt_i64_e64 s[2:3], v[6:7], v[8:9]
	s_and_b64 s[2:3], vcc, s[2:3]
	s_waitcnt lgkmcnt(0)
	s_barrier
	s_and_saveexec_b64 s[22:23], s[2:3]
	s_cbranch_execz .LBB48_55
; %bb.49:
	s_load_dwordx2 s[2:3], s[4:5], 0x20
	ds_read_b32 v1, v1
	s_waitcnt lgkmcnt(0)
	s_cmp_eq_u64 s[2:3], 0
	s_cbranch_scc1 .LBB48_51
; %bb.50:
	s_load_dword s2, s[2:3], 0x0
	v_max_f32_e32 v1, v1, v1
	s_waitcnt lgkmcnt(0)
	v_max_f32_e64 v4, s2, s2
	v_min_f32_e32 v1, v1, v4
.LBB48_51:
	s_add_u32 s3, s18, s45
	s_addc_u32 s4, s19, 0
	s_add_u32 s24, s3, -1
	s_addc_u32 s25, s4, -1
	s_or_b64 s[4:5], s[24:25], s[18:19]
	s_mov_b32 s2, 0
	s_mov_b32 s3, s5
	s_cmp_lg_u64 s[2:3], 0
	s_mov_b64 s[26:27], -1
	s_cbranch_scc0 .LBB48_164
; %bb.52:
	s_ashr_i32 s2, s19, 31
	s_add_u32 s4, s18, s2
	s_mov_b32 s3, s2
	s_addc_u32 s5, s19, s2
	s_xor_b64 s[28:29], s[4:5], s[2:3]
	v_cvt_f32_u32_e32 v4, s28
	v_cvt_f32_u32_e32 v5, s29
	s_sub_u32 s2, 0, s28
	s_subb_u32 s3, 0, s29
	v_madmk_f32 v4, v5, 0x4f800000, v4
	v_rcp_f32_e32 v4, v4
	v_mul_f32_e32 v4, 0x5f7ffffc, v4
	v_mul_f32_e32 v5, 0x2f800000, v4
	v_trunc_f32_e32 v5, v5
	v_madmk_f32 v4, v5, 0xcf800000, v4
	v_cvt_u32_f32_e32 v5, v5
	v_cvt_u32_f32_e32 v4, v4
	v_readfirstlane_b32 s4, v5
	v_readfirstlane_b32 s5, v4
	s_mul_i32 s13, s2, s4
	s_mul_hi_u32 s30, s2, s5
	s_mul_i32 s20, s3, s5
	s_add_i32 s13, s30, s13
	s_add_i32 s13, s13, s20
	s_mul_i32 s31, s2, s5
	s_mul_hi_u32 s20, s5, s13
	s_mul_i32 s30, s5, s13
	s_mul_hi_u32 s5, s5, s31
	s_add_u32 s5, s5, s30
	s_addc_u32 s20, 0, s20
	s_mul_hi_u32 s34, s4, s31
	s_mul_i32 s31, s4, s31
	s_add_u32 s5, s5, s31
	s_mul_hi_u32 s30, s4, s13
	s_addc_u32 s5, s20, s34
	s_addc_u32 s20, s30, 0
	s_mul_i32 s13, s4, s13
	s_add_u32 s5, s5, s13
	s_addc_u32 s13, 0, s20
	v_add_co_u32_e32 v4, vcc, s5, v4
	s_cmp_lg_u64 vcc, 0
	s_addc_u32 s4, s4, s13
	v_readfirstlane_b32 s13, v4
	s_mul_i32 s5, s2, s4
	s_mul_hi_u32 s20, s2, s13
	s_add_i32 s5, s20, s5
	s_mul_i32 s3, s3, s13
	s_add_i32 s5, s5, s3
	s_mul_i32 s2, s2, s13
	s_mul_hi_u32 s20, s4, s2
	s_mul_i32 s30, s4, s2
	s_mul_i32 s34, s13, s5
	s_mul_hi_u32 s2, s13, s2
	s_mul_hi_u32 s31, s13, s5
	s_add_u32 s2, s2, s34
	s_addc_u32 s13, 0, s31
	s_add_u32 s2, s2, s30
	s_mul_hi_u32 s3, s4, s5
	s_addc_u32 s2, s13, s20
	s_addc_u32 s3, s3, 0
	s_mul_i32 s5, s4, s5
	s_add_u32 s2, s2, s5
	s_addc_u32 s3, 0, s3
	v_add_co_u32_e32 v4, vcc, s2, v4
	s_cmp_lg_u64 vcc, 0
	s_addc_u32 s4, s4, s3
	s_ashr_i32 s30, s25, 31
	s_add_u32 s2, s24, s30
	s_mov_b32 s31, s30
	s_addc_u32 s3, s25, s30
	s_xor_b64 s[34:35], s[2:3], s[30:31]
	v_readfirstlane_b32 s5, v4
	s_mul_i32 s3, s34, s4
	s_mul_hi_u32 s13, s34, s5
	s_mul_hi_u32 s2, s34, s4
	s_add_u32 s3, s13, s3
	s_addc_u32 s2, 0, s2
	s_mul_hi_u32 s20, s35, s5
	s_mul_i32 s5, s35, s5
	s_add_u32 s3, s3, s5
	s_mul_hi_u32 s13, s35, s4
	s_addc_u32 s2, s2, s20
	s_addc_u32 s3, s13, 0
	s_mul_i32 s4, s35, s4
	s_add_u32 s2, s2, s4
	s_addc_u32 s3, 0, s3
	s_mul_i32 s3, s28, s3
	s_mul_hi_u32 s4, s28, s2
	s_add_i32 s3, s4, s3
	s_mul_i32 s4, s29, s2
	s_mul_i32 s2, s28, s2
	s_add_i32 s13, s3, s4
	v_mov_b32_e32 v4, s2
	s_sub_i32 s3, s35, s13
	v_sub_co_u32_e32 v4, vcc, s34, v4
	s_cmp_lg_u64 vcc, 0
	s_subb_u32 s20, s3, s29
	v_subrev_co_u32_e64 v5, s[2:3], s28, v4
	s_cmp_lg_u64 s[2:3], 0
	s_subb_u32 s31, s20, 0
	s_cmp_ge_u32 s31, s29
	s_cselect_b32 s34, -1, 0
	v_cmp_le_u32_e64 s[4:5], s28, v5
	s_cmp_eq_u32 s31, s29
	v_cndmask_b32_e64 v6, 0, -1, s[4:5]
	v_mov_b32_e32 v7, s34
	s_cselect_b64 s[4:5], -1, 0
	s_cmp_lg_u64 s[2:3], 0
	v_cndmask_b32_e64 v6, v7, v6, s[4:5]
	s_subb_u32 s4, s20, s29
	v_subrev_co_u32_e64 v7, s[2:3], s28, v5
	s_cmp_lg_u64 s[2:3], 0
	s_subb_u32 s4, s4, 0
	v_cmp_ne_u32_e64 s[2:3], 0, v6
	v_cndmask_b32_e64 v5, v5, v7, s[2:3]
	v_mov_b32_e32 v6, s31
	v_mov_b32_e32 v7, s4
	s_cmp_lg_u64 vcc, 0
	v_cndmask_b32_e64 v6, v6, v7, s[2:3]
	s_subb_u32 s2, s35, s13
	s_cmp_ge_u32 s2, s29
	s_cselect_b32 s3, -1, 0
	v_cmp_le_u32_e32 vcc, s28, v4
	s_cmp_eq_u32 s2, s29
	v_cndmask_b32_e64 v7, 0, -1, vcc
	v_mov_b32_e32 v8, s3
	s_cselect_b64 vcc, -1, 0
	v_cndmask_b32_e32 v7, v8, v7, vcc
	v_cmp_ne_u32_e32 vcc, 0, v7
	v_mov_b32_e32 v8, s2
	v_cndmask_b32_e32 v4, v4, v5, vcc
	v_cndmask_b32_e32 v6, v8, v6, vcc
	v_xor_b32_e32 v4, s30, v4
	v_xor_b32_e32 v5, s30, v6
	v_mov_b32_e32 v6, s30
	v_subrev_co_u32_e32 v4, vcc, s30, v4
	v_subb_co_u32_e32 v5, vcc, v5, v6, vcc
	s_cbranch_execnz .LBB48_54
.LBB48_53:
	v_cvt_f32_u32_e32 v4, s18
	s_sub_i32 s2, 0, s18
	v_rcp_iflag_f32_e32 v4, v4
	v_mul_f32_e32 v4, 0x4f7ffffe, v4
	v_cvt_u32_f32_e32 v4, v4
	v_mul_lo_u32 v5, s2, v4
	v_mul_hi_u32 v5, v4, v5
	v_add_u32_e32 v4, v4, v5
	v_mul_hi_u32 v4, s24, v4
	v_mul_lo_u32 v4, v4, s18
	v_sub_u32_e32 v4, s24, v4
	v_subrev_u32_e32 v5, s18, v4
	v_cmp_le_u32_e32 vcc, s18, v4
	v_cndmask_b32_e32 v4, v4, v5, vcc
	v_subrev_u32_e32 v5, s18, v4
	v_cmp_le_u32_e32 vcc, s18, v4
	v_cndmask_b32_e32 v4, v4, v5, vcc
	v_mov_b32_e32 v5, 0
.LBB48_54:
	s_mov_b32 s4, 0x43e00000
	v_div_scale_f32 v6, s[2:3], s4, s4, v1
	v_rcp_f32_e32 v7, v6
	v_div_scale_f32 v8, vcc, v1, s4, v1
	v_fma_f32 v9, -v6, v7, 1.0
	v_fmac_f32_e32 v7, v9, v7
	v_mul_f32_e32 v9, v8, v7
	v_fma_f32 v10, -v6, v9, v8
	v_fmac_f32_e32 v9, v10, v7
	v_fma_f32 v6, -v6, v9, v8
	v_div_fmas_f32 v6, v6, v7, v9
	v_div_fixup_f32 v1, v6, s4, v1
	v_mov_b32_e32 v6, s25
	v_sub_co_u32_e32 v4, vcc, s24, v4
	v_subb_co_u32_e32 v5, vcc, v6, v5, vcc
	v_mul_lo_u32 v5, v5, v2
	v_mul_lo_u32 v6, v4, v3
	v_mad_u64_u32 v[2:3], s[2:3], v4, v2, 0
	s_lshl_b64 s[2:3], s[6:7], 2
	v_add3_u32 v3, v3, v6, v5
	s_add_u32 s2, s2, s10
	v_lshlrev_b64 v[2:3], 2, v[2:3]
	s_addc_u32 s3, s3, s11
	v_mov_b32_e32 v4, s3
	v_add_co_u32_e32 v2, vcc, s2, v2
	v_max_f32_e32 v1, 0x36924925, v1
	v_addc_co_u32_e32 v3, vcc, v4, v3, vcc
	global_store_dword v[2:3], v1, off
.LBB48_55:
	s_or_b64 exec, exec, s[22:23]
	s_barrier
	s_and_saveexec_b64 s[2:3], s[0:1]
	s_cbranch_execz .LBB48_163
; %bb.56:
	s_add_u32 s1, s18, s45
	s_addc_u32 s2, s19, 0
	s_add_u32 s4, s1, -1
	s_addc_u32 s5, s2, -1
	s_or_b64 s[2:3], s[4:5], s[18:19]
	s_mov_b32 s0, 0
	s_mov_b32 s1, s3
	s_cmp_lg_u64 s[0:1], 0
	s_mov_b64 s[22:23], -1
	s_cbranch_scc0 .LBB48_165
; %bb.57:
	s_ashr_i32 s0, s19, 31
	s_add_u32 s2, s18, s0
	s_mov_b32 s1, s0
	s_addc_u32 s3, s19, s0
	s_xor_b64 s[24:25], s[2:3], s[0:1]
	v_cvt_f32_u32_e32 v1, s24
	v_cvt_f32_u32_e32 v2, s25
	s_sub_u32 s0, 0, s24
	s_subb_u32 s1, 0, s25
	v_madmk_f32 v1, v2, 0x4f800000, v1
	v_rcp_f32_e32 v1, v1
	v_mul_f32_e32 v1, 0x5f7ffffc, v1
	v_mul_f32_e32 v2, 0x2f800000, v1
	v_trunc_f32_e32 v2, v2
	v_madmk_f32 v1, v2, 0xcf800000, v1
	v_cvt_u32_f32_e32 v2, v2
	v_cvt_u32_f32_e32 v1, v1
	v_readfirstlane_b32 s2, v2
	v_readfirstlane_b32 s3, v1
	s_mul_i32 s13, s0, s2
	s_mul_hi_u32 s20, s0, s3
	s_mul_i32 s19, s1, s3
	s_add_i32 s13, s20, s13
	s_add_i32 s13, s13, s19
	s_mul_i32 s26, s0, s3
	s_mul_hi_u32 s19, s3, s13
	s_mul_i32 s20, s3, s13
	s_mul_hi_u32 s3, s3, s26
	s_add_u32 s3, s3, s20
	s_addc_u32 s19, 0, s19
	s_mul_hi_u32 s27, s2, s26
	s_mul_i32 s26, s2, s26
	s_add_u32 s3, s3, s26
	s_mul_hi_u32 s20, s2, s13
	s_addc_u32 s3, s19, s27
	s_addc_u32 s19, s20, 0
	s_mul_i32 s13, s2, s13
	s_add_u32 s3, s3, s13
	s_addc_u32 s13, 0, s19
	v_add_co_u32_e32 v1, vcc, s3, v1
	s_cmp_lg_u64 vcc, 0
	s_addc_u32 s2, s2, s13
	v_readfirstlane_b32 s13, v1
	s_mul_i32 s3, s0, s2
	s_mul_hi_u32 s19, s0, s13
	s_add_i32 s3, s19, s3
	s_mul_i32 s1, s1, s13
	s_add_i32 s3, s3, s1
	s_mul_i32 s0, s0, s13
	s_mul_hi_u32 s19, s2, s0
	s_mul_i32 s20, s2, s0
	s_mul_i32 s27, s13, s3
	s_mul_hi_u32 s0, s13, s0
	s_mul_hi_u32 s26, s13, s3
	s_add_u32 s0, s0, s27
	s_addc_u32 s13, 0, s26
	s_add_u32 s0, s0, s20
	s_mul_hi_u32 s1, s2, s3
	s_addc_u32 s0, s13, s19
	s_addc_u32 s1, s1, 0
	s_mul_i32 s3, s2, s3
	s_add_u32 s0, s0, s3
	s_addc_u32 s1, 0, s1
	v_add_co_u32_e32 v1, vcc, s0, v1
	s_cmp_lg_u64 vcc, 0
	s_addc_u32 s2, s2, s1
	s_ashr_i32 s26, s5, 31
	s_add_u32 s0, s4, s26
	s_mov_b32 s27, s26
	s_addc_u32 s1, s5, s26
	s_xor_b64 s[28:29], s[0:1], s[26:27]
	v_readfirstlane_b32 s3, v1
	s_mul_i32 s1, s28, s2
	s_mul_hi_u32 s13, s28, s3
	s_mul_hi_u32 s0, s28, s2
	s_add_u32 s1, s13, s1
	s_addc_u32 s0, 0, s0
	s_mul_hi_u32 s19, s29, s3
	s_mul_i32 s3, s29, s3
	s_add_u32 s1, s1, s3
	s_mul_hi_u32 s13, s29, s2
	s_addc_u32 s0, s0, s19
	s_addc_u32 s1, s13, 0
	s_mul_i32 s2, s29, s2
	s_add_u32 s0, s0, s2
	s_addc_u32 s1, 0, s1
	s_mul_i32 s1, s24, s1
	s_mul_hi_u32 s2, s24, s0
	s_add_i32 s1, s2, s1
	s_mul_i32 s2, s25, s0
	s_mul_i32 s0, s24, s0
	s_add_i32 s13, s1, s2
	v_mov_b32_e32 v1, s0
	s_sub_i32 s1, s29, s13
	v_sub_co_u32_e32 v1, vcc, s28, v1
	s_cmp_lg_u64 vcc, 0
	s_subb_u32 s19, s1, s25
	v_subrev_co_u32_e64 v2, s[0:1], s24, v1
	s_cmp_lg_u64 s[0:1], 0
	s_subb_u32 s20, s19, 0
	s_cmp_ge_u32 s20, s25
	s_cselect_b32 s27, -1, 0
	v_cmp_le_u32_e64 s[2:3], s24, v2
	s_cmp_eq_u32 s20, s25
	v_cndmask_b32_e64 v3, 0, -1, s[2:3]
	v_mov_b32_e32 v4, s27
	s_cselect_b64 s[2:3], -1, 0
	s_cmp_lg_u64 s[0:1], 0
	v_cndmask_b32_e64 v3, v4, v3, s[2:3]
	s_subb_u32 s2, s19, s25
	v_subrev_co_u32_e64 v4, s[0:1], s24, v2
	s_cmp_lg_u64 s[0:1], 0
	s_subb_u32 s2, s2, 0
	v_cmp_ne_u32_e64 s[0:1], 0, v3
	v_cndmask_b32_e64 v2, v2, v4, s[0:1]
	v_mov_b32_e32 v3, s20
	v_mov_b32_e32 v4, s2
	s_cmp_lg_u64 vcc, 0
	v_cndmask_b32_e64 v3, v3, v4, s[0:1]
	s_subb_u32 s0, s29, s13
	s_cmp_ge_u32 s0, s25
	s_cselect_b32 s1, -1, 0
	v_cmp_le_u32_e32 vcc, s24, v1
	s_cmp_eq_u32 s0, s25
	v_cndmask_b32_e64 v4, 0, -1, vcc
	v_mov_b32_e32 v5, s1
	s_cselect_b64 vcc, -1, 0
	v_cndmask_b32_e32 v4, v5, v4, vcc
	v_cmp_ne_u32_e32 vcc, 0, v4
	v_mov_b32_e32 v5, s0
	v_cndmask_b32_e32 v1, v1, v2, vcc
	v_cndmask_b32_e32 v3, v5, v3, vcc
	v_xor_b32_e32 v1, s26, v1
	v_xor_b32_e32 v3, s26, v3
	v_mov_b32_e32 v4, s26
	v_subrev_co_u32_e32 v2, vcc, s26, v1
	v_subb_co_u32_e32 v3, vcc, v3, v4, vcc
	s_cbranch_execnz .LBB48_59
.LBB48_58:
	v_cvt_f32_u32_e32 v1, s18
	s_sub_i32 s0, 0, s18
	v_mov_b32_e32 v3, 0
	v_rcp_iflag_f32_e32 v1, v1
	v_mul_f32_e32 v1, 0x4f7ffffe, v1
	v_cvt_u32_f32_e32 v1, v1
	v_mul_lo_u32 v2, s0, v1
	v_mul_hi_u32 v2, v1, v2
	v_add_u32_e32 v1, v1, v2
	v_mul_hi_u32 v1, s4, v1
	v_mul_lo_u32 v1, v1, s18
	v_sub_u32_e32 v1, s4, v1
	v_subrev_u32_e32 v2, s18, v1
	v_cmp_le_u32_e32 vcc, s18, v1
	v_cndmask_b32_e32 v1, v1, v2, vcc
	v_subrev_u32_e32 v2, s18, v1
	v_cmp_le_u32_e32 vcc, s18, v1
	v_cndmask_b32_e32 v2, v1, v2, vcc
.LBB48_59:
	s_mul_i32 s0, s21, s6
	s_mul_hi_u32 s1, s17, s6
	s_add_i32 s1, s1, s0
	s_mul_i32 s0, s17, s6
	s_add_u32 s13, s8, s0
	s_addc_u32 s17, s9, s1
	s_lshl_b64 s[0:1], s[6:7], 2
	s_add_u32 s18, s10, s0
	s_addc_u32 s19, s11, s1
	v_mov_b32_e32 v1, s5
	v_sub_co_u32_e32 v10, vcc, s4, v2
	v_subb_co_u32_e32 v11, vcc, v1, v3, vcc
	s_mul_i32 s20, s16, 3
	s_lshl_b32 s21, s16, 1
	s_mov_b64 s[0:1], 0
	v_mov_b32_e32 v1, 0
	v_mov_b32_e32 v12, s44
	;; [unrolled: 1-line block ×4, first 2 shown]
	s_mov_b32 s22, 0x43f00000
	s_mov_b32 s23, 0x3c7fffff
	;; [unrolled: 1-line block ×4, first 2 shown]
	s_movk_i32 s26, 0x80
	s_movk_i32 s27, 0xff
	s_branch .LBB48_65
.LBB48_60:                              ;   in Loop: Header=BB48_65 Depth=1
	s_or_b64 exec, exec, s[10:11]
.LBB48_61:                              ;   in Loop: Header=BB48_65 Depth=1
	s_or_b64 exec, exec, s[8:9]
	v_lshlrev_b64 v[18:19], 2, v[0:1]
	v_and_b32_sdwa v7, v17, s26 dst_sel:DWORD dst_unused:UNUSED_PAD src0_sel:BYTE_3 src1_sel:DWORD
	v_mov_b32_e32 v0, s17
	v_add_co_u32_e32 v18, vcc, s13, v18
	v_and_b32_sdwa v4, v4, s26 dst_sel:DWORD dst_unused:UNUSED_PAD src0_sel:BYTE_3 src1_sel:DWORD
	v_addc_co_u32_e32 v19, vcc, v0, v19, vcc
	v_lshlrev_b32_e32 v0, 24, v6
	v_and_or_b32 v6, v16, s27, v7
	v_lshrrev_b32_e32 v9, 24, v9
	v_and_b32_e32 v5, 0x80000000, v5
	v_lshlrev_b32_e32 v6, 16, v6
	v_and_or_b32 v3, v3, s27, v4
	v_and_b32_e32 v4, 0xff, v8
	v_or3_b32 v0, v5, v0, v6
	v_lshlrev_b32_e32 v3, 8, v3
	v_and_or_b32 v4, v9, s26, v4
	s_add_i32 s8, s16, s16
	v_or3_b32 v0, v0, v3, v4
	s_add_i32 s8, s8, s16
	global_store_dword v[18:19], v0, off
	v_add_u32_e32 v0, s8, v2
	v_cmp_le_u32_e32 vcc, s12, v0
	s_orn2_b64 s[8:9], vcc, exec
.LBB48_62:                              ;   in Loop: Header=BB48_65 Depth=1
	s_or_b64 exec, exec, s[6:7]
	s_orn2_b64 s[6:7], s[8:9], exec
.LBB48_63:                              ;   in Loop: Header=BB48_65 Depth=1
	s_or_b64 exec, exec, s[4:5]
	s_orn2_b64 s[4:5], s[6:7], exec
.LBB48_64:                              ;   in Loop: Header=BB48_65 Depth=1
	s_or_b64 exec, exec, s[2:3]
	s_and_b64 s[2:3], exec, s[4:5]
	s_or_b64 s[0:1], s[2:3], s[0:1]
	s_andn2_b64 exec, exec, s[0:1]
	s_cbranch_execz .LBB48_163
.LBB48_65:                              ; =>This Inner Loop Header: Depth=1
	v_lshlrev_b64 v[4:5], 3, v[0:1]
	v_add_co_u32_e32 v2, vcc, s33, v4
	v_addc_co_u32_e32 v3, vcc, v12, v5, vcc
	v_bfe_u32 v9, v0, 5, 25
	v_add_co_u32_e32 v4, vcc, s14, v4
	v_mad_u64_u32 v[6:7], s[2:3], v10, v9, 0
	global_load_dwordx2 v[2:3], v[2:3], off
	v_addc_co_u32_e32 v5, vcc, v13, v5, vcc
	v_mov_b32_e32 v8, v7
	global_load_dwordx2 v[4:5], v[4:5], off
	v_mad_u64_u32 v[8:9], s[2:3], v11, v9, v[8:9]
	v_mov_b32_e32 v7, v8
	v_lshlrev_b64 v[6:7], 2, v[6:7]
	v_add_co_u32_e32 v6, vcc, s18, v6
	v_addc_co_u32_e32 v7, vcc, v14, v7, vcc
	global_load_dword v9, v[6:7], off
	s_waitcnt vmcnt(2)
	v_fma_mixlo_f16 v6, v36, v2, 0 op_sel_hi:[0,1,0]
	s_waitcnt vmcnt(1)
	v_mul_f16_e32 v6, v4, v6
	v_cvt_f32_f16_e32 v7, v6
	v_mov_b32_e32 v6, 0x7f
	s_waitcnt vmcnt(0)
	v_div_scale_f32 v8, s[2:3], v9, v9, v7
	v_rcp_f32_e32 v15, v8
	v_div_scale_f32 v16, vcc, v7, v9, v7
	v_fma_f32 v17, -v8, v15, 1.0
	v_fmac_f32_e32 v15, v17, v15
	v_mul_f32_e32 v17, v16, v15
	v_fma_f32 v18, -v8, v17, v16
	v_fmac_f32_e32 v17, v18, v15
	v_fma_f32 v8, -v8, v17, v16
	v_div_fmas_f32 v8, v8, v15, v17
	v_div_fixup_f32 v7, v8, v9, v7
	v_min_f32_e32 v7, 0x43e00000, v7
	v_max_f32_e32 v8, 0xc3e00000, v7
	v_and_b32_e32 v15, 0x7fffffff, v8
	v_cmp_gt_u32_e32 vcc, s22, v15
	v_mov_b32_e32 v7, 0x7f
	s_and_saveexec_b64 s[2:3], vcc
	s_cbranch_execz .LBB48_71
; %bb.66:                               ;   in Loop: Header=BB48_65 Depth=1
	v_cmp_lt_u32_e32 vcc, s23, v15
                                        ; implicit-def: $vgpr7
	s_and_saveexec_b64 s[4:5], vcc
	s_xor_b64 s[4:5], exec, s[4:5]
; %bb.67:                               ;   in Loop: Header=BB48_65 Depth=1
	v_bfe_u32 v7, v8, 20, 1
	v_add3_u32 v7, v8, v7, s24
	v_lshrrev_b32_e32 v7, 20, v7
; %bb.68:                               ;   in Loop: Header=BB48_65 Depth=1
	s_andn2_saveexec_b64 s[4:5], s[4:5]
; %bb.69:                               ;   in Loop: Header=BB48_65 Depth=1
	v_add_f32_e64 v7, |v8|, s25
; %bb.70:                               ;   in Loop: Header=BB48_65 Depth=1
	s_or_b64 exec, exec, s[4:5]
.LBB48_71:                              ;   in Loop: Header=BB48_65 Depth=1
	s_or_b64 exec, exec, s[2:3]
	v_fma_mixlo_f16 v2, v36, v2, 0 op_sel:[0,1,0] op_sel_hi:[0,1,0]
	v_mul_f16_sdwa v2, v4, v2 dst_sel:DWORD dst_unused:UNUSED_PAD src0_sel:WORD_1 src1_sel:DWORD
	v_cvt_f32_f16_e32 v2, v2
	v_div_scale_f32 v4, s[2:3], v9, v9, v2
	v_rcp_f32_e32 v15, v4
	v_div_scale_f32 v16, vcc, v2, v9, v2
	v_fma_f32 v17, -v4, v15, 1.0
	v_fmac_f32_e32 v15, v17, v15
	v_mul_f32_e32 v17, v16, v15
	v_fma_f32 v18, -v4, v17, v16
	v_fmac_f32_e32 v17, v18, v15
	v_fma_f32 v4, -v4, v17, v16
	v_div_fmas_f32 v4, v4, v15, v17
	v_div_fixup_f32 v2, v4, v9, v2
	v_min_f32_e32 v2, 0x43e00000, v2
	v_max_f32_e32 v2, 0xc3e00000, v2
	v_and_b32_e32 v4, 0x7fffffff, v2
	v_cmp_gt_u32_e32 vcc, s22, v4
	s_and_saveexec_b64 s[2:3], vcc
	s_cbranch_execz .LBB48_77
; %bb.72:                               ;   in Loop: Header=BB48_65 Depth=1
	v_cmp_lt_u32_e32 vcc, s23, v4
                                        ; implicit-def: $vgpr6
	s_and_saveexec_b64 s[4:5], vcc
	s_xor_b64 s[4:5], exec, s[4:5]
; %bb.73:                               ;   in Loop: Header=BB48_65 Depth=1
	v_bfe_u32 v4, v2, 20, 1
	v_add3_u32 v4, v2, v4, s24
	v_lshrrev_b32_e32 v6, 20, v4
; %bb.74:                               ;   in Loop: Header=BB48_65 Depth=1
	s_andn2_saveexec_b64 s[4:5], s[4:5]
; %bb.75:                               ;   in Loop: Header=BB48_65 Depth=1
	v_add_f32_e64 v6, |v2|, s25
; %bb.76:                               ;   in Loop: Header=BB48_65 Depth=1
	s_or_b64 exec, exec, s[4:5]
.LBB48_77:                              ;   in Loop: Header=BB48_65 Depth=1
	s_or_b64 exec, exec, s[2:3]
	v_fma_mixlo_f16 v4, v36, v3, 0 op_sel_hi:[0,1,0]
	v_mul_f16_e32 v4, v5, v4
	v_cvt_f32_f16_e32 v15, v4
	v_mov_b32_e32 v4, 0x7f
	v_div_scale_f32 v16, s[2:3], v9, v9, v15
	v_rcp_f32_e32 v17, v16
	v_div_scale_f32 v18, vcc, v15, v9, v15
	v_fma_f32 v19, -v16, v17, 1.0
	v_fmac_f32_e32 v17, v19, v17
	v_mul_f32_e32 v19, v18, v17
	v_fma_f32 v20, -v16, v19, v18
	v_fmac_f32_e32 v19, v20, v17
	v_fma_f32 v16, -v16, v19, v18
	v_div_fmas_f32 v16, v16, v17, v19
	v_div_fixup_f32 v15, v16, v9, v15
	v_min_f32_e32 v15, 0x43e00000, v15
	v_max_f32_e32 v16, 0xc3e00000, v15
	v_and_b32_e32 v17, 0x7fffffff, v16
	v_cmp_gt_u32_e32 vcc, s22, v17
	v_mov_b32_e32 v15, 0x7f
	s_and_saveexec_b64 s[2:3], vcc
	s_cbranch_execz .LBB48_83
; %bb.78:                               ;   in Loop: Header=BB48_65 Depth=1
	v_cmp_lt_u32_e32 vcc, s23, v17
                                        ; implicit-def: $vgpr15
	s_and_saveexec_b64 s[4:5], vcc
	s_xor_b64 s[4:5], exec, s[4:5]
; %bb.79:                               ;   in Loop: Header=BB48_65 Depth=1
	v_bfe_u32 v15, v16, 20, 1
	v_add3_u32 v15, v16, v15, s24
	v_lshrrev_b32_e32 v15, 20, v15
; %bb.80:                               ;   in Loop: Header=BB48_65 Depth=1
	s_andn2_saveexec_b64 s[4:5], s[4:5]
; %bb.81:                               ;   in Loop: Header=BB48_65 Depth=1
	v_add_f32_e64 v15, |v16|, s25
; %bb.82:                               ;   in Loop: Header=BB48_65 Depth=1
	s_or_b64 exec, exec, s[4:5]
.LBB48_83:                              ;   in Loop: Header=BB48_65 Depth=1
	s_or_b64 exec, exec, s[2:3]
	v_fma_mixlo_f16 v3, v36, v3, 0 op_sel:[0,1,0] op_sel_hi:[0,1,0]
	v_mul_f16_sdwa v3, v5, v3 dst_sel:DWORD dst_unused:UNUSED_PAD src0_sel:WORD_1 src1_sel:DWORD
	v_cvt_f32_f16_e32 v3, v3
	v_div_scale_f32 v5, s[2:3], v9, v9, v3
	v_rcp_f32_e32 v17, v5
	v_div_scale_f32 v18, vcc, v3, v9, v3
	v_fma_f32 v19, -v5, v17, 1.0
	v_fmac_f32_e32 v17, v19, v17
	v_mul_f32_e32 v19, v18, v17
	v_fma_f32 v20, -v5, v19, v18
	v_fmac_f32_e32 v19, v20, v17
	v_fma_f32 v5, -v5, v19, v18
	v_div_fmas_f32 v5, v5, v17, v19
	v_div_fixup_f32 v3, v5, v9, v3
	v_min_f32_e32 v3, 0x43e00000, v3
	v_max_f32_e32 v3, 0xc3e00000, v3
	v_and_b32_e32 v5, 0x7fffffff, v3
	v_cmp_gt_u32_e32 vcc, s22, v5
	s_and_saveexec_b64 s[2:3], vcc
	s_cbranch_execz .LBB48_89
; %bb.84:                               ;   in Loop: Header=BB48_65 Depth=1
	v_cmp_lt_u32_e32 vcc, s23, v5
                                        ; implicit-def: $vgpr4
	s_and_saveexec_b64 s[4:5], vcc
	s_xor_b64 s[4:5], exec, s[4:5]
; %bb.85:                               ;   in Loop: Header=BB48_65 Depth=1
	v_bfe_u32 v4, v3, 20, 1
	v_add3_u32 v4, v3, v4, s24
	v_lshrrev_b32_e32 v4, 20, v4
; %bb.86:                               ;   in Loop: Header=BB48_65 Depth=1
	s_andn2_saveexec_b64 s[4:5], s[4:5]
; %bb.87:                               ;   in Loop: Header=BB48_65 Depth=1
	v_add_f32_e64 v4, |v3|, s25
; %bb.88:                               ;   in Loop: Header=BB48_65 Depth=1
	s_or_b64 exec, exec, s[4:5]
.LBB48_89:                              ;   in Loop: Header=BB48_65 Depth=1
	s_or_b64 exec, exec, s[2:3]
	v_and_b32_sdwa v5, v16, s26 dst_sel:DWORD dst_unused:UNUSED_PAD src0_sel:BYTE_3 src1_sel:DWORD
	v_and_or_b32 v5, v15, s27, v5
	v_and_b32_sdwa v2, v2, s26 dst_sel:DWORD dst_unused:UNUSED_PAD src0_sel:BYTE_3 src1_sel:DWORD
	v_lshlrev_b32_e32 v4, 24, v4
	v_and_b32_e32 v3, 0x80000000, v3
	v_lshlrev_b32_e32 v5, 16, v5
	v_lshrrev_b32_e32 v16, 24, v8
	v_lshlrev_b64 v[8:9], 2, v[0:1]
	v_or3_b32 v3, v3, v4, v5
	v_and_or_b32 v2, v6, s27, v2
	v_and_b32_e32 v4, 0xff, v7
	v_mov_b32_e32 v17, s17
	v_add_co_u32_e32 v8, vcc, s13, v8
	v_lshlrev_b32_e32 v2, 8, v2
	v_and_or_b32 v4, v16, s26, v4
	v_addc_co_u32_e32 v9, vcc, v17, v9, vcc
	v_or3_b32 v2, v3, v2, v4
	global_store_dword v[8:9], v2, off
	v_add_u32_e32 v2, s16, v0
	v_cmp_gt_u32_e32 vcc, s12, v2
	s_mov_b64 s[4:5], -1
	s_and_saveexec_b64 s[2:3], vcc
	s_cbranch_execz .LBB48_64
; %bb.90:                               ;   in Loop: Header=BB48_65 Depth=1
	v_mov_b32_e32 v3, v1
	v_lshlrev_b64 v[6:7], 3, v[2:3]
	v_mov_b32_e32 v5, s44
	v_add_co_u32_e32 v4, vcc, s33, v6
	v_addc_co_u32_e32 v5, vcc, v5, v7, vcc
	v_mov_b32_e32 v8, s15
	v_add_co_u32_e32 v6, vcc, s14, v6
	v_bfe_u32 v15, v2, 5, 25
	v_addc_co_u32_e32 v7, vcc, v8, v7, vcc
	v_mad_u64_u32 v[8:9], s[4:5], v10, v15, 0
	global_load_dwordx2 v[4:5], v[4:5], off
	v_mov_b32_e32 v16, v9
	global_load_dwordx2 v[6:7], v[6:7], off
	v_mad_u64_u32 v[16:17], s[4:5], v11, v15, v[16:17]
	v_mov_b32_e32 v9, v16
	v_lshlrev_b64 v[8:9], 2, v[8:9]
	v_mov_b32_e32 v15, s19
	v_add_co_u32_e32 v8, vcc, s18, v8
	v_addc_co_u32_e32 v9, vcc, v15, v9, vcc
	global_load_dword v16, v[8:9], off
	s_waitcnt vmcnt(2)
	v_fma_mixlo_f16 v8, v36, v4, 0 op_sel_hi:[0,1,0]
	s_waitcnt vmcnt(1)
	v_mul_f16_e32 v8, v6, v8
	v_cvt_f32_f16_e32 v9, v8
	v_mov_b32_e32 v8, 0x7f
	s_waitcnt vmcnt(0)
	v_div_scale_f32 v15, s[4:5], v16, v16, v9
	v_rcp_f32_e32 v17, v15
	v_div_scale_f32 v18, vcc, v9, v16, v9
	v_fma_f32 v19, -v15, v17, 1.0
	v_fmac_f32_e32 v17, v19, v17
	v_mul_f32_e32 v19, v18, v17
	v_fma_f32 v20, -v15, v19, v18
	v_fmac_f32_e32 v19, v20, v17
	v_fma_f32 v15, -v15, v19, v18
	v_div_fmas_f32 v15, v15, v17, v19
	v_div_fixup_f32 v9, v15, v16, v9
	v_min_f32_e32 v9, 0x43e00000, v9
	v_max_f32_e32 v15, 0xc3e00000, v9
	v_and_b32_e32 v17, 0x7fffffff, v15
	v_cmp_gt_u32_e32 vcc, s22, v17
	v_mov_b32_e32 v9, 0x7f
	s_and_saveexec_b64 s[4:5], vcc
	s_cbranch_execz .LBB48_96
; %bb.91:                               ;   in Loop: Header=BB48_65 Depth=1
	v_cmp_lt_u32_e32 vcc, s23, v17
                                        ; implicit-def: $vgpr9
	s_and_saveexec_b64 s[6:7], vcc
	s_xor_b64 s[6:7], exec, s[6:7]
; %bb.92:                               ;   in Loop: Header=BB48_65 Depth=1
	v_bfe_u32 v9, v15, 20, 1
	v_add3_u32 v9, v15, v9, s24
	v_lshrrev_b32_e32 v9, 20, v9
; %bb.93:                               ;   in Loop: Header=BB48_65 Depth=1
	s_andn2_saveexec_b64 s[6:7], s[6:7]
; %bb.94:                               ;   in Loop: Header=BB48_65 Depth=1
	v_add_f32_e64 v9, |v15|, s25
; %bb.95:                               ;   in Loop: Header=BB48_65 Depth=1
	s_or_b64 exec, exec, s[6:7]
.LBB48_96:                              ;   in Loop: Header=BB48_65 Depth=1
	s_or_b64 exec, exec, s[4:5]
	v_fma_mixlo_f16 v4, v36, v4, 0 op_sel:[0,1,0] op_sel_hi:[0,1,0]
	v_mul_f16_sdwa v4, v6, v4 dst_sel:DWORD dst_unused:UNUSED_PAD src0_sel:WORD_1 src1_sel:DWORD
	v_cvt_f32_f16_e32 v4, v4
	v_div_scale_f32 v6, s[4:5], v16, v16, v4
	v_rcp_f32_e32 v17, v6
	v_div_scale_f32 v18, vcc, v4, v16, v4
	v_fma_f32 v19, -v6, v17, 1.0
	v_fmac_f32_e32 v17, v19, v17
	v_mul_f32_e32 v19, v18, v17
	v_fma_f32 v20, -v6, v19, v18
	v_fmac_f32_e32 v19, v20, v17
	v_fma_f32 v6, -v6, v19, v18
	v_div_fmas_f32 v6, v6, v17, v19
	v_div_fixup_f32 v4, v6, v16, v4
	v_min_f32_e32 v4, 0x43e00000, v4
	v_max_f32_e32 v4, 0xc3e00000, v4
	v_and_b32_e32 v6, 0x7fffffff, v4
	v_cmp_gt_u32_e32 vcc, s22, v6
	s_and_saveexec_b64 s[4:5], vcc
	s_cbranch_execz .LBB48_102
; %bb.97:                               ;   in Loop: Header=BB48_65 Depth=1
	v_cmp_lt_u32_e32 vcc, s23, v6
                                        ; implicit-def: $vgpr8
	s_and_saveexec_b64 s[6:7], vcc
	s_xor_b64 s[6:7], exec, s[6:7]
; %bb.98:                               ;   in Loop: Header=BB48_65 Depth=1
	v_bfe_u32 v6, v4, 20, 1
	v_add3_u32 v6, v4, v6, s24
	v_lshrrev_b32_e32 v8, 20, v6
; %bb.99:                               ;   in Loop: Header=BB48_65 Depth=1
	s_andn2_saveexec_b64 s[6:7], s[6:7]
; %bb.100:                              ;   in Loop: Header=BB48_65 Depth=1
	v_add_f32_e64 v8, |v4|, s25
; %bb.101:                              ;   in Loop: Header=BB48_65 Depth=1
	s_or_b64 exec, exec, s[6:7]
.LBB48_102:                             ;   in Loop: Header=BB48_65 Depth=1
	s_or_b64 exec, exec, s[4:5]
	v_fma_mixlo_f16 v6, v36, v5, 0 op_sel_hi:[0,1,0]
	v_mul_f16_e32 v6, v7, v6
	v_cvt_f32_f16_e32 v17, v6
	v_mov_b32_e32 v6, 0x7f
	v_div_scale_f32 v18, s[4:5], v16, v16, v17
	v_rcp_f32_e32 v19, v18
	v_div_scale_f32 v20, vcc, v17, v16, v17
	v_fma_f32 v21, -v18, v19, 1.0
	v_fmac_f32_e32 v19, v21, v19
	v_mul_f32_e32 v21, v20, v19
	v_fma_f32 v22, -v18, v21, v20
	v_fmac_f32_e32 v21, v22, v19
	v_fma_f32 v18, -v18, v21, v20
	v_div_fmas_f32 v18, v18, v19, v21
	v_div_fixup_f32 v17, v18, v16, v17
	v_min_f32_e32 v17, 0x43e00000, v17
	v_max_f32_e32 v18, 0xc3e00000, v17
	v_and_b32_e32 v19, 0x7fffffff, v18
	v_cmp_gt_u32_e32 vcc, s22, v19
	v_mov_b32_e32 v17, 0x7f
	s_and_saveexec_b64 s[4:5], vcc
	s_cbranch_execz .LBB48_108
; %bb.103:                              ;   in Loop: Header=BB48_65 Depth=1
	v_cmp_lt_u32_e32 vcc, s23, v19
                                        ; implicit-def: $vgpr17
	s_and_saveexec_b64 s[6:7], vcc
	s_xor_b64 s[6:7], exec, s[6:7]
; %bb.104:                              ;   in Loop: Header=BB48_65 Depth=1
	v_bfe_u32 v17, v18, 20, 1
	v_add3_u32 v17, v18, v17, s24
	v_lshrrev_b32_e32 v17, 20, v17
; %bb.105:                              ;   in Loop: Header=BB48_65 Depth=1
	s_andn2_saveexec_b64 s[6:7], s[6:7]
; %bb.106:                              ;   in Loop: Header=BB48_65 Depth=1
	v_add_f32_e64 v17, |v18|, s25
; %bb.107:                              ;   in Loop: Header=BB48_65 Depth=1
	s_or_b64 exec, exec, s[6:7]
.LBB48_108:                             ;   in Loop: Header=BB48_65 Depth=1
	s_or_b64 exec, exec, s[4:5]
	v_fma_mixlo_f16 v5, v36, v5, 0 op_sel:[0,1,0] op_sel_hi:[0,1,0]
	v_mul_f16_sdwa v5, v7, v5 dst_sel:DWORD dst_unused:UNUSED_PAD src0_sel:WORD_1 src1_sel:DWORD
	v_cvt_f32_f16_e32 v5, v5
	v_div_scale_f32 v7, s[4:5], v16, v16, v5
	v_rcp_f32_e32 v19, v7
	v_div_scale_f32 v20, vcc, v5, v16, v5
	v_fma_f32 v21, -v7, v19, 1.0
	v_fmac_f32_e32 v19, v21, v19
	v_mul_f32_e32 v21, v20, v19
	v_fma_f32 v22, -v7, v21, v20
	v_fmac_f32_e32 v21, v22, v19
	v_fma_f32 v7, -v7, v21, v20
	v_div_fmas_f32 v7, v7, v19, v21
	v_div_fixup_f32 v5, v7, v16, v5
	v_min_f32_e32 v5, 0x43e00000, v5
	v_max_f32_e32 v5, 0xc3e00000, v5
	v_and_b32_e32 v7, 0x7fffffff, v5
	v_cmp_gt_u32_e32 vcc, s22, v7
	s_and_saveexec_b64 s[4:5], vcc
	s_cbranch_execz .LBB48_114
; %bb.109:                              ;   in Loop: Header=BB48_65 Depth=1
	v_cmp_lt_u32_e32 vcc, s23, v7
                                        ; implicit-def: $vgpr6
	s_and_saveexec_b64 s[6:7], vcc
	s_xor_b64 s[6:7], exec, s[6:7]
; %bb.110:                              ;   in Loop: Header=BB48_65 Depth=1
	v_bfe_u32 v6, v5, 20, 1
	v_add3_u32 v6, v5, v6, s24
	v_lshrrev_b32_e32 v6, 20, v6
; %bb.111:                              ;   in Loop: Header=BB48_65 Depth=1
	s_andn2_saveexec_b64 s[6:7], s[6:7]
; %bb.112:                              ;   in Loop: Header=BB48_65 Depth=1
	v_add_f32_e64 v6, |v5|, s25
; %bb.113:                              ;   in Loop: Header=BB48_65 Depth=1
	s_or_b64 exec, exec, s[6:7]
.LBB48_114:                             ;   in Loop: Header=BB48_65 Depth=1
	s_or_b64 exec, exec, s[4:5]
	v_and_b32_sdwa v7, v18, s26 dst_sel:DWORD dst_unused:UNUSED_PAD src0_sel:BYTE_3 src1_sel:DWORD
	v_lshlrev_b64 v[18:19], 2, v[2:3]
	v_mov_b32_e32 v3, s17
	v_add_co_u32_e32 v18, vcc, s13, v18
	v_addc_co_u32_e32 v19, vcc, v3, v19, vcc
	v_lshlrev_b32_e32 v3, 24, v6
	v_and_or_b32 v6, v17, s27, v7
	v_and_b32_sdwa v4, v4, s26 dst_sel:DWORD dst_unused:UNUSED_PAD src0_sel:BYTE_3 src1_sel:DWORD
	v_and_b32_e32 v5, 0x80000000, v5
	v_lshlrev_b32_e32 v6, 16, v6
	v_lshrrev_b32_e32 v15, 24, v15
	v_or3_b32 v3, v5, v3, v6
	v_and_or_b32 v4, v8, s27, v4
	v_and_b32_e32 v5, 0xff, v9
	v_lshlrev_b32_e32 v4, 8, v4
	v_and_or_b32 v5, v15, s26, v5
	v_or3_b32 v3, v3, v4, v5
	v_add_u32_e32 v4, s21, v0
	v_cmp_gt_u32_e32 vcc, s12, v4
	s_mov_b64 s[6:7], -1
	global_store_dword v[18:19], v3, off
	s_and_saveexec_b64 s[4:5], vcc
	s_cbranch_execz .LBB48_63
; %bb.115:                              ;   in Loop: Header=BB48_65 Depth=1
	v_mov_b32_e32 v5, v1
	v_lshlrev_b64 v[8:9], 3, v[4:5]
	v_mov_b32_e32 v3, s44
	v_add_co_u32_e32 v6, vcc, s33, v8
	v_addc_co_u32_e32 v7, vcc, v3, v9, vcc
	v_mov_b32_e32 v3, s15
	v_add_co_u32_e32 v8, vcc, s14, v8
	v_addc_co_u32_e32 v9, vcc, v3, v9, vcc
	v_bfe_u32 v3, v4, 5, 25
	v_mad_u64_u32 v[16:17], s[6:7], v10, v3, 0
	global_load_dwordx2 v[6:7], v[6:7], off
	v_mov_b32_e32 v18, v17
	global_load_dwordx2 v[8:9], v[8:9], off
	v_mad_u64_u32 v[18:19], s[6:7], v11, v3, v[18:19]
	v_mov_b32_e32 v17, v18
	v_lshlrev_b64 v[16:17], 2, v[16:17]
	v_mov_b32_e32 v3, s19
	v_add_co_u32_e32 v16, vcc, s18, v16
	v_addc_co_u32_e32 v17, vcc, v3, v17, vcc
	global_load_dword v17, v[16:17], off
	s_waitcnt vmcnt(2)
	v_fma_mixlo_f16 v3, v36, v6, 0 op_sel_hi:[0,1,0]
	s_waitcnt vmcnt(1)
	v_mul_f16_e32 v3, v8, v3
	v_cvt_f32_f16_e32 v15, v3
	v_mov_b32_e32 v3, 0x7f
	s_waitcnt vmcnt(0)
	v_div_scale_f32 v16, s[6:7], v17, v17, v15
	v_rcp_f32_e32 v18, v16
	v_div_scale_f32 v19, vcc, v15, v17, v15
	v_fma_f32 v20, -v16, v18, 1.0
	v_fmac_f32_e32 v18, v20, v18
	v_mul_f32_e32 v20, v19, v18
	v_fma_f32 v21, -v16, v20, v19
	v_fmac_f32_e32 v20, v21, v18
	v_fma_f32 v16, -v16, v20, v19
	v_div_fmas_f32 v16, v16, v18, v20
	v_div_fixup_f32 v15, v16, v17, v15
	v_min_f32_e32 v15, 0x43e00000, v15
	v_max_f32_e32 v16, 0xc3e00000, v15
	v_and_b32_e32 v18, 0x7fffffff, v16
	v_cmp_gt_u32_e32 vcc, s22, v18
	v_mov_b32_e32 v15, 0x7f
	s_and_saveexec_b64 s[6:7], vcc
	s_cbranch_execz .LBB48_121
; %bb.116:                              ;   in Loop: Header=BB48_65 Depth=1
	v_cmp_lt_u32_e32 vcc, s23, v18
                                        ; implicit-def: $vgpr15
	s_and_saveexec_b64 s[8:9], vcc
	s_xor_b64 s[8:9], exec, s[8:9]
; %bb.117:                              ;   in Loop: Header=BB48_65 Depth=1
	v_bfe_u32 v15, v16, 20, 1
	v_add3_u32 v15, v16, v15, s24
	v_lshrrev_b32_e32 v15, 20, v15
; %bb.118:                              ;   in Loop: Header=BB48_65 Depth=1
	s_andn2_saveexec_b64 s[8:9], s[8:9]
; %bb.119:                              ;   in Loop: Header=BB48_65 Depth=1
	v_add_f32_e64 v15, |v16|, s25
; %bb.120:                              ;   in Loop: Header=BB48_65 Depth=1
	s_or_b64 exec, exec, s[8:9]
.LBB48_121:                             ;   in Loop: Header=BB48_65 Depth=1
	s_or_b64 exec, exec, s[6:7]
	v_fma_mixlo_f16 v6, v36, v6, 0 op_sel:[0,1,0] op_sel_hi:[0,1,0]
	v_mul_f16_sdwa v6, v8, v6 dst_sel:DWORD dst_unused:UNUSED_PAD src0_sel:WORD_1 src1_sel:DWORD
	v_cvt_f32_f16_e32 v6, v6
	v_div_scale_f32 v8, s[6:7], v17, v17, v6
	v_rcp_f32_e32 v18, v8
	v_div_scale_f32 v19, vcc, v6, v17, v6
	v_fma_f32 v20, -v8, v18, 1.0
	v_fmac_f32_e32 v18, v20, v18
	v_mul_f32_e32 v20, v19, v18
	v_fma_f32 v21, -v8, v20, v19
	v_fmac_f32_e32 v20, v21, v18
	v_fma_f32 v8, -v8, v20, v19
	v_div_fmas_f32 v8, v8, v18, v20
	v_div_fixup_f32 v6, v8, v17, v6
	v_min_f32_e32 v6, 0x43e00000, v6
	v_max_f32_e32 v6, 0xc3e00000, v6
	v_and_b32_e32 v8, 0x7fffffff, v6
	v_cmp_gt_u32_e32 vcc, s22, v8
	s_and_saveexec_b64 s[6:7], vcc
	s_cbranch_execz .LBB48_127
; %bb.122:                              ;   in Loop: Header=BB48_65 Depth=1
	v_cmp_lt_u32_e32 vcc, s23, v8
                                        ; implicit-def: $vgpr3
	s_and_saveexec_b64 s[8:9], vcc
	s_xor_b64 s[8:9], exec, s[8:9]
; %bb.123:                              ;   in Loop: Header=BB48_65 Depth=1
	v_bfe_u32 v3, v6, 20, 1
	v_add3_u32 v3, v6, v3, s24
	v_lshrrev_b32_e32 v3, 20, v3
; %bb.124:                              ;   in Loop: Header=BB48_65 Depth=1
	s_andn2_saveexec_b64 s[8:9], s[8:9]
; %bb.125:                              ;   in Loop: Header=BB48_65 Depth=1
	v_add_f32_e64 v3, |v6|, s25
; %bb.126:                              ;   in Loop: Header=BB48_65 Depth=1
	s_or_b64 exec, exec, s[8:9]
.LBB48_127:                             ;   in Loop: Header=BB48_65 Depth=1
	s_or_b64 exec, exec, s[6:7]
	v_fma_mixlo_f16 v8, v36, v7, 0 op_sel_hi:[0,1,0]
	v_mul_f16_e32 v8, v9, v8
	v_cvt_f32_f16_e32 v18, v8
	v_mov_b32_e32 v8, 0x7f
	v_div_scale_f32 v19, s[6:7], v17, v17, v18
	v_rcp_f32_e32 v20, v19
	v_div_scale_f32 v21, vcc, v18, v17, v18
	v_fma_f32 v22, -v19, v20, 1.0
	v_fmac_f32_e32 v20, v22, v20
	v_mul_f32_e32 v22, v21, v20
	v_fma_f32 v23, -v19, v22, v21
	v_fmac_f32_e32 v22, v23, v20
	v_fma_f32 v19, -v19, v22, v21
	v_div_fmas_f32 v19, v19, v20, v22
	v_div_fixup_f32 v18, v19, v17, v18
	v_min_f32_e32 v18, 0x43e00000, v18
	v_max_f32_e32 v19, 0xc3e00000, v18
	v_and_b32_e32 v20, 0x7fffffff, v19
	v_cmp_gt_u32_e32 vcc, s22, v20
	v_mov_b32_e32 v18, 0x7f
	s_and_saveexec_b64 s[6:7], vcc
	s_cbranch_execz .LBB48_133
; %bb.128:                              ;   in Loop: Header=BB48_65 Depth=1
	v_cmp_lt_u32_e32 vcc, s23, v20
                                        ; implicit-def: $vgpr18
	s_and_saveexec_b64 s[8:9], vcc
	s_xor_b64 s[8:9], exec, s[8:9]
; %bb.129:                              ;   in Loop: Header=BB48_65 Depth=1
	v_bfe_u32 v18, v19, 20, 1
	v_add3_u32 v18, v19, v18, s24
	v_lshrrev_b32_e32 v18, 20, v18
; %bb.130:                              ;   in Loop: Header=BB48_65 Depth=1
	s_andn2_saveexec_b64 s[8:9], s[8:9]
; %bb.131:                              ;   in Loop: Header=BB48_65 Depth=1
	v_add_f32_e64 v18, |v19|, s25
; %bb.132:                              ;   in Loop: Header=BB48_65 Depth=1
	s_or_b64 exec, exec, s[8:9]
.LBB48_133:                             ;   in Loop: Header=BB48_65 Depth=1
	s_or_b64 exec, exec, s[6:7]
	v_fma_mixlo_f16 v7, v36, v7, 0 op_sel:[0,1,0] op_sel_hi:[0,1,0]
	v_mul_f16_sdwa v7, v9, v7 dst_sel:DWORD dst_unused:UNUSED_PAD src0_sel:WORD_1 src1_sel:DWORD
	v_cvt_f32_f16_e32 v7, v7
	v_div_scale_f32 v9, s[6:7], v17, v17, v7
	v_rcp_f32_e32 v20, v9
	v_div_scale_f32 v21, vcc, v7, v17, v7
	v_fma_f32 v22, -v9, v20, 1.0
	v_fmac_f32_e32 v20, v22, v20
	v_mul_f32_e32 v22, v21, v20
	v_fma_f32 v23, -v9, v22, v21
	v_fmac_f32_e32 v22, v23, v20
	v_fma_f32 v9, -v9, v22, v21
	v_div_fmas_f32 v9, v9, v20, v22
	v_div_fixup_f32 v7, v9, v17, v7
	v_min_f32_e32 v7, 0x43e00000, v7
	v_max_f32_e32 v7, 0xc3e00000, v7
	v_and_b32_e32 v9, 0x7fffffff, v7
	v_cmp_gt_u32_e32 vcc, s22, v9
	s_and_saveexec_b64 s[6:7], vcc
	s_cbranch_execz .LBB48_139
; %bb.134:                              ;   in Loop: Header=BB48_65 Depth=1
	v_cmp_lt_u32_e32 vcc, s23, v9
                                        ; implicit-def: $vgpr8
	s_and_saveexec_b64 s[8:9], vcc
	s_xor_b64 s[8:9], exec, s[8:9]
; %bb.135:                              ;   in Loop: Header=BB48_65 Depth=1
	v_bfe_u32 v8, v7, 20, 1
	v_add3_u32 v8, v7, v8, s24
	v_lshrrev_b32_e32 v8, 20, v8
; %bb.136:                              ;   in Loop: Header=BB48_65 Depth=1
	s_andn2_saveexec_b64 s[8:9], s[8:9]
; %bb.137:                              ;   in Loop: Header=BB48_65 Depth=1
	v_add_f32_e64 v8, |v7|, s25
; %bb.138:                              ;   in Loop: Header=BB48_65 Depth=1
	s_or_b64 exec, exec, s[8:9]
.LBB48_139:                             ;   in Loop: Header=BB48_65 Depth=1
	s_or_b64 exec, exec, s[6:7]
	v_and_b32_sdwa v9, v19, s26 dst_sel:DWORD dst_unused:UNUSED_PAD src0_sel:BYTE_3 src1_sel:DWORD
	v_and_b32_sdwa v6, v6, s26 dst_sel:DWORD dst_unused:UNUSED_PAD src0_sel:BYTE_3 src1_sel:DWORD
	v_lshlrev_b64 v[4:5], 2, v[4:5]
	v_and_or_b32 v9, v18, s27, v9
	v_lshrrev_b32_e32 v16, 24, v16
	v_mov_b32_e32 v17, s17
	v_add_co_u32_e32 v4, vcc, s13, v4
	v_lshlrev_b32_e32 v8, 24, v8
	v_and_b32_e32 v7, 0x80000000, v7
	v_lshlrev_b32_e32 v9, 16, v9
	v_and_or_b32 v3, v3, s27, v6
	v_and_b32_e32 v6, 0xff, v15
	v_addc_co_u32_e32 v5, vcc, v17, v5, vcc
	v_or3_b32 v7, v7, v8, v9
	v_lshlrev_b32_e32 v3, 8, v3
	v_and_or_b32 v6, v16, s26, v6
	v_add_u32_e32 v0, s20, v0
	v_or3_b32 v3, v7, v3, v6
	v_cmp_gt_u32_e32 vcc, s12, v0
	s_mov_b64 s[8:9], -1
	global_store_dword v[4:5], v3, off
	s_and_saveexec_b64 s[6:7], vcc
	s_cbranch_execz .LBB48_62
; %bb.140:                              ;   in Loop: Header=BB48_65 Depth=1
	v_lshlrev_b64 v[6:7], 3, v[0:1]
	v_mov_b32_e32 v3, s44
	v_add_co_u32_e32 v4, vcc, s33, v6
	v_addc_co_u32_e32 v5, vcc, v3, v7, vcc
	v_mov_b32_e32 v3, s15
	v_add_co_u32_e32 v6, vcc, s14, v6
	v_addc_co_u32_e32 v7, vcc, v3, v7, vcc
	v_bfe_u32 v3, v0, 5, 25
	v_mad_u64_u32 v[8:9], s[8:9], v10, v3, 0
	global_load_dwordx2 v[4:5], v[4:5], off
	v_mov_b32_e32 v16, v9
	global_load_dwordx2 v[6:7], v[6:7], off
	v_mad_u64_u32 v[16:17], s[8:9], v11, v3, v[16:17]
	v_mov_b32_e32 v9, v16
	v_lshlrev_b64 v[8:9], 2, v[8:9]
	v_mov_b32_e32 v3, s19
	v_add_co_u32_e32 v8, vcc, s18, v8
	v_addc_co_u32_e32 v9, vcc, v3, v9, vcc
	global_load_dword v15, v[8:9], off
	s_waitcnt vmcnt(2)
	v_fma_mixlo_f16 v3, v36, v4, 0 op_sel_hi:[0,1,0]
	s_waitcnt vmcnt(1)
	v_mul_f16_e32 v3, v6, v3
	v_cvt_f32_f16_e32 v8, v3
	v_mov_b32_e32 v3, 0x7f
	s_waitcnt vmcnt(0)
	v_div_scale_f32 v9, s[8:9], v15, v15, v8
	v_rcp_f32_e32 v16, v9
	v_div_scale_f32 v17, vcc, v8, v15, v8
	v_fma_f32 v18, -v9, v16, 1.0
	v_fmac_f32_e32 v16, v18, v16
	v_mul_f32_e32 v18, v17, v16
	v_fma_f32 v19, -v9, v18, v17
	v_fmac_f32_e32 v18, v19, v16
	v_fma_f32 v9, -v9, v18, v17
	v_div_fmas_f32 v9, v9, v16, v18
	v_div_fixup_f32 v8, v9, v15, v8
	v_min_f32_e32 v8, 0x43e00000, v8
	v_max_f32_e32 v9, 0xc3e00000, v8
	v_and_b32_e32 v16, 0x7fffffff, v9
	v_cmp_gt_u32_e32 vcc, s22, v16
	v_mov_b32_e32 v8, 0x7f
	s_and_saveexec_b64 s[8:9], vcc
	s_cbranch_execz .LBB48_146
; %bb.141:                              ;   in Loop: Header=BB48_65 Depth=1
	v_cmp_lt_u32_e32 vcc, s23, v16
                                        ; implicit-def: $vgpr8
	s_and_saveexec_b64 s[10:11], vcc
	s_xor_b64 s[10:11], exec, s[10:11]
; %bb.142:                              ;   in Loop: Header=BB48_65 Depth=1
	v_bfe_u32 v8, v9, 20, 1
	v_add3_u32 v8, v9, v8, s24
	v_lshrrev_b32_e32 v8, 20, v8
; %bb.143:                              ;   in Loop: Header=BB48_65 Depth=1
	s_andn2_saveexec_b64 s[10:11], s[10:11]
; %bb.144:                              ;   in Loop: Header=BB48_65 Depth=1
	v_add_f32_e64 v8, |v9|, s25
; %bb.145:                              ;   in Loop: Header=BB48_65 Depth=1
	s_or_b64 exec, exec, s[10:11]
.LBB48_146:                             ;   in Loop: Header=BB48_65 Depth=1
	s_or_b64 exec, exec, s[8:9]
	v_fma_mixlo_f16 v4, v36, v4, 0 op_sel:[0,1,0] op_sel_hi:[0,1,0]
	v_mul_f16_sdwa v4, v6, v4 dst_sel:DWORD dst_unused:UNUSED_PAD src0_sel:WORD_1 src1_sel:DWORD
	v_cvt_f32_f16_e32 v4, v4
	v_div_scale_f32 v6, s[8:9], v15, v15, v4
	v_rcp_f32_e32 v16, v6
	v_div_scale_f32 v17, vcc, v4, v15, v4
	v_fma_f32 v18, -v6, v16, 1.0
	v_fmac_f32_e32 v16, v18, v16
	v_mul_f32_e32 v18, v17, v16
	v_fma_f32 v19, -v6, v18, v17
	v_fmac_f32_e32 v18, v19, v16
	v_fma_f32 v6, -v6, v18, v17
	v_div_fmas_f32 v6, v6, v16, v18
	v_div_fixup_f32 v4, v6, v15, v4
	v_min_f32_e32 v4, 0x43e00000, v4
	v_max_f32_e32 v4, 0xc3e00000, v4
	v_and_b32_e32 v6, 0x7fffffff, v4
	v_cmp_gt_u32_e32 vcc, s22, v6
	s_and_saveexec_b64 s[8:9], vcc
	s_cbranch_execz .LBB48_152
; %bb.147:                              ;   in Loop: Header=BB48_65 Depth=1
	v_cmp_lt_u32_e32 vcc, s23, v6
                                        ; implicit-def: $vgpr3
	s_and_saveexec_b64 s[10:11], vcc
	s_xor_b64 s[10:11], exec, s[10:11]
; %bb.148:                              ;   in Loop: Header=BB48_65 Depth=1
	v_bfe_u32 v3, v4, 20, 1
	v_add3_u32 v3, v4, v3, s24
	v_lshrrev_b32_e32 v3, 20, v3
; %bb.149:                              ;   in Loop: Header=BB48_65 Depth=1
	s_andn2_saveexec_b64 s[10:11], s[10:11]
; %bb.150:                              ;   in Loop: Header=BB48_65 Depth=1
	v_add_f32_e64 v3, |v4|, s25
; %bb.151:                              ;   in Loop: Header=BB48_65 Depth=1
	s_or_b64 exec, exec, s[10:11]
.LBB48_152:                             ;   in Loop: Header=BB48_65 Depth=1
	s_or_b64 exec, exec, s[8:9]
	v_fma_mixlo_f16 v6, v36, v5, 0 op_sel_hi:[0,1,0]
	v_mul_f16_e32 v6, v7, v6
	v_cvt_f32_f16_e32 v16, v6
	v_mov_b32_e32 v6, 0x7f
	v_div_scale_f32 v17, s[8:9], v15, v15, v16
	v_rcp_f32_e32 v18, v17
	v_div_scale_f32 v19, vcc, v16, v15, v16
	v_fma_f32 v20, -v17, v18, 1.0
	v_fmac_f32_e32 v18, v20, v18
	v_mul_f32_e32 v20, v19, v18
	v_fma_f32 v21, -v17, v20, v19
	v_fmac_f32_e32 v20, v21, v18
	v_fma_f32 v17, -v17, v20, v19
	v_div_fmas_f32 v17, v17, v18, v20
	v_div_fixup_f32 v16, v17, v15, v16
	v_min_f32_e32 v16, 0x43e00000, v16
	v_max_f32_e32 v17, 0xc3e00000, v16
	v_and_b32_e32 v18, 0x7fffffff, v17
	v_cmp_gt_u32_e32 vcc, s22, v18
	v_mov_b32_e32 v16, 0x7f
	s_and_saveexec_b64 s[8:9], vcc
	s_cbranch_execz .LBB48_158
; %bb.153:                              ;   in Loop: Header=BB48_65 Depth=1
	v_cmp_lt_u32_e32 vcc, s23, v18
                                        ; implicit-def: $vgpr16
	s_and_saveexec_b64 s[10:11], vcc
	s_xor_b64 s[10:11], exec, s[10:11]
; %bb.154:                              ;   in Loop: Header=BB48_65 Depth=1
	v_bfe_u32 v16, v17, 20, 1
	v_add3_u32 v16, v17, v16, s24
	v_lshrrev_b32_e32 v16, 20, v16
; %bb.155:                              ;   in Loop: Header=BB48_65 Depth=1
	s_andn2_saveexec_b64 s[10:11], s[10:11]
; %bb.156:                              ;   in Loop: Header=BB48_65 Depth=1
	v_add_f32_e64 v16, |v17|, s25
; %bb.157:                              ;   in Loop: Header=BB48_65 Depth=1
	s_or_b64 exec, exec, s[10:11]
.LBB48_158:                             ;   in Loop: Header=BB48_65 Depth=1
	s_or_b64 exec, exec, s[8:9]
	v_fma_mixlo_f16 v5, v36, v5, 0 op_sel:[0,1,0] op_sel_hi:[0,1,0]
	v_mul_f16_sdwa v5, v7, v5 dst_sel:DWORD dst_unused:UNUSED_PAD src0_sel:WORD_1 src1_sel:DWORD
	v_cvt_f32_f16_e32 v5, v5
	v_div_scale_f32 v7, s[8:9], v15, v15, v5
	v_rcp_f32_e32 v18, v7
	v_div_scale_f32 v19, vcc, v5, v15, v5
	v_fma_f32 v20, -v7, v18, 1.0
	v_fmac_f32_e32 v18, v20, v18
	v_mul_f32_e32 v20, v19, v18
	v_fma_f32 v21, -v7, v20, v19
	v_fmac_f32_e32 v20, v21, v18
	v_fma_f32 v7, -v7, v20, v19
	v_div_fmas_f32 v7, v7, v18, v20
	v_div_fixup_f32 v5, v7, v15, v5
	v_min_f32_e32 v5, 0x43e00000, v5
	v_max_f32_e32 v5, 0xc3e00000, v5
	v_and_b32_e32 v7, 0x7fffffff, v5
	v_cmp_gt_u32_e32 vcc, s22, v7
	s_and_saveexec_b64 s[8:9], vcc
	s_cbranch_execz .LBB48_61
; %bb.159:                              ;   in Loop: Header=BB48_65 Depth=1
	v_cmp_lt_u32_e32 vcc, s23, v7
                                        ; implicit-def: $vgpr6
	s_and_saveexec_b64 s[10:11], vcc
	s_xor_b64 s[10:11], exec, s[10:11]
; %bb.160:                              ;   in Loop: Header=BB48_65 Depth=1
	v_bfe_u32 v6, v5, 20, 1
	v_add3_u32 v6, v5, v6, s24
	v_lshrrev_b32_e32 v6, 20, v6
; %bb.161:                              ;   in Loop: Header=BB48_65 Depth=1
	s_andn2_saveexec_b64 s[10:11], s[10:11]
	s_cbranch_execz .LBB48_60
; %bb.162:                              ;   in Loop: Header=BB48_65 Depth=1
	v_add_f32_e64 v6, |v5|, s25
	s_branch .LBB48_60
.LBB48_163:
	s_endpgm
.LBB48_164:
                                        ; implicit-def: $vgpr4_vgpr5
	s_andn2_b64 vcc, exec, s[26:27]
	s_cbranch_vccz .LBB48_53
	s_branch .LBB48_54
.LBB48_165:
                                        ; implicit-def: $vgpr2_vgpr3
	s_andn2_b64 vcc, exec, s[22:23]
	s_cbranch_vccz .LBB48_58
	s_branch .LBB48_59
	.section	.rodata,"a",@progbits
	.p2align	6, 0x0
	.amdhsa_kernel _ZN4vllm31rms_norm_per_block_quant_kernelIN3c104HalfENS1_13Float8_e4m3fnELb0ELb1ELi128EEEvPT0_PfPKT_S9_PKffiiPS7_l
		.amdhsa_group_segment_fixed_size 4164
		.amdhsa_private_segment_fixed_size 0
		.amdhsa_kernarg_size 328
		.amdhsa_user_sgpr_count 6
		.amdhsa_user_sgpr_private_segment_buffer 1
		.amdhsa_user_sgpr_dispatch_ptr 0
		.amdhsa_user_sgpr_queue_ptr 0
		.amdhsa_user_sgpr_kernarg_segment_ptr 1
		.amdhsa_user_sgpr_dispatch_id 0
		.amdhsa_user_sgpr_flat_scratch_init 0
		.amdhsa_user_sgpr_kernarg_preload_length 0
		.amdhsa_user_sgpr_kernarg_preload_offset 0
		.amdhsa_user_sgpr_private_segment_size 0
		.amdhsa_uses_dynamic_stack 0
		.amdhsa_system_sgpr_private_segment_wavefront_offset 0
		.amdhsa_system_sgpr_workgroup_id_x 1
		.amdhsa_system_sgpr_workgroup_id_y 0
		.amdhsa_system_sgpr_workgroup_id_z 0
		.amdhsa_system_sgpr_workgroup_info 0
		.amdhsa_system_vgpr_workitem_id 0
		.amdhsa_next_free_vgpr 40
		.amdhsa_next_free_sgpr 46
		.amdhsa_accum_offset 40
		.amdhsa_reserve_vcc 1
		.amdhsa_reserve_flat_scratch 0
		.amdhsa_float_round_mode_32 0
		.amdhsa_float_round_mode_16_64 0
		.amdhsa_float_denorm_mode_32 3
		.amdhsa_float_denorm_mode_16_64 3
		.amdhsa_dx10_clamp 1
		.amdhsa_ieee_mode 1
		.amdhsa_fp16_overflow 0
		.amdhsa_tg_split 0
		.amdhsa_exception_fp_ieee_invalid_op 0
		.amdhsa_exception_fp_denorm_src 0
		.amdhsa_exception_fp_ieee_div_zero 0
		.amdhsa_exception_fp_ieee_overflow 0
		.amdhsa_exception_fp_ieee_underflow 0
		.amdhsa_exception_fp_ieee_inexact 0
		.amdhsa_exception_int_div_zero 0
	.end_amdhsa_kernel
	.section	.text._ZN4vllm31rms_norm_per_block_quant_kernelIN3c104HalfENS1_13Float8_e4m3fnELb0ELb1ELi128EEEvPT0_PfPKT_S9_PKffiiPS7_l,"axG",@progbits,_ZN4vllm31rms_norm_per_block_quant_kernelIN3c104HalfENS1_13Float8_e4m3fnELb0ELb1ELi128EEEvPT0_PfPKT_S9_PKffiiPS7_l,comdat
.Lfunc_end48:
	.size	_ZN4vllm31rms_norm_per_block_quant_kernelIN3c104HalfENS1_13Float8_e4m3fnELb0ELb1ELi128EEEvPT0_PfPKT_S9_PKffiiPS7_l, .Lfunc_end48-_ZN4vllm31rms_norm_per_block_quant_kernelIN3c104HalfENS1_13Float8_e4m3fnELb0ELb1ELi128EEEvPT0_PfPKT_S9_PKffiiPS7_l
                                        ; -- End function
	.section	.AMDGPU.csdata,"",@progbits
; Kernel info:
; codeLenInByte = 9656
; NumSgprs: 50
; NumVgprs: 40
; NumAgprs: 0
; TotalNumVgprs: 40
; ScratchSize: 0
; MemoryBound: 0
; FloatMode: 240
; IeeeMode: 1
; LDSByteSize: 4164 bytes/workgroup (compile time only)
; SGPRBlocks: 6
; VGPRBlocks: 4
; NumSGPRsForWavesPerEU: 50
; NumVGPRsForWavesPerEU: 40
; AccumOffset: 40
; Occupancy: 8
; WaveLimiterHint : 0
; COMPUTE_PGM_RSRC2:SCRATCH_EN: 0
; COMPUTE_PGM_RSRC2:USER_SGPR: 6
; COMPUTE_PGM_RSRC2:TRAP_HANDLER: 0
; COMPUTE_PGM_RSRC2:TGID_X_EN: 1
; COMPUTE_PGM_RSRC2:TGID_Y_EN: 0
; COMPUTE_PGM_RSRC2:TGID_Z_EN: 0
; COMPUTE_PGM_RSRC2:TIDIG_COMP_CNT: 0
; COMPUTE_PGM_RSRC3_GFX90A:ACCUM_OFFSET: 9
; COMPUTE_PGM_RSRC3_GFX90A:TG_SPLIT: 0
	.section	.text._ZN4vllm31rms_norm_per_block_quant_kernelIN3c104HalfENS1_15Float8_e4m3fnuzELb0ELb1ELi128EEEvPT0_PfPKT_S9_PKffiiPS7_l,"axG",@progbits,_ZN4vllm31rms_norm_per_block_quant_kernelIN3c104HalfENS1_15Float8_e4m3fnuzELb0ELb1ELi128EEEvPT0_PfPKT_S9_PKffiiPS7_l,comdat
	.protected	_ZN4vllm31rms_norm_per_block_quant_kernelIN3c104HalfENS1_15Float8_e4m3fnuzELb0ELb1ELi128EEEvPT0_PfPKT_S9_PKffiiPS7_l ; -- Begin function _ZN4vllm31rms_norm_per_block_quant_kernelIN3c104HalfENS1_15Float8_e4m3fnuzELb0ELb1ELi128EEEvPT0_PfPKT_S9_PKffiiPS7_l
	.globl	_ZN4vllm31rms_norm_per_block_quant_kernelIN3c104HalfENS1_15Float8_e4m3fnuzELb0ELb1ELi128EEEvPT0_PfPKT_S9_PKffiiPS7_l
	.p2align	8
	.type	_ZN4vllm31rms_norm_per_block_quant_kernelIN3c104HalfENS1_15Float8_e4m3fnuzELb0ELb1ELi128EEEvPT0_PfPKT_S9_PKffiiPS7_l,@function
_ZN4vllm31rms_norm_per_block_quant_kernelIN3c104HalfENS1_15Float8_e4m3fnuzELb0ELb1ELi128EEEvPT0_PfPKT_S9_PKffiiPS7_l: ; @_ZN4vllm31rms_norm_per_block_quant_kernelIN3c104HalfENS1_15Float8_e4m3fnuzELb0ELb1ELi128EEEvPT0_PfPKT_S9_PKffiiPS7_l
; %bb.0:
	s_load_dwordx4 s[16:19], s[4:5], 0x28
	s_load_dwordx8 s[8:15], s[4:5], 0x0
	s_load_dword s46, s[4:5], 0x48
	s_mov_b32 s7, 0
	v_mov_b32_e32 v1, 0
	s_waitcnt lgkmcnt(0)
	s_ashr_i32 s0, s18, 31
	s_mul_hi_u32 s1, s18, s6
	s_mul_i32 s0, s0, s6
	s_add_i32 s1, s1, s0
	s_mul_i32 s0, s18, s6
	s_lshl_b64 s[0:1], s[0:1], 1
	s_add_u32 s33, s12, s0
	s_addc_u32 s44, s13, s1
	s_ashr_i32 s12, s17, 2
	s_add_u32 s18, s4, 0x48
	s_mov_b32 s20, s17
	v_cmp_gt_u32_e64 s[0:1], s12, v0
	s_addc_u32 s19, s5, 0
	s_and_saveexec_b64 s[2:3], s[0:1]
	s_cbranch_execz .LBB49_10
; %bb.1:
	s_cmp_lt_u32 s6, s46
	s_cselect_b32 s13, 12, 18
	s_add_u32 s22, s18, s13
	s_addc_u32 s23, s19, 0
	v_mov_b32_e32 v3, 0
	global_load_ushort v8, v3, s[22:23]
	s_mov_b64 s[22:23], 0
	v_mov_b32_e32 v9, s44
	v_mov_b32_e32 v2, v0
                                        ; implicit-def: $sgpr24_sgpr25
	s_waitcnt vmcnt(0)
	v_add_u32_e32 v1, v8, v8
	v_mul_lo_u32 v10, v8, 3
	v_lshlrev_b32_e32 v11, 1, v8
	v_add_u32_e32 v12, v1, v8
	v_mov_b32_e32 v1, v3
	s_branch .LBB49_5
.LBB49_2:                               ;   in Loop: Header=BB49_5 Depth=1
	s_or_b64 exec, exec, s[30:31]
	s_orn2_b64 s[30:31], s[34:35], exec
.LBB49_3:                               ;   in Loop: Header=BB49_5 Depth=1
	s_or_b64 exec, exec, s[28:29]
	s_andn2_b64 s[24:25], s[24:25], exec
	s_and_b64 s[28:29], s[30:31], exec
	s_or_b64 s[24:25], s[24:25], s[28:29]
.LBB49_4:                               ;   in Loop: Header=BB49_5 Depth=1
	s_or_b64 exec, exec, s[26:27]
	s_and_b64 s[26:27], exec, s[24:25]
	s_or_b64 s[22:23], s[26:27], s[22:23]
	s_andn2_b64 exec, exec, s[22:23]
	s_cbranch_execz .LBB49_9
.LBB49_5:                               ; =>This Inner Loop Header: Depth=1
	v_lshlrev_b64 v[4:5], 3, v[2:3]
	v_add_co_u32_e32 v4, vcc, s33, v4
	v_addc_co_u32_e32 v5, vcc, v9, v5, vcc
	global_load_dwordx2 v[6:7], v[4:5], off
	v_add_u32_e32 v4, v2, v8
	v_cmp_gt_u32_e32 vcc, s12, v4
	s_or_b64 s[24:25], s[24:25], exec
	s_waitcnt vmcnt(0)
	v_fma_mix_f32 v1, v6, v6, v1 op_sel_hi:[1,1,0]
	v_fma_mix_f32 v1, v6, v6, v1 op_sel:[1,1,0] op_sel_hi:[1,1,0]
	v_fma_mix_f32 v1, v7, v7, v1 op_sel_hi:[1,1,0]
	v_fma_mix_f32 v1, v7, v7, v1 op_sel:[1,1,0] op_sel_hi:[1,1,0]
	s_and_saveexec_b64 s[26:27], vcc
	s_cbranch_execz .LBB49_4
; %bb.6:                                ;   in Loop: Header=BB49_5 Depth=1
	v_mov_b32_e32 v5, v3
	v_lshlrev_b64 v[6:7], 3, v[4:5]
	v_add_co_u32_e32 v6, vcc, s33, v6
	v_addc_co_u32_e32 v7, vcc, v9, v7, vcc
	global_load_dwordx2 v[14:15], v[6:7], off
	v_add_u32_e32 v6, v11, v2
	v_cmp_gt_u32_e32 vcc, s12, v6
	s_mov_b64 s[30:31], -1
	s_waitcnt vmcnt(0)
	v_fma_mix_f32 v1, v14, v14, v1 op_sel_hi:[1,1,0]
	v_fma_mix_f32 v1, v14, v14, v1 op_sel:[1,1,0] op_sel_hi:[1,1,0]
	v_fma_mix_f32 v1, v15, v15, v1 op_sel_hi:[1,1,0]
	v_fma_mix_f32 v1, v15, v15, v1 op_sel:[1,1,0] op_sel_hi:[1,1,0]
	s_and_saveexec_b64 s[28:29], vcc
	s_cbranch_execz .LBB49_3
; %bb.7:                                ;   in Loop: Header=BB49_5 Depth=1
	v_mov_b32_e32 v7, v3
	v_lshlrev_b64 v[6:7], 3, v[6:7]
	v_add_co_u32_e32 v6, vcc, s33, v6
	v_addc_co_u32_e32 v7, vcc, v9, v7, vcc
	global_load_dwordx2 v[6:7], v[6:7], off
	v_add_u32_e32 v2, v10, v2
	v_cmp_gt_u32_e32 vcc, s12, v2
	s_mov_b64 s[34:35], -1
	s_waitcnt vmcnt(0)
	v_fma_mix_f32 v1, v6, v6, v1 op_sel_hi:[1,1,0]
	v_fma_mix_f32 v1, v6, v6, v1 op_sel:[1,1,0] op_sel_hi:[1,1,0]
	v_fma_mix_f32 v1, v7, v7, v1 op_sel_hi:[1,1,0]
	v_fma_mix_f32 v1, v7, v7, v1 op_sel:[1,1,0] op_sel_hi:[1,1,0]
	s_and_saveexec_b64 s[30:31], vcc
	s_xor_b64 s[30:31], exec, s[30:31]
	s_cbranch_execz .LBB49_2
; %bb.8:                                ;   in Loop: Header=BB49_5 Depth=1
	v_lshlrev_b64 v[6:7], 3, v[2:3]
	v_add_co_u32_e32 v6, vcc, s33, v6
	v_addc_co_u32_e32 v7, vcc, v9, v7, vcc
	global_load_dwordx2 v[6:7], v[6:7], off
	v_add_u32_e32 v2, v12, v4
	v_cmp_le_u32_e32 vcc, s12, v2
	s_orn2_b64 s[34:35], vcc, exec
	s_waitcnt vmcnt(0)
	v_fma_mix_f32 v1, v6, v6, v1 op_sel_hi:[1,1,0]
	v_fma_mix_f32 v1, v6, v6, v1 op_sel:[1,1,0] op_sel_hi:[1,1,0]
	v_fma_mix_f32 v1, v7, v7, v1 op_sel_hi:[1,1,0]
	v_fma_mix_f32 v1, v7, v7, v1 op_sel:[1,1,0] op_sel_hi:[1,1,0]
	s_branch .LBB49_2
.LBB49_9:
	s_or_b64 exec, exec, s[22:23]
.LBB49_10:
	s_or_b64 exec, exec, s[2:3]
	v_mbcnt_lo_u32_b32 v2, -1, 0
	v_mbcnt_hi_u32_b32 v2, -1, v2
	v_and_b32_e32 v3, 63, v2
	v_cmp_ne_u32_e32 vcc, 63, v3
	s_load_dword s2, s[18:19], 0xc
	v_addc_co_u32_e32 v4, vcc, 0, v2, vcc
	v_lshlrev_b32_e32 v4, 2, v4
	ds_bpermute_b32 v4, v4, v1
	s_waitcnt lgkmcnt(0)
	s_and_b32 s13, s2, 0xffff
	v_and_b32_e32 v5, 0x3c0, v0
	v_sub_u32_e64 v5, s13, v5 clamp
	v_add_u32_e32 v6, 1, v2
	v_add_f32_e32 v4, v1, v4
	v_cmp_lt_u32_e32 vcc, v6, v5
	v_cndmask_b32_e32 v1, v1, v4, vcc
	v_cmp_gt_u32_e32 vcc, 62, v3
	v_cndmask_b32_e64 v4, 0, 1, vcc
	v_lshlrev_b32_e32 v4, 1, v4
	v_add_lshl_u32 v4, v4, v2, 2
	ds_bpermute_b32 v4, v4, v1
	v_add_u32_e32 v6, 2, v2
	v_cmp_lt_u32_e32 vcc, v6, v5
	v_add_u32_e32 v6, 4, v2
	s_waitcnt lgkmcnt(0)
	v_add_f32_e32 v4, v1, v4
	v_cndmask_b32_e32 v1, v1, v4, vcc
	v_cmp_gt_u32_e32 vcc, 60, v3
	v_cndmask_b32_e64 v4, 0, 1, vcc
	v_lshlrev_b32_e32 v4, 2, v4
	v_add_lshl_u32 v4, v4, v2, 2
	ds_bpermute_b32 v4, v4, v1
	v_cmp_lt_u32_e32 vcc, v6, v5
	v_add_u32_e32 v6, 8, v2
	s_waitcnt lgkmcnt(0)
	v_add_f32_e32 v4, v1, v4
	v_cndmask_b32_e32 v1, v1, v4, vcc
	v_cmp_gt_u32_e32 vcc, 56, v3
	v_cndmask_b32_e64 v4, 0, 1, vcc
	v_lshlrev_b32_e32 v4, 3, v4
	v_add_lshl_u32 v4, v4, v2, 2
	ds_bpermute_b32 v4, v4, v1
	;; [unrolled: 10-line block ×3, first 2 shown]
	v_cmp_lt_u32_e32 vcc, v6, v5
	s_waitcnt lgkmcnt(0)
	v_add_f32_e32 v4, v1, v4
	v_cndmask_b32_e32 v1, v1, v4, vcc
	v_cmp_gt_u32_e32 vcc, 32, v3
	v_cndmask_b32_e64 v3, 0, 1, vcc
	v_lshlrev_b32_e32 v3, 5, v3
	v_add_lshl_u32 v3, v3, v2, 2
	ds_bpermute_b32 v3, v3, v1
	v_add_u32_e32 v4, 32, v2
	v_cmp_lt_u32_e32 vcc, v4, v5
	s_waitcnt lgkmcnt(0)
	v_add_f32_e32 v3, v1, v3
	v_cndmask_b32_e32 v1, v1, v3, vcc
	v_cmp_eq_u32_e32 vcc, 0, v2
	s_and_saveexec_b64 s[2:3], vcc
	s_cbranch_execz .LBB49_12
; %bb.11:
	v_lshrrev_b32_e32 v3, 4, v0
	v_and_b32_e32 v3, 60, v3
	ds_write_b32 v3, v1 offset:4096
.LBB49_12:
	s_or_b64 exec, exec, s[2:3]
	v_cmp_gt_u32_e32 vcc, 16, v0
	s_waitcnt lgkmcnt(0)
	s_barrier
	s_and_saveexec_b64 s[22:23], vcc
	s_cbranch_execz .LBB49_14
; %bb.13:
	v_lshlrev_b32_e32 v1, 2, v2
	ds_read_b32 v1, v1 offset:4096
	v_and_b32_e32 v3, 15, v2
	v_cmp_ne_u32_e32 vcc, 15, v3
	v_addc_co_u32_e32 v4, vcc, 0, v2, vcc
	v_lshlrev_b32_e32 v4, 2, v4
	s_waitcnt lgkmcnt(0)
	ds_bpermute_b32 v4, v4, v1
	s_add_i32 s13, s13, 63
	s_lshr_b32 s13, s13, 6
	v_add_u32_e32 v5, 1, v3
	v_cmp_gt_u32_e64 s[2:3], 14, v3
	v_cmp_gt_u32_e32 vcc, s13, v5
	v_cndmask_b32_e64 v5, 0, 1, s[2:3]
	s_waitcnt lgkmcnt(0)
	v_add_f32_e32 v4, v1, v4
	v_lshlrev_b32_e32 v5, 1, v5
	v_cndmask_b32_e32 v4, v1, v4, vcc
	v_add_lshl_u32 v5, v5, v2, 2
	ds_bpermute_b32 v5, v5, v4
	v_add_u32_e32 v6, 2, v3
	v_cmp_gt_u32_e64 s[2:3], s13, v6
	v_add_u32_e32 v6, 4, v3
	s_waitcnt lgkmcnt(0)
	v_add_f32_e32 v5, v4, v5
	v_cndmask_b32_e64 v4, v4, v5, s[2:3]
	v_cmp_gt_u32_e64 s[2:3], 12, v3
	v_cndmask_b32_e64 v5, 0, 1, s[2:3]
	v_lshlrev_b32_e32 v5, 2, v5
	v_add_lshl_u32 v5, v5, v2, 2
	ds_bpermute_b32 v5, v5, v4
	v_cmp_gt_u32_e64 s[2:3], s13, v6
	s_waitcnt lgkmcnt(0)
	v_add_f32_e32 v5, v4, v5
	v_cndmask_b32_e64 v4, v4, v5, s[2:3]
	v_cmp_gt_u32_e64 s[2:3], 8, v3
	v_cndmask_b32_e64 v5, 0, 1, s[2:3]
	v_lshlrev_b32_e32 v5, 3, v5
	v_add_lshl_u32 v2, v5, v2, 2
	ds_bpermute_b32 v2, v2, v4
	v_add_u32_e32 v3, 8, v3
	v_cmp_gt_u32_e64 s[2:3], s13, v3
	s_waitcnt lgkmcnt(0)
	v_add_f32_e32 v2, v4, v2
	v_cndmask_b32_e64 v2, v4, v2, s[2:3]
	v_cndmask_b32_e32 v1, v1, v2, vcc
.LBB49_14:
	s_or_b64 exec, exec, s[22:23]
	v_cmp_eq_u32_e32 vcc, 0, v0
	s_and_saveexec_b64 s[2:3], vcc
	s_cbranch_execz .LBB49_16
; %bb.15:
	v_cvt_f32_i32_e32 v2, s17
	s_mov_b32 s13, 0x800000
	v_div_scale_f32 v3, s[22:23], v2, v2, v1
	v_rcp_f32_e32 v4, v3
	v_div_scale_f32 v5, vcc, v1, v2, v1
	v_fma_f32 v6, -v3, v4, 1.0
	v_fmac_f32_e32 v4, v6, v4
	v_mul_f32_e32 v6, v5, v4
	v_fma_f32 v7, -v3, v6, v5
	v_fmac_f32_e32 v6, v7, v4
	v_fma_f32 v3, -v3, v6, v5
	v_div_fmas_f32 v3, v3, v4, v6
	v_div_fixup_f32 v1, v3, v2, v1
	v_add_f32_e32 v1, s16, v1
	v_mul_f32_e32 v2, 0x4b800000, v1
	v_cmp_gt_f32_e32 vcc, s13, v1
	v_cndmask_b32_e32 v1, v1, v2, vcc
	v_rsq_f32_e32 v1, v1
	v_mul_f32_e32 v2, 0x45800000, v1
	v_cndmask_b32_e32 v1, v1, v2, vcc
	v_mov_b32_e32 v2, 0
	ds_write_b32 v2, v1 offset:4160
.LBB49_16:
	s_or_b64 exec, exec, s[2:3]
	s_ashr_i32 s21, s17, 31
	s_lshr_b32 s2, s21, 25
	s_add_i32 s3, s17, s2
	s_ashr_i32 s2, s3, 7
	s_cmp_lt_u32 s6, s46
	s_cselect_b32 s13, 12, 18
	s_add_u32 s18, s18, s13
	v_mov_b32_e32 v5, 0
	s_addc_u32 s19, s19, 0
	s_waitcnt lgkmcnt(0)
	s_barrier
	global_load_ushort v1, v5, s[18:19]
	ds_read_b32 v36, v5 offset:4160
	s_abs_i32 s13, s2
	v_cvt_f32_u32_e32 v2, s13
	s_sub_i32 s16, 0, s13
	s_ashr_i32 s3, s3, 31
	v_mov_b32_e32 v10, s12
	v_rcp_iflag_f32_e32 v2, v2
	v_mul_f32_e32 v2, 0x4f7ffffe, v2
	v_cvt_u32_f32_e32 v2, v2
	v_readfirstlane_b32 s18, v2
	s_mul_i32 s16, s16, s18
	s_mul_hi_u32 s16, s18, s16
	s_add_i32 s18, s18, s16
	s_waitcnt vmcnt(0)
	v_readfirstlane_b32 s45, v1
	s_mul_hi_u32 s16, s45, s18
	s_mul_i32 s18, s16, s13
	s_sub_i32 s18, s45, s18
	s_add_i32 s19, s16, 1
	s_sub_i32 s22, s18, s13
	s_cmp_ge_u32 s18, s13
	s_cselect_b32 s16, s19, s16
	s_cselect_b32 s18, s22, s18
	s_add_i32 s19, s16, 1
	s_cmp_ge_u32 s18, s13
	s_cselect_b32 s13, s19, s16
	s_xor_b32 s13, s13, s3
	s_sub_i32 s18, s13, s3
	s_abs_i32 s3, s18
	v_cvt_f32_u32_e32 v1, s3
	s_sub_i32 s16, 0, s3
	s_ashr_i32 s19, s18, 31
	s_ashr_i32 s13, s12, 31
	v_rcp_iflag_f32_e32 v1, v1
	v_mov_b32_e32 v11, s13
	v_mul_f32_e32 v1, 0x4f7ffffe, v1
	v_cvt_u32_f32_e32 v1, v1
	v_mul_lo_u32 v2, s16, v1
	v_mul_hi_u32 v2, v1, v2
	v_add_u32_e32 v1, v1, v2
	v_mul_hi_u32 v1, v0, v1
	v_mul_lo_u32 v2, v1, s3
	v_sub_u32_e32 v2, v0, v2
	v_add_u32_e32 v3, 1, v1
	v_cmp_le_u32_e32 vcc, s3, v2
	v_cndmask_b32_e32 v1, v1, v3, vcc
	v_subrev_u32_e32 v3, s3, v2
	v_cndmask_b32_e32 v2, v2, v3, vcc
	v_add_u32_e32 v3, 1, v1
	v_cmp_le_u32_e32 vcc, s3, v2
	v_cndmask_b32_e32 v1, v1, v3, vcc
	v_xor_b32_e32 v1, s19, v1
	v_subrev_u32_e32 v2, s19, v1
	v_mul_lo_u32 v1, v2, s18
	v_ashrrev_i32_e32 v3, 31, v2
	v_sub_u32_e32 v4, v0, v1
	v_lshlrev_b64 v[8:9], 5, v[2:3]
	v_add_co_u32_e32 v6, vcc, v8, v4
	v_addc_co_u32_e32 v7, vcc, 0, v9, vcc
	v_add_co_u32_e32 v8, vcc, 32, v8
	v_addc_co_u32_e32 v9, vcc, 0, v9, vcc
	v_cmp_gt_i64_e32 vcc, s[12:13], v[8:9]
	v_cndmask_b32_e32 v8, v10, v8, vcc
	v_cndmask_b32_e32 v9, v11, v9, vcc
	v_ashrrev_i32_e32 v11, 31, v8
	v_mov_b32_e32 v10, v8
	v_cmp_lt_i64_e32 vcc, v[6:7], v[10:11]
	s_and_saveexec_b64 s[22:23], vcc
	s_cbranch_execz .LBB49_26
; %bb.17:
	v_lshlrev_b64 v[12:13], 8, v[2:3]
	v_lshlrev_b64 v[14:15], 3, v[4:5]
	v_add_co_u32_e32 v12, vcc, v12, v14
	v_addc_co_u32_e32 v1, vcc, v13, v15, vcc
	s_lshl_b64 s[24:25], s[18:19], 5
	s_mul_hi_i32 s3, s18, 3
	s_mul_i32 s13, s18, 3
	s_lshl_b64 s[26:27], s[18:19], 1
	s_lshl_b64 s[30:31], s[18:19], 3
	s_mov_b64 s[28:29], 0
	v_mov_b32_e32 v5, 0
	v_mov_b32_e32 v13, s44
	;; [unrolled: 1-line block ×4, first 2 shown]
	v_pk_mov_b32 v[14:15], v[6:7], v[6:7] op_sel:[0,1]
                                        ; implicit-def: $sgpr34_sgpr35
	s_branch .LBB49_21
.LBB49_18:                              ;   in Loop: Header=BB49_21 Depth=1
	s_or_b64 exec, exec, s[40:41]
	s_orn2_b64 s[40:41], s[42:43], exec
.LBB49_19:                              ;   in Loop: Header=BB49_21 Depth=1
	s_or_b64 exec, exec, s[38:39]
	s_andn2_b64 s[34:35], s[34:35], exec
	s_and_b64 s[38:39], s[40:41], exec
	s_or_b64 s[34:35], s[34:35], s[38:39]
.LBB49_20:                              ;   in Loop: Header=BB49_21 Depth=1
	s_or_b64 exec, exec, s[36:37]
	s_and_b64 s[36:37], exec, s[34:35]
	s_or_b64 s[28:29], s[36:37], s[28:29]
	s_andn2_b64 exec, exec, s[28:29]
	s_cbranch_execz .LBB49_25
.LBB49_21:                              ; =>This Inner Loop Header: Depth=1
	v_add_co_u32_e32 v18, vcc, s33, v12
	v_addc_co_u32_e32 v19, vcc, v13, v1, vcc
	v_add_co_u32_e32 v20, vcc, s14, v12
	global_load_dwordx2 v[16:17], v[18:19], off
	v_addc_co_u32_e32 v21, vcc, v22, v1, vcc
	global_load_dwordx2 v[24:25], v[20:21], off
	s_or_b64 s[34:35], s[34:35], exec
	s_waitcnt vmcnt(1) lgkmcnt(0)
	v_fma_mixlo_f16 v26, v36, v16, 0 op_sel_hi:[0,1,0]
	v_fma_mixlo_f16 v16, v36, v16, 0 op_sel:[0,1,0] op_sel_hi:[0,1,0]
	v_fma_mixlo_f16 v27, v36, v17, 0 op_sel_hi:[0,1,0]
	v_fma_mixlo_f16 v17, v36, v17, 0 op_sel:[0,1,0] op_sel_hi:[0,1,0]
	s_waitcnt vmcnt(0)
	v_mul_f16_e32 v26, v24, v26
	v_mul_f16_sdwa v16, v24, v16 dst_sel:DWORD dst_unused:UNUSED_PAD src0_sel:WORD_1 src1_sel:DWORD
	v_mul_f16_e32 v24, v25, v27
	v_mul_f16_sdwa v17, v25, v17 dst_sel:DWORD dst_unused:UNUSED_PAD src0_sel:WORD_1 src1_sel:DWORD
	v_cvt_f32_f16_e64 v25, |v26|
	v_cvt_f32_f16_e64 v26, |v16|
	;; [unrolled: 1-line block ×4, first 2 shown]
	v_add_co_u32_e32 v16, vcc, s18, v14
	v_addc_co_u32_e32 v17, vcc, v15, v23, vcc
	v_max3_f32 v5, v5, v25, v26
	v_cmp_lt_i64_e32 vcc, v[16:17], v[10:11]
	v_max3_f32 v5, v5, v24, v27
	s_and_saveexec_b64 s[36:37], vcc
	s_cbranch_execz .LBB49_20
; %bb.22:                               ;   in Loop: Header=BB49_21 Depth=1
	v_mov_b32_e32 v26, s31
	v_add_co_u32_e32 v18, vcc, s30, v18
	v_addc_co_u32_e32 v19, vcc, v19, v26, vcc
	v_add_co_u32_e32 v20, vcc, s30, v20
	global_load_dwordx2 v[24:25], v[18:19], off
	v_addc_co_u32_e32 v21, vcc, v21, v26, vcc
	global_load_dwordx2 v[26:27], v[20:21], off
	v_mov_b32_e32 v28, s27
	s_mov_b64 s[40:41], -1
	s_waitcnt vmcnt(1)
	v_fma_mixlo_f16 v29, v36, v24, 0 op_sel_hi:[0,1,0]
	v_fma_mixlo_f16 v24, v36, v24, 0 op_sel:[0,1,0] op_sel_hi:[0,1,0]
	v_fma_mixlo_f16 v30, v36, v25, 0 op_sel_hi:[0,1,0]
	v_fma_mixlo_f16 v25, v36, v25, 0 op_sel:[0,1,0] op_sel_hi:[0,1,0]
	s_waitcnt vmcnt(0)
	v_mul_f16_e32 v29, v26, v29
	v_mul_f16_sdwa v24, v26, v24 dst_sel:DWORD dst_unused:UNUSED_PAD src0_sel:WORD_1 src1_sel:DWORD
	v_mul_f16_e32 v26, v27, v30
	v_mul_f16_sdwa v25, v27, v25 dst_sel:DWORD dst_unused:UNUSED_PAD src0_sel:WORD_1 src1_sel:DWORD
	v_cvt_f32_f16_e64 v27, |v29|
	v_cvt_f32_f16_e64 v29, |v24|
	;; [unrolled: 1-line block ×4, first 2 shown]
	v_add_co_u32_e32 v24, vcc, s26, v14
	v_addc_co_u32_e32 v25, vcc, v28, v15, vcc
	v_max3_f32 v5, v5, v27, v29
	v_cmp_lt_i64_e32 vcc, v[24:25], v[10:11]
	v_max3_f32 v5, v5, v26, v30
	s_and_saveexec_b64 s[38:39], vcc
	s_cbranch_execz .LBB49_19
; %bb.23:                               ;   in Loop: Header=BB49_21 Depth=1
	v_mov_b32_e32 v26, s31
	v_add_co_u32_e32 v18, vcc, s30, v18
	v_addc_co_u32_e32 v19, vcc, v19, v26, vcc
	v_add_co_u32_e32 v20, vcc, s30, v20
	global_load_dwordx2 v[24:25], v[18:19], off
	v_addc_co_u32_e32 v21, vcc, v21, v26, vcc
	global_load_dwordx2 v[26:27], v[20:21], off
	v_mov_b32_e32 v28, s3
	v_add_co_u32_e32 v14, vcc, s13, v14
	v_addc_co_u32_e32 v15, vcc, v28, v15, vcc
	v_cmp_lt_i64_e32 vcc, v[14:15], v[10:11]
	s_mov_b64 s[42:43], -1
                                        ; implicit-def: $vgpr14_vgpr15
	s_waitcnt vmcnt(1)
	v_fma_mixlo_f16 v29, v36, v24, 0 op_sel_hi:[0,1,0]
	v_fma_mixlo_f16 v24, v36, v24, 0 op_sel:[0,1,0] op_sel_hi:[0,1,0]
	v_fma_mixlo_f16 v30, v36, v25, 0 op_sel_hi:[0,1,0]
	v_fma_mixlo_f16 v25, v36, v25, 0 op_sel:[0,1,0] op_sel_hi:[0,1,0]
	s_waitcnt vmcnt(0)
	v_mul_f16_e32 v29, v26, v29
	v_mul_f16_sdwa v24, v26, v24 dst_sel:DWORD dst_unused:UNUSED_PAD src0_sel:WORD_1 src1_sel:DWORD
	v_mul_f16_e32 v26, v27, v30
	v_mul_f16_sdwa v25, v27, v25 dst_sel:DWORD dst_unused:UNUSED_PAD src0_sel:WORD_1 src1_sel:DWORD
	v_cvt_f32_f16_e64 v27, |v29|
	v_cvt_f32_f16_e64 v24, |v24|
	;; [unrolled: 1-line block ×4, first 2 shown]
	v_max3_f32 v5, v5, v27, v24
	v_max3_f32 v5, v5, v26, v25
	s_and_saveexec_b64 s[40:41], vcc
	s_xor_b64 s[40:41], exec, s[40:41]
	s_cbranch_execz .LBB49_18
; %bb.24:                               ;   in Loop: Header=BB49_21 Depth=1
	v_mov_b32_e32 v24, s31
	v_add_co_u32_e32 v14, vcc, s30, v18
	v_addc_co_u32_e32 v15, vcc, v19, v24, vcc
	v_add_co_u32_e32 v18, vcc, s30, v20
	global_load_dwordx2 v[14:15], v[14:15], off
	v_addc_co_u32_e32 v19, vcc, v21, v24, vcc
	global_load_dwordx2 v[18:19], v[18:19], off
	s_add_u32 s16, s18, s18
	s_addc_u32 s42, s19, s19
	v_mov_b32_e32 v20, s25
	v_add_co_u32_e32 v12, vcc, s24, v12
	s_add_u32 s16, s16, s18
	v_addc_co_u32_e32 v1, vcc, v1, v20, vcc
	s_addc_u32 s42, s42, s19
	v_mov_b32_e32 v20, s42
	s_waitcnt vmcnt(1)
	v_fma_mixlo_f16 v21, v36, v14, 0 op_sel_hi:[0,1,0]
	v_fma_mixlo_f16 v14, v36, v14, 0 op_sel:[0,1,0] op_sel_hi:[0,1,0]
	v_fma_mixlo_f16 v24, v36, v15, 0 op_sel_hi:[0,1,0]
	v_fma_mixlo_f16 v15, v36, v15, 0 op_sel:[0,1,0] op_sel_hi:[0,1,0]
	s_waitcnt vmcnt(0)
	v_mul_f16_e32 v21, v18, v21
	v_mul_f16_sdwa v14, v18, v14 dst_sel:DWORD dst_unused:UNUSED_PAD src0_sel:WORD_1 src1_sel:DWORD
	v_mul_f16_e32 v18, v19, v24
	v_mul_f16_sdwa v15, v19, v15 dst_sel:DWORD dst_unused:UNUSED_PAD src0_sel:WORD_1 src1_sel:DWORD
	v_cvt_f32_f16_e64 v19, |v21|
	v_cvt_f32_f16_e64 v21, |v14|
	;; [unrolled: 1-line block ×4, first 2 shown]
	v_add_co_u32_e32 v14, vcc, s16, v16
	v_addc_co_u32_e32 v15, vcc, v20, v17, vcc
	v_cmp_ge_i64_e32 vcc, v[14:15], v[10:11]
	v_max3_f32 v5, v5, v19, v21
	v_max3_f32 v5, v5, v18, v24
	s_orn2_b64 s[42:43], vcc, exec
	s_branch .LBB49_18
.LBB49_25:
	s_or_b64 exec, exec, s[28:29]
.LBB49_26:
	s_or_b64 exec, exec, s[22:23]
	s_lshr_b32 s13, s45, 6
	v_cvt_f32_u32_e32 v10, s13
	v_lshlrev_b32_e32 v1, 2, v0
	ds_write_b32 v1, v5
	s_sub_i32 s22, 0, s13
	v_rcp_iflag_f32_e32 v5, v10
	s_add_i32 s3, s2, s13
	s_add_i32 s3, s3, -1
	s_ashr_i32 s16, s3, 31
	v_mul_f32_e32 v5, 0x4f7ffffe, v5
	v_cvt_u32_f32_e32 v5, v5
	s_abs_i32 s3, s3
	s_waitcnt lgkmcnt(0)
	s_barrier
	v_readfirstlane_b32 s23, v5
	s_mul_i32 s22, s22, s23
	s_mul_hi_u32 s22, s23, s22
	s_add_i32 s23, s23, s22
	s_mul_hi_u32 s22, s3, s23
	s_mul_i32 s23, s22, s13
	s_sub_i32 s3, s3, s23
	s_add_i32 s23, s22, 1
	s_sub_i32 s24, s3, s13
	s_cmp_ge_u32 s3, s13
	s_cselect_b32 s22, s23, s22
	s_cselect_b32 s3, s24, s3
	s_add_i32 s23, s22, 1
	s_cmp_ge_u32 s3, s13
	s_cselect_b32 s3, s23, s22
	s_xor_b32 s3, s3, s16
	s_sub_i32 s22, s3, s16
	s_ashr_i32 s23, s22, 31
	v_cmp_lt_i64_e64 s[24:25], s[22:23], 1
	s_and_b64 vcc, exec, s[24:25]
	s_cbranch_vccnz .LBB49_48
; %bb.27:
	v_and_b32_e32 v12, 63, v0
	v_add_co_u32_e32 v14, vcc, 32, v12
	v_addc_co_u32_e64 v15, s[24:25], 0, 0, vcc
	v_add_co_u32_e32 v16, vcc, 16, v12
	v_addc_co_u32_e64 v17, s[24:25], 0, 0, vcc
	v_add_co_u32_e32 v18, vcc, 8, v12
	v_lshrrev_b32_e32 v10, 6, v0
	v_addc_co_u32_e64 v19, s[24:25], 0, 0, vcc
	v_add_co_u32_e32 v20, vcc, 4, v12
	v_addc_co_u32_e64 v21, s[24:25], 0, 0, vcc
	v_add_co_u32_e32 v22, vcc, 2, v12
	v_mul_lo_u32 v5, s18, v10
	v_addc_co_u32_e64 v23, s[24:25], 0, 0, vcc
	v_add_co_u32_e32 v24, vcc, 1, v12
	v_lshlrev_b32_e32 v5, 2, v5
	v_lshlrev_b32_e32 v26, 2, v12
	s_movk_i32 s16, 0x100
	v_mov_b32_e32 v11, 0
	v_addc_co_u32_e64 v25, s[24:25], 0, 0, vcc
	v_add3_u32 v5, v5, v26, s16
	s_mul_i32 s16, s18, s13
	s_ashr_i32 s3, s2, 31
	v_mov_b32_e32 v13, v11
	s_lshl_b32 s16, s16, 2
	s_mov_b64 s[24:25], 0
	v_mov_b32_e32 v37, s13
	s_mov_b64 s[26:27], src_shared_base
	s_branch .LBB49_30
.LBB49_28:                              ;   in Loop: Header=BB49_30 Depth=1
	s_or_b64 exec, exec, s[30:31]
	v_mov_b32_e32 v27, s27
	flat_load_dword v26, v[26:27] glc
	s_waitcnt vmcnt(0)
.LBB49_29:                              ;   in Loop: Header=BB49_30 Depth=1
	s_or_b64 exec, exec, s[28:29]
	s_add_u32 s24, s24, 1
	s_addc_u32 s25, s25, 0
	s_cmp_eq_u64 s[24:25], s[22:23]
	v_add_u32_e32 v5, s16, v5
	s_cbranch_scc1 .LBB49_48
.LBB49_30:                              ; =>This Loop Header: Depth=1
                                        ;     Child Loop BB49_33 Depth 2
	v_mad_u64_u32 v[30:31], s[28:29], s24, v37, v[10:11]
	s_mul_i32 s26, s25, s13
	v_add_u32_e32 v31, s26, v31
	v_cmp_gt_i64_e32 vcc, s[2:3], v[30:31]
	s_and_saveexec_b64 s[28:29], vcc
	s_cbranch_execz .LBB49_29
; %bb.31:                               ;   in Loop: Header=BB49_30 Depth=1
	v_pk_mov_b32 v[32:33], s[18:19], s[18:19] op_sel:[0,1]
	v_mul_lo_u32 v29, v31, s18
	v_mul_lo_u32 v38, v30, s19
	v_mad_u64_u32 v[32:33], s[30:31], v30, s18, v[32:33]
	v_add3_u32 v33, v29, v33, v38
	v_mov_b32_e32 v28, s21
	v_cmp_gt_i64_e32 vcc, s[20:21], v[32:33]
	s_waitcnt lgkmcnt(0)
	v_mad_u64_u32 v[26:27], s[30:31], v30, s18, v[12:13]
	v_cndmask_b32_e32 v33, v28, v33, vcc
	v_mov_b32_e32 v28, s17
	v_add3_u32 v27, v29, v27, v38
	v_cndmask_b32_e32 v32, v28, v32, vcc
	v_add_co_u32_e32 v34, vcc, 64, v26
	v_addc_co_u32_e32 v35, vcc, 0, v27, vcc
	v_cmp_lt_i64_e32 vcc, v[34:35], v[32:33]
	v_lshlrev_b32_e32 v28, 2, v26
	s_and_saveexec_b64 s[30:31], vcc
	s_cbranch_execz .LBB49_34
; %bb.32:                               ;   in Loop: Header=BB49_30 Depth=1
	ds_read_b32 v31, v28
	s_mov_b64 s[34:35], 0
	v_mov_b32_e32 v27, v5
.LBB49_33:                              ;   Parent Loop BB49_30 Depth=1
                                        ; =>  This Inner Loop Header: Depth=2
	ds_read_b32 v39, v27
	v_add_co_u32_e32 v34, vcc, 64, v34
	v_addc_co_u32_e32 v35, vcc, 0, v35, vcc
	s_waitcnt lgkmcnt(1)
	v_max_f32_e32 v31, v31, v31
	v_cmp_ge_i64_e32 vcc, v[34:35], v[32:33]
	s_waitcnt lgkmcnt(0)
	v_max_f32_e32 v39, v39, v39
	v_add_u32_e32 v27, 0x100, v27
	s_or_b64 s[34:35], vcc, s[34:35]
	v_max_f32_e32 v31, v31, v39
	ds_write_b32 v28, v31
	s_andn2_b64 exec, exec, s[34:35]
	s_cbranch_execnz .LBB49_33
.LBB49_34:                              ;   in Loop: Header=BB49_30 Depth=1
	s_or_b64 exec, exec, s[30:31]
	v_mad_u64_u32 v[30:31], s[30:31], v30, s18, 0
	v_add3_u32 v27, v31, v38, v29
	v_sub_co_u32_e32 v30, vcc, v32, v30
	v_subb_co_u32_e32 v31, vcc, v33, v27, vcc
	v_cmp_gt_i64_e32 vcc, 64, v[30:31]
	v_cndmask_b32_e32 v31, 0, v31, vcc
	v_cndmask_b32_e32 v30, 64, v30, vcc
	v_cmp_lt_i64_e32 vcc, v[14:15], v[30:31]
	s_and_saveexec_b64 s[30:31], vcc
	s_cbranch_execnz .LBB49_46
; %bb.35:                               ;   in Loop: Header=BB49_30 Depth=1
	s_or_b64 exec, exec, s[30:31]
	v_cmp_lt_i64_e32 vcc, v[16:17], v[30:31]
	s_and_saveexec_b64 s[30:31], vcc
	s_cbranch_execnz .LBB49_47
.LBB49_36:                              ;   in Loop: Header=BB49_30 Depth=1
	s_or_b64 exec, exec, s[30:31]
	v_cmp_lt_i64_e32 vcc, v[18:19], v[30:31]
	s_and_saveexec_b64 s[30:31], vcc
	s_cbranch_execz .LBB49_38
.LBB49_37:                              ;   in Loop: Header=BB49_30 Depth=1
	v_mov_b32_e32 v29, s27
	v_add_u32_e32 v32, 32, v28
	v_mov_b32_e32 v33, s27
	flat_load_dword v27, v[28:29] glc
	s_waitcnt vmcnt(0)
	flat_load_dword v34, v[32:33] glc
	s_waitcnt vmcnt(0) lgkmcnt(0)
	v_max_f32_e32 v27, v27, v27
	v_max_f32_e32 v32, v34, v34
	;; [unrolled: 1-line block ×3, first 2 shown]
	flat_store_dword v[28:29], v27
	s_waitcnt vmcnt(0)
.LBB49_38:                              ;   in Loop: Header=BB49_30 Depth=1
	s_or_b64 exec, exec, s[30:31]
	v_cmp_ge_i64_e32 vcc, v[20:21], v[30:31]
	s_and_saveexec_b64 s[30:31], vcc
	s_xor_b64 s[30:31], exec, s[30:31]
; %bb.39:                               ;   in Loop: Header=BB49_30 Depth=1
                                        ; implicit-def: $vgpr28
; %bb.40:                               ;   in Loop: Header=BB49_30 Depth=1
	s_andn2_saveexec_b64 s[30:31], s[30:31]
	s_cbranch_execz .LBB49_42
; %bb.41:                               ;   in Loop: Header=BB49_30 Depth=1
	v_mov_b32_e32 v29, s27
	v_add_u32_e32 v32, 16, v28
	v_mov_b32_e32 v33, s27
	flat_load_dword v27, v[28:29] glc
	s_waitcnt vmcnt(0)
	flat_load_dword v34, v[32:33] glc
	s_waitcnt vmcnt(0) lgkmcnt(0)
	v_max_f32_e32 v27, v27, v27
	v_max_f32_e32 v32, v34, v34
	v_max_f32_e32 v27, v27, v32
	flat_store_dword v[28:29], v27
	s_waitcnt vmcnt(0)
.LBB49_42:                              ;   in Loop: Header=BB49_30 Depth=1
	s_or_b64 exec, exec, s[30:31]
	v_cmp_lt_i64_e32 vcc, v[22:23], v[30:31]
	v_lshlrev_b32_e32 v26, 2, v26
	s_and_saveexec_b64 s[30:31], vcc
	s_cbranch_execz .LBB49_44
; %bb.43:                               ;   in Loop: Header=BB49_30 Depth=1
	v_mov_b32_e32 v27, s27
	v_add_u32_e32 v28, 8, v26
	v_mov_b32_e32 v29, s27
	flat_load_dword v32, v[26:27] glc
	s_waitcnt vmcnt(0)
	flat_load_dword v33, v[28:29] glc
	s_waitcnt vmcnt(0) lgkmcnt(0)
	v_max_f32_e32 v28, v32, v32
	v_max_f32_e32 v29, v33, v33
	;; [unrolled: 1-line block ×3, first 2 shown]
	flat_store_dword v[26:27], v28
	s_waitcnt vmcnt(0)
.LBB49_44:                              ;   in Loop: Header=BB49_30 Depth=1
	s_or_b64 exec, exec, s[30:31]
	v_cmp_lt_i64_e32 vcc, v[24:25], v[30:31]
	s_and_saveexec_b64 s[30:31], vcc
	s_cbranch_execz .LBB49_28
; %bb.45:                               ;   in Loop: Header=BB49_30 Depth=1
	v_mov_b32_e32 v27, s27
	v_add_u32_e32 v28, 4, v26
	v_mov_b32_e32 v29, s27
	flat_load_dword v30, v[26:27] glc
	s_waitcnt vmcnt(0)
	flat_load_dword v31, v[28:29] glc
	s_waitcnt vmcnt(0) lgkmcnt(0)
	v_max_f32_e32 v28, v30, v30
	v_max_f32_e32 v29, v31, v31
	;; [unrolled: 1-line block ×3, first 2 shown]
	flat_store_dword v[26:27], v28
	s_waitcnt vmcnt(0)
	s_branch .LBB49_28
.LBB49_46:                              ;   in Loop: Header=BB49_30 Depth=1
	v_mov_b32_e32 v29, s27
	v_add_u32_e32 v32, 0x80, v28
	v_mov_b32_e32 v33, s27
	flat_load_dword v27, v[28:29] glc
	s_waitcnt vmcnt(0)
	flat_load_dword v34, v[32:33] glc
	s_waitcnt vmcnt(0) lgkmcnt(0)
	v_max_f32_e32 v27, v27, v27
	v_max_f32_e32 v32, v34, v34
	;; [unrolled: 1-line block ×3, first 2 shown]
	flat_store_dword v[28:29], v27
	s_waitcnt vmcnt(0)
	s_or_b64 exec, exec, s[30:31]
	v_cmp_lt_i64_e32 vcc, v[16:17], v[30:31]
	s_and_saveexec_b64 s[30:31], vcc
	s_cbranch_execz .LBB49_36
.LBB49_47:                              ;   in Loop: Header=BB49_30 Depth=1
	v_mov_b32_e32 v29, s27
	v_add_u32_e32 v32, 64, v28
	v_mov_b32_e32 v33, s27
	flat_load_dword v27, v[28:29] glc
	s_waitcnt vmcnt(0)
	flat_load_dword v34, v[32:33] glc
	s_waitcnt vmcnt(0) lgkmcnt(0)
	v_max_f32_e32 v27, v27, v27
	v_max_f32_e32 v32, v34, v34
	;; [unrolled: 1-line block ×3, first 2 shown]
	flat_store_dword v[28:29], v27
	s_waitcnt vmcnt(0)
	s_or_b64 exec, exec, s[30:31]
	v_cmp_lt_i64_e32 vcc, v[18:19], v[30:31]
	s_and_saveexec_b64 s[30:31], vcc
	s_cbranch_execnz .LBB49_37
	s_branch .LBB49_38
.LBB49_48:
	s_load_dwordx2 s[18:19], s[4:5], 0x40
	v_cmp_eq_u32_e32 vcc, 0, v4
	v_cmp_lt_i64_e64 s[2:3], v[6:7], v[8:9]
	s_and_b64 s[2:3], vcc, s[2:3]
	s_waitcnt lgkmcnt(0)
	s_barrier
	s_and_saveexec_b64 s[22:23], s[2:3]
	s_cbranch_execz .LBB49_55
; %bb.49:
	s_load_dwordx2 s[2:3], s[4:5], 0x20
	ds_read_b32 v1, v1
	s_waitcnt lgkmcnt(0)
	s_cmp_eq_u64 s[2:3], 0
	s_cbranch_scc1 .LBB49_51
; %bb.50:
	s_load_dword s2, s[2:3], 0x0
	v_max_f32_e32 v1, v1, v1
	s_waitcnt lgkmcnt(0)
	v_max_f32_e64 v4, s2, s2
	v_min_f32_e32 v1, v1, v4
.LBB49_51:
	s_add_u32 s3, s18, s46
	s_addc_u32 s4, s19, 0
	s_add_u32 s24, s3, -1
	s_addc_u32 s25, s4, -1
	s_or_b64 s[4:5], s[24:25], s[18:19]
	s_mov_b32 s2, 0
	s_mov_b32 s3, s5
	s_cmp_lg_u64 s[2:3], 0
	s_mov_b64 s[26:27], -1
	s_cbranch_scc0 .LBB49_196
; %bb.52:
	s_ashr_i32 s2, s19, 31
	s_add_u32 s4, s18, s2
	s_mov_b32 s3, s2
	s_addc_u32 s5, s19, s2
	s_xor_b64 s[28:29], s[4:5], s[2:3]
	v_cvt_f32_u32_e32 v4, s28
	v_cvt_f32_u32_e32 v5, s29
	s_sub_u32 s2, 0, s28
	s_subb_u32 s3, 0, s29
	v_madmk_f32 v4, v5, 0x4f800000, v4
	v_rcp_f32_e32 v4, v4
	v_mul_f32_e32 v4, 0x5f7ffffc, v4
	v_mul_f32_e32 v5, 0x2f800000, v4
	v_trunc_f32_e32 v5, v5
	v_madmk_f32 v4, v5, 0xcf800000, v4
	v_cvt_u32_f32_e32 v5, v5
	v_cvt_u32_f32_e32 v4, v4
	v_readfirstlane_b32 s4, v5
	v_readfirstlane_b32 s5, v4
	s_mul_i32 s13, s2, s4
	s_mul_hi_u32 s20, s2, s5
	s_mul_i32 s16, s3, s5
	s_add_i32 s13, s20, s13
	s_add_i32 s13, s13, s16
	s_mul_i32 s30, s2, s5
	s_mul_hi_u32 s16, s5, s13
	s_mul_i32 s20, s5, s13
	s_mul_hi_u32 s5, s5, s30
	s_add_u32 s5, s5, s20
	s_addc_u32 s16, 0, s16
	s_mul_hi_u32 s31, s4, s30
	s_mul_i32 s30, s4, s30
	s_add_u32 s5, s5, s30
	s_mul_hi_u32 s20, s4, s13
	s_addc_u32 s5, s16, s31
	s_addc_u32 s16, s20, 0
	s_mul_i32 s13, s4, s13
	s_add_u32 s5, s5, s13
	s_addc_u32 s13, 0, s16
	v_add_co_u32_e32 v4, vcc, s5, v4
	s_cmp_lg_u64 vcc, 0
	s_addc_u32 s4, s4, s13
	v_readfirstlane_b32 s13, v4
	s_mul_i32 s5, s2, s4
	s_mul_hi_u32 s16, s2, s13
	s_add_i32 s5, s16, s5
	s_mul_i32 s3, s3, s13
	s_add_i32 s5, s5, s3
	s_mul_i32 s2, s2, s13
	s_mul_hi_u32 s16, s4, s2
	s_mul_i32 s20, s4, s2
	s_mul_i32 s31, s13, s5
	s_mul_hi_u32 s2, s13, s2
	s_mul_hi_u32 s30, s13, s5
	s_add_u32 s2, s2, s31
	s_addc_u32 s13, 0, s30
	s_add_u32 s2, s2, s20
	s_mul_hi_u32 s3, s4, s5
	s_addc_u32 s2, s13, s16
	s_addc_u32 s3, s3, 0
	s_mul_i32 s5, s4, s5
	s_add_u32 s2, s2, s5
	s_addc_u32 s3, 0, s3
	v_add_co_u32_e32 v4, vcc, s2, v4
	s_cmp_lg_u64 vcc, 0
	s_addc_u32 s4, s4, s3
	s_ashr_i32 s30, s25, 31
	s_add_u32 s2, s24, s30
	s_mov_b32 s31, s30
	s_addc_u32 s3, s25, s30
	s_xor_b64 s[34:35], s[2:3], s[30:31]
	v_readfirstlane_b32 s5, v4
	s_mul_i32 s3, s34, s4
	s_mul_hi_u32 s13, s34, s5
	s_mul_hi_u32 s2, s34, s4
	s_add_u32 s3, s13, s3
	s_addc_u32 s2, 0, s2
	s_mul_hi_u32 s16, s35, s5
	s_mul_i32 s5, s35, s5
	s_add_u32 s3, s3, s5
	s_mul_hi_u32 s13, s35, s4
	s_addc_u32 s2, s2, s16
	s_addc_u32 s3, s13, 0
	s_mul_i32 s4, s35, s4
	s_add_u32 s2, s2, s4
	s_addc_u32 s3, 0, s3
	s_mul_i32 s3, s28, s3
	s_mul_hi_u32 s4, s28, s2
	s_add_i32 s3, s4, s3
	s_mul_i32 s4, s29, s2
	s_mul_i32 s2, s28, s2
	s_add_i32 s13, s3, s4
	v_mov_b32_e32 v4, s2
	s_sub_i32 s3, s35, s13
	v_sub_co_u32_e32 v4, vcc, s34, v4
	s_cmp_lg_u64 vcc, 0
	s_subb_u32 s16, s3, s29
	v_subrev_co_u32_e64 v5, s[2:3], s28, v4
	s_cmp_lg_u64 s[2:3], 0
	s_subb_u32 s20, s16, 0
	s_cmp_ge_u32 s20, s29
	s_cselect_b32 s31, -1, 0
	v_cmp_le_u32_e64 s[4:5], s28, v5
	s_cmp_eq_u32 s20, s29
	v_cndmask_b32_e64 v6, 0, -1, s[4:5]
	v_mov_b32_e32 v7, s31
	s_cselect_b64 s[4:5], -1, 0
	s_cmp_lg_u64 s[2:3], 0
	v_cndmask_b32_e64 v6, v7, v6, s[4:5]
	s_subb_u32 s4, s16, s29
	v_subrev_co_u32_e64 v7, s[2:3], s28, v5
	s_cmp_lg_u64 s[2:3], 0
	s_subb_u32 s4, s4, 0
	v_cmp_ne_u32_e64 s[2:3], 0, v6
	v_cndmask_b32_e64 v5, v5, v7, s[2:3]
	v_mov_b32_e32 v6, s20
	v_mov_b32_e32 v7, s4
	s_cmp_lg_u64 vcc, 0
	v_cndmask_b32_e64 v6, v6, v7, s[2:3]
	s_subb_u32 s2, s35, s13
	s_cmp_ge_u32 s2, s29
	s_cselect_b32 s3, -1, 0
	v_cmp_le_u32_e32 vcc, s28, v4
	s_cmp_eq_u32 s2, s29
	v_cndmask_b32_e64 v7, 0, -1, vcc
	v_mov_b32_e32 v8, s3
	s_cselect_b64 vcc, -1, 0
	v_cndmask_b32_e32 v7, v8, v7, vcc
	v_cmp_ne_u32_e32 vcc, 0, v7
	v_mov_b32_e32 v8, s2
	v_cndmask_b32_e32 v4, v4, v5, vcc
	v_cndmask_b32_e32 v6, v8, v6, vcc
	v_xor_b32_e32 v4, s30, v4
	v_xor_b32_e32 v5, s30, v6
	v_mov_b32_e32 v6, s30
	v_subrev_co_u32_e32 v4, vcc, s30, v4
	v_subb_co_u32_e32 v5, vcc, v5, v6, vcc
	s_cbranch_execnz .LBB49_54
.LBB49_53:
	v_cvt_f32_u32_e32 v4, s18
	s_sub_i32 s2, 0, s18
	v_rcp_iflag_f32_e32 v4, v4
	v_mul_f32_e32 v4, 0x4f7ffffe, v4
	v_cvt_u32_f32_e32 v4, v4
	v_mul_lo_u32 v5, s2, v4
	v_mul_hi_u32 v5, v4, v5
	v_add_u32_e32 v4, v4, v5
	v_mul_hi_u32 v4, s24, v4
	v_mul_lo_u32 v4, v4, s18
	v_sub_u32_e32 v4, s24, v4
	v_subrev_u32_e32 v5, s18, v4
	v_cmp_le_u32_e32 vcc, s18, v4
	v_cndmask_b32_e32 v4, v4, v5, vcc
	v_subrev_u32_e32 v5, s18, v4
	v_cmp_le_u32_e32 vcc, s18, v4
	v_cndmask_b32_e32 v4, v4, v5, vcc
	v_mov_b32_e32 v5, 0
.LBB49_54:
	s_mov_b32 s4, 0x43600000
	v_div_scale_f32 v6, s[2:3], s4, s4, v1
	v_rcp_f32_e32 v7, v6
	v_div_scale_f32 v8, vcc, v1, s4, v1
	v_fma_f32 v9, -v6, v7, 1.0
	v_fmac_f32_e32 v7, v9, v7
	v_mul_f32_e32 v9, v8, v7
	v_fma_f32 v10, -v6, v9, v8
	v_fmac_f32_e32 v9, v10, v7
	v_fma_f32 v6, -v6, v9, v8
	v_div_fmas_f32 v6, v6, v7, v9
	v_div_fixup_f32 v1, v6, s4, v1
	v_mov_b32_e32 v6, s25
	v_sub_co_u32_e32 v4, vcc, s24, v4
	v_subb_co_u32_e32 v5, vcc, v6, v5, vcc
	v_mul_lo_u32 v5, v5, v2
	v_mul_lo_u32 v6, v4, v3
	v_mad_u64_u32 v[2:3], s[2:3], v4, v2, 0
	s_lshl_b64 s[2:3], s[6:7], 2
	v_add3_u32 v3, v3, v6, v5
	s_add_u32 s2, s2, s10
	v_lshlrev_b64 v[2:3], 2, v[2:3]
	s_addc_u32 s3, s3, s11
	v_mov_b32_e32 v4, s3
	v_add_co_u32_e32 v2, vcc, s2, v2
	v_max_f32_e32 v1, 0x37124925, v1
	v_addc_co_u32_e32 v3, vcc, v4, v3, vcc
	global_store_dword v[2:3], v1, off
.LBB49_55:
	s_or_b64 exec, exec, s[22:23]
	s_barrier
	s_and_saveexec_b64 s[2:3], s[0:1]
	s_cbranch_execz .LBB49_195
; %bb.56:
	s_add_u32 s1, s18, s46
	s_addc_u32 s2, s19, 0
	s_add_u32 s4, s1, -1
	s_addc_u32 s5, s2, -1
	s_or_b64 s[2:3], s[4:5], s[18:19]
	s_mov_b32 s0, 0
	s_mov_b32 s1, s3
	s_cmp_lg_u64 s[0:1], 0
	s_mov_b64 s[22:23], -1
	s_cbranch_scc0 .LBB49_197
; %bb.57:
	s_ashr_i32 s0, s19, 31
	s_add_u32 s2, s18, s0
	s_mov_b32 s1, s0
	s_addc_u32 s3, s19, s0
	s_xor_b64 s[24:25], s[2:3], s[0:1]
	v_cvt_f32_u32_e32 v1, s24
	v_cvt_f32_u32_e32 v2, s25
	s_sub_u32 s0, 0, s24
	s_subb_u32 s1, 0, s25
	v_madmk_f32 v1, v2, 0x4f800000, v1
	v_rcp_f32_e32 v1, v1
	v_mul_f32_e32 v1, 0x5f7ffffc, v1
	v_mul_f32_e32 v2, 0x2f800000, v1
	v_trunc_f32_e32 v2, v2
	v_madmk_f32 v1, v2, 0xcf800000, v1
	v_cvt_u32_f32_e32 v2, v2
	v_cvt_u32_f32_e32 v1, v1
	v_readfirstlane_b32 s2, v2
	v_readfirstlane_b32 s3, v1
	s_mul_i32 s13, s0, s2
	s_mul_hi_u32 s19, s0, s3
	s_mul_i32 s16, s1, s3
	s_add_i32 s13, s19, s13
	s_add_i32 s13, s13, s16
	s_mul_i32 s20, s0, s3
	s_mul_hi_u32 s16, s3, s13
	s_mul_i32 s19, s3, s13
	s_mul_hi_u32 s3, s3, s20
	s_add_u32 s3, s3, s19
	s_addc_u32 s16, 0, s16
	s_mul_hi_u32 s26, s2, s20
	s_mul_i32 s20, s2, s20
	s_add_u32 s3, s3, s20
	s_mul_hi_u32 s19, s2, s13
	s_addc_u32 s3, s16, s26
	s_addc_u32 s16, s19, 0
	s_mul_i32 s13, s2, s13
	s_add_u32 s3, s3, s13
	s_addc_u32 s13, 0, s16
	v_add_co_u32_e32 v1, vcc, s3, v1
	s_cmp_lg_u64 vcc, 0
	s_addc_u32 s2, s2, s13
	v_readfirstlane_b32 s13, v1
	s_mul_i32 s3, s0, s2
	s_mul_hi_u32 s16, s0, s13
	s_add_i32 s3, s16, s3
	s_mul_i32 s1, s1, s13
	s_add_i32 s3, s3, s1
	s_mul_i32 s0, s0, s13
	s_mul_hi_u32 s16, s2, s0
	s_mul_i32 s19, s2, s0
	s_mul_i32 s26, s13, s3
	s_mul_hi_u32 s0, s13, s0
	s_mul_hi_u32 s20, s13, s3
	s_add_u32 s0, s0, s26
	s_addc_u32 s13, 0, s20
	s_add_u32 s0, s0, s19
	s_mul_hi_u32 s1, s2, s3
	s_addc_u32 s0, s13, s16
	s_addc_u32 s1, s1, 0
	s_mul_i32 s3, s2, s3
	s_add_u32 s0, s0, s3
	s_addc_u32 s1, 0, s1
	v_add_co_u32_e32 v1, vcc, s0, v1
	s_cmp_lg_u64 vcc, 0
	s_addc_u32 s2, s2, s1
	s_ashr_i32 s26, s5, 31
	s_add_u32 s0, s4, s26
	s_mov_b32 s27, s26
	s_addc_u32 s1, s5, s26
	s_xor_b64 s[28:29], s[0:1], s[26:27]
	v_readfirstlane_b32 s3, v1
	s_mul_i32 s1, s28, s2
	s_mul_hi_u32 s13, s28, s3
	s_mul_hi_u32 s0, s28, s2
	s_add_u32 s1, s13, s1
	s_addc_u32 s0, 0, s0
	s_mul_hi_u32 s16, s29, s3
	s_mul_i32 s3, s29, s3
	s_add_u32 s1, s1, s3
	s_mul_hi_u32 s13, s29, s2
	s_addc_u32 s0, s0, s16
	s_addc_u32 s1, s13, 0
	s_mul_i32 s2, s29, s2
	s_add_u32 s0, s0, s2
	s_addc_u32 s1, 0, s1
	s_mul_i32 s1, s24, s1
	s_mul_hi_u32 s2, s24, s0
	s_add_i32 s1, s2, s1
	s_mul_i32 s2, s25, s0
	s_mul_i32 s0, s24, s0
	s_add_i32 s13, s1, s2
	v_mov_b32_e32 v1, s0
	s_sub_i32 s1, s29, s13
	v_sub_co_u32_e32 v1, vcc, s28, v1
	s_cmp_lg_u64 vcc, 0
	s_subb_u32 s16, s1, s25
	v_subrev_co_u32_e64 v2, s[0:1], s24, v1
	s_cmp_lg_u64 s[0:1], 0
	s_subb_u32 s19, s16, 0
	s_cmp_ge_u32 s19, s25
	s_cselect_b32 s20, -1, 0
	v_cmp_le_u32_e64 s[2:3], s24, v2
	s_cmp_eq_u32 s19, s25
	v_cndmask_b32_e64 v3, 0, -1, s[2:3]
	v_mov_b32_e32 v4, s20
	s_cselect_b64 s[2:3], -1, 0
	s_cmp_lg_u64 s[0:1], 0
	v_cndmask_b32_e64 v3, v4, v3, s[2:3]
	s_subb_u32 s2, s16, s25
	v_subrev_co_u32_e64 v4, s[0:1], s24, v2
	s_cmp_lg_u64 s[0:1], 0
	s_subb_u32 s2, s2, 0
	v_cmp_ne_u32_e64 s[0:1], 0, v3
	v_cndmask_b32_e64 v2, v2, v4, s[0:1]
	v_mov_b32_e32 v3, s19
	v_mov_b32_e32 v4, s2
	s_cmp_lg_u64 vcc, 0
	v_cndmask_b32_e64 v3, v3, v4, s[0:1]
	s_subb_u32 s0, s29, s13
	s_cmp_ge_u32 s0, s25
	s_cselect_b32 s1, -1, 0
	v_cmp_le_u32_e32 vcc, s24, v1
	s_cmp_eq_u32 s0, s25
	v_cndmask_b32_e64 v4, 0, -1, vcc
	v_mov_b32_e32 v5, s1
	s_cselect_b64 vcc, -1, 0
	v_cndmask_b32_e32 v4, v5, v4, vcc
	v_cmp_ne_u32_e32 vcc, 0, v4
	v_mov_b32_e32 v5, s0
	v_cndmask_b32_e32 v1, v1, v2, vcc
	v_cndmask_b32_e32 v3, v5, v3, vcc
	v_xor_b32_e32 v1, s26, v1
	v_xor_b32_e32 v3, s26, v3
	v_mov_b32_e32 v4, s26
	v_subrev_co_u32_e32 v2, vcc, s26, v1
	v_subb_co_u32_e32 v3, vcc, v3, v4, vcc
	s_cbranch_execnz .LBB49_59
.LBB49_58:
	v_cvt_f32_u32_e32 v1, s18
	s_sub_i32 s0, 0, s18
	v_mov_b32_e32 v3, 0
	v_rcp_iflag_f32_e32 v1, v1
	v_mul_f32_e32 v1, 0x4f7ffffe, v1
	v_cvt_u32_f32_e32 v1, v1
	v_mul_lo_u32 v2, s0, v1
	v_mul_hi_u32 v2, v1, v2
	v_add_u32_e32 v1, v1, v2
	v_mul_hi_u32 v1, s4, v1
	v_mul_lo_u32 v1, v1, s18
	v_sub_u32_e32 v1, s4, v1
	v_subrev_u32_e32 v2, s18, v1
	v_cmp_le_u32_e32 vcc, s18, v1
	v_cndmask_b32_e32 v1, v1, v2, vcc
	v_subrev_u32_e32 v2, s18, v1
	v_cmp_le_u32_e32 vcc, s18, v1
	v_cndmask_b32_e32 v2, v1, v2, vcc
.LBB49_59:
	s_mul_i32 s0, s21, s6
	s_mul_hi_u32 s1, s17, s6
	s_add_i32 s1, s1, s0
	s_mul_i32 s0, s17, s6
	s_add_u32 s13, s8, s0
	s_addc_u32 s18, s9, s1
	s_lshl_b64 s[0:1], s[6:7], 2
	s_add_u32 s19, s10, s0
	s_addc_u32 s20, s11, s1
	v_mov_b32_e32 v1, s5
	v_sub_co_u32_e32 v10, vcc, s4, v2
	v_subb_co_u32_e32 v11, vcc, v1, v3, vcc
	s_mul_i32 s21, s45, 3
	s_lshl_b32 s22, s45, 1
	s_mov_b64 s[0:1], 0
	v_mov_b32_e32 v1, 0
	v_mov_b32_e32 v12, s44
	;; [unrolled: 1-line block ×4, first 2 shown]
	s_mov_b32 s23, 0x43800000
	s_mov_b32 s24, 0x3bffffff
	;; [unrolled: 1-line block ×4, first 2 shown]
	s_movk_i32 s27, 0x80
	s_mov_b32 s28, 0x4020c0c
	s_branch .LBB49_65
.LBB49_60:                              ;   in Loop: Header=BB49_65 Depth=1
	s_or_b64 exec, exec, s[16:17]
.LBB49_61:                              ;   in Loop: Header=BB49_65 Depth=1
	s_or_b64 exec, exec, s[8:9]
	v_lshlrev_b64 v[16:17], 2, v[0:1]
	v_mov_b32_e32 v0, s18
	v_add_co_u32_e32 v16, vcc, s13, v16
	v_addc_co_u32_e32 v17, vcc, v0, v17, vcc
	v_lshlrev_b32_e32 v0, 16, v6
	v_lshlrev_b32_e32 v3, 8, v3
	v_perm_b32 v0, v4, v0, s28
	v_and_b32_e32 v3, 0xff00, v3
	v_and_b32_e32 v4, 0xff, v8
	s_add_i32 s8, s45, s45
	v_or3_b32 v0, v0, v3, v4
	s_add_i32 s8, s8, s45
	global_store_dword v[16:17], v0, off
	v_add_u32_e32 v0, s8, v2
	v_cmp_le_u32_e32 vcc, s12, v0
	s_orn2_b64 s[8:9], vcc, exec
.LBB49_62:                              ;   in Loop: Header=BB49_65 Depth=1
	s_or_b64 exec, exec, s[6:7]
	s_orn2_b64 s[6:7], s[8:9], exec
.LBB49_63:                              ;   in Loop: Header=BB49_65 Depth=1
	s_or_b64 exec, exec, s[4:5]
	s_orn2_b64 s[4:5], s[6:7], exec
.LBB49_64:                              ;   in Loop: Header=BB49_65 Depth=1
	s_or_b64 exec, exec, s[2:3]
	s_and_b64 s[2:3], exec, s[4:5]
	s_or_b64 s[0:1], s[2:3], s[0:1]
	s_andn2_b64 exec, exec, s[0:1]
	s_cbranch_execz .LBB49_195
.LBB49_65:                              ; =>This Inner Loop Header: Depth=1
	v_lshlrev_b64 v[4:5], 3, v[0:1]
	v_add_co_u32_e32 v2, vcc, s33, v4
	v_addc_co_u32_e32 v3, vcc, v12, v5, vcc
	v_bfe_u32 v9, v0, 5, 25
	v_add_co_u32_e32 v4, vcc, s14, v4
	v_mad_u64_u32 v[6:7], s[2:3], v10, v9, 0
	global_load_dwordx2 v[2:3], v[2:3], off
	v_addc_co_u32_e32 v5, vcc, v13, v5, vcc
	v_mov_b32_e32 v8, v7
	global_load_dwordx2 v[4:5], v[4:5], off
	v_mad_u64_u32 v[8:9], s[2:3], v11, v9, v[8:9]
	v_mov_b32_e32 v7, v8
	v_lshlrev_b64 v[6:7], 2, v[6:7]
	v_add_co_u32_e32 v6, vcc, s19, v6
	v_addc_co_u32_e32 v7, vcc, v14, v7, vcc
	global_load_dword v7, v[6:7], off
	s_waitcnt vmcnt(2)
	v_fma_mixlo_f16 v6, v36, v2, 0 op_sel_hi:[0,1,0]
	s_waitcnt vmcnt(1)
	v_mul_f16_e32 v6, v4, v6
	v_cvt_f32_f16_e32 v8, v6
	v_mov_b32_e32 v6, 0x80
	s_waitcnt vmcnt(0)
	v_div_scale_f32 v9, s[2:3], v7, v7, v8
	v_rcp_f32_e32 v15, v9
	v_div_scale_f32 v16, vcc, v8, v7, v8
	v_fma_f32 v17, -v9, v15, 1.0
	v_fmac_f32_e32 v15, v17, v15
	v_mul_f32_e32 v17, v16, v15
	v_fma_f32 v18, -v9, v17, v16
	v_fmac_f32_e32 v17, v18, v15
	v_fma_f32 v9, -v9, v17, v16
	v_div_fmas_f32 v9, v9, v15, v17
	v_div_fixup_f32 v8, v9, v7, v8
	v_min_f32_e32 v8, 0x43600000, v8
	v_max_f32_e32 v9, 0xc3600000, v8
	v_and_b32_e32 v15, 0x7fffffff, v9
	v_cmp_gt_u32_e32 vcc, s23, v15
	v_mov_b32_e32 v8, 0x80
	s_and_saveexec_b64 s[2:3], vcc
	s_cbranch_execz .LBB49_71
; %bb.66:                               ;   in Loop: Header=BB49_65 Depth=1
	v_cmp_lt_u32_e32 vcc, s24, v15
	s_mov_b64 s[4:5], 0
                                        ; implicit-def: $vgpr15
	s_and_saveexec_b64 s[6:7], vcc
	s_xor_b64 s[6:7], exec, s[6:7]
	s_cbranch_execnz .LBB49_162
; %bb.67:                               ;   in Loop: Header=BB49_65 Depth=1
	s_or_saveexec_b64 s[6:7], s[6:7]
                                        ; implicit-def: $sgpr8
	s_xor_b64 exec, exec, s[6:7]
	s_cbranch_execnz .LBB49_163
.LBB49_68:                              ;   in Loop: Header=BB49_65 Depth=1
	s_or_b64 exec, exec, s[6:7]
	v_mov_b32_e32 v8, s8
	s_and_saveexec_b64 s[6:7], s[4:5]
.LBB49_69:                              ;   in Loop: Header=BB49_65 Depth=1
	v_lshrrev_b32_e32 v8, 24, v9
	v_and_or_b32 v8, v8, s27, v15
.LBB49_70:                              ;   in Loop: Header=BB49_65 Depth=1
	s_or_b64 exec, exec, s[6:7]
.LBB49_71:                              ;   in Loop: Header=BB49_65 Depth=1
	s_or_b64 exec, exec, s[2:3]
	v_fma_mixlo_f16 v2, v36, v2, 0 op_sel:[0,1,0] op_sel_hi:[0,1,0]
	v_mul_f16_sdwa v2, v4, v2 dst_sel:DWORD dst_unused:UNUSED_PAD src0_sel:WORD_1 src1_sel:DWORD
	v_cvt_f32_f16_e32 v2, v2
	v_div_scale_f32 v4, s[2:3], v7, v7, v2
	v_rcp_f32_e32 v9, v4
	v_div_scale_f32 v15, vcc, v2, v7, v2
	v_fma_f32 v16, -v4, v9, 1.0
	v_fmac_f32_e32 v9, v16, v9
	v_mul_f32_e32 v16, v15, v9
	v_fma_f32 v17, -v4, v16, v15
	v_fmac_f32_e32 v16, v17, v9
	v_fma_f32 v4, -v4, v16, v15
	v_div_fmas_f32 v4, v4, v9, v16
	v_div_fixup_f32 v2, v4, v7, v2
	v_min_f32_e32 v2, 0x43600000, v2
	v_max_f32_e32 v2, 0xc3600000, v2
	v_and_b32_e32 v4, 0x7fffffff, v2
	v_cmp_gt_u32_e32 vcc, s23, v4
	s_and_saveexec_b64 s[2:3], vcc
	s_cbranch_execz .LBB49_77
; %bb.72:                               ;   in Loop: Header=BB49_65 Depth=1
	v_cmp_lt_u32_e32 vcc, s24, v4
	s_mov_b64 s[4:5], 0
                                        ; implicit-def: $vgpr4
	s_and_saveexec_b64 s[6:7], vcc
	s_xor_b64 s[6:7], exec, s[6:7]
	s_cbranch_execnz .LBB49_164
; %bb.73:                               ;   in Loop: Header=BB49_65 Depth=1
	s_or_saveexec_b64 s[6:7], s[6:7]
                                        ; implicit-def: $sgpr8
	s_xor_b64 exec, exec, s[6:7]
	s_cbranch_execnz .LBB49_165
.LBB49_74:                              ;   in Loop: Header=BB49_65 Depth=1
	s_or_b64 exec, exec, s[6:7]
	v_mov_b32_e32 v6, s8
	s_and_saveexec_b64 s[6:7], s[4:5]
.LBB49_75:                              ;   in Loop: Header=BB49_65 Depth=1
	v_lshrrev_b32_e32 v2, 24, v2
	v_and_or_b32 v6, v2, s27, v4
.LBB49_76:                              ;   in Loop: Header=BB49_65 Depth=1
	s_or_b64 exec, exec, s[6:7]
.LBB49_77:                              ;   in Loop: Header=BB49_65 Depth=1
	s_or_b64 exec, exec, s[2:3]
	v_fma_mixlo_f16 v2, v36, v3, 0 op_sel_hi:[0,1,0]
	v_mul_f16_e32 v2, v5, v2
	v_cvt_f32_f16_e32 v4, v2
	v_mov_b32_e32 v2, 0x80
	v_div_scale_f32 v9, s[2:3], v7, v7, v4
	v_rcp_f32_e32 v15, v9
	v_div_scale_f32 v16, vcc, v4, v7, v4
	v_fma_f32 v17, -v9, v15, 1.0
	v_fmac_f32_e32 v15, v17, v15
	v_mul_f32_e32 v17, v16, v15
	v_fma_f32 v18, -v9, v17, v16
	v_fmac_f32_e32 v17, v18, v15
	v_fma_f32 v9, -v9, v17, v16
	v_div_fmas_f32 v9, v9, v15, v17
	v_div_fixup_f32 v4, v9, v7, v4
	v_min_f32_e32 v4, 0x43600000, v4
	v_max_f32_e32 v9, 0xc3600000, v4
	v_and_b32_e32 v15, 0x7fffffff, v9
	v_cmp_gt_u32_e32 vcc, s23, v15
	v_mov_b32_e32 v4, 0x80
	s_and_saveexec_b64 s[2:3], vcc
	s_cbranch_execz .LBB49_83
; %bb.78:                               ;   in Loop: Header=BB49_65 Depth=1
	v_cmp_lt_u32_e32 vcc, s24, v15
	s_mov_b64 s[4:5], 0
                                        ; implicit-def: $vgpr15
	s_and_saveexec_b64 s[6:7], vcc
	s_xor_b64 s[6:7], exec, s[6:7]
	s_cbranch_execnz .LBB49_166
; %bb.79:                               ;   in Loop: Header=BB49_65 Depth=1
	s_or_saveexec_b64 s[6:7], s[6:7]
                                        ; implicit-def: $sgpr8
	s_xor_b64 exec, exec, s[6:7]
	s_cbranch_execnz .LBB49_167
.LBB49_80:                              ;   in Loop: Header=BB49_65 Depth=1
	s_or_b64 exec, exec, s[6:7]
	v_mov_b32_e32 v4, s8
	s_and_saveexec_b64 s[6:7], s[4:5]
.LBB49_81:                              ;   in Loop: Header=BB49_65 Depth=1
	v_lshrrev_b32_e32 v4, 24, v9
	v_and_or_b32 v4, v4, s27, v15
.LBB49_82:                              ;   in Loop: Header=BB49_65 Depth=1
	s_or_b64 exec, exec, s[6:7]
.LBB49_83:                              ;   in Loop: Header=BB49_65 Depth=1
	s_or_b64 exec, exec, s[2:3]
	v_fma_mixlo_f16 v3, v36, v3, 0 op_sel:[0,1,0] op_sel_hi:[0,1,0]
	v_mul_f16_sdwa v3, v5, v3 dst_sel:DWORD dst_unused:UNUSED_PAD src0_sel:WORD_1 src1_sel:DWORD
	v_cvt_f32_f16_e32 v3, v3
	v_div_scale_f32 v5, s[2:3], v7, v7, v3
	v_rcp_f32_e32 v9, v5
	v_div_scale_f32 v15, vcc, v3, v7, v3
	v_fma_f32 v16, -v5, v9, 1.0
	v_fmac_f32_e32 v9, v16, v9
	v_mul_f32_e32 v16, v15, v9
	v_fma_f32 v17, -v5, v16, v15
	v_fmac_f32_e32 v16, v17, v9
	v_fma_f32 v5, -v5, v16, v15
	v_div_fmas_f32 v5, v5, v9, v16
	v_div_fixup_f32 v3, v5, v7, v3
	v_min_f32_e32 v3, 0x43600000, v3
	v_max_f32_e32 v3, 0xc3600000, v3
	v_and_b32_e32 v5, 0x7fffffff, v3
	v_cmp_gt_u32_e32 vcc, s23, v5
	s_and_saveexec_b64 s[2:3], vcc
	s_cbranch_execz .LBB49_89
; %bb.84:                               ;   in Loop: Header=BB49_65 Depth=1
	v_cmp_lt_u32_e32 vcc, s24, v5
	s_mov_b64 s[4:5], 0
                                        ; implicit-def: $vgpr5
	s_and_saveexec_b64 s[6:7], vcc
	s_xor_b64 s[6:7], exec, s[6:7]
	s_cbranch_execnz .LBB49_168
; %bb.85:                               ;   in Loop: Header=BB49_65 Depth=1
	s_or_saveexec_b64 s[6:7], s[6:7]
                                        ; implicit-def: $sgpr8
	s_xor_b64 exec, exec, s[6:7]
	s_cbranch_execnz .LBB49_169
.LBB49_86:                              ;   in Loop: Header=BB49_65 Depth=1
	s_or_b64 exec, exec, s[6:7]
	v_mov_b32_e32 v2, s8
	s_and_saveexec_b64 s[6:7], s[4:5]
.LBB49_87:                              ;   in Loop: Header=BB49_65 Depth=1
	v_lshrrev_b32_e32 v2, 24, v3
	v_and_or_b32 v2, v2, s27, v5
.LBB49_88:                              ;   in Loop: Header=BB49_65 Depth=1
	s_or_b64 exec, exec, s[6:7]
.LBB49_89:                              ;   in Loop: Header=BB49_65 Depth=1
	s_or_b64 exec, exec, s[2:3]
	v_lshlrev_b64 v[16:17], 2, v[0:1]
	v_mov_b32_e32 v3, s18
	v_add_co_u32_e32 v16, vcc, s13, v16
	v_addc_co_u32_e32 v17, vcc, v3, v17, vcc
	v_lshlrev_b32_e32 v3, 16, v4
	v_perm_b32 v2, v2, v3, s28
	v_lshlrev_b32_e32 v3, 8, v6
	v_and_b32_e32 v3, 0xff00, v3
	v_and_b32_e32 v4, 0xff, v8
	v_or3_b32 v2, v2, v3, v4
	global_store_dword v[16:17], v2, off
	v_add_u32_e32 v2, s45, v0
	v_cmp_gt_u32_e32 vcc, s12, v2
	s_mov_b64 s[4:5], -1
	s_and_saveexec_b64 s[2:3], vcc
	s_cbranch_execz .LBB49_64
; %bb.90:                               ;   in Loop: Header=BB49_65 Depth=1
	v_mov_b32_e32 v3, v1
	v_lshlrev_b64 v[6:7], 3, v[2:3]
	v_mov_b32_e32 v5, s44
	v_add_co_u32_e32 v4, vcc, s33, v6
	v_addc_co_u32_e32 v5, vcc, v5, v7, vcc
	v_mov_b32_e32 v8, s15
	v_add_co_u32_e32 v6, vcc, s14, v6
	v_bfe_u32 v15, v2, 5, 25
	v_addc_co_u32_e32 v7, vcc, v8, v7, vcc
	v_mad_u64_u32 v[8:9], s[4:5], v10, v15, 0
	global_load_dwordx2 v[4:5], v[4:5], off
	v_mov_b32_e32 v16, v9
	global_load_dwordx2 v[6:7], v[6:7], off
	v_mad_u64_u32 v[16:17], s[4:5], v11, v15, v[16:17]
	v_mov_b32_e32 v9, v16
	v_lshlrev_b64 v[8:9], 2, v[8:9]
	v_mov_b32_e32 v15, s20
	v_add_co_u32_e32 v8, vcc, s19, v8
	v_addc_co_u32_e32 v9, vcc, v15, v9, vcc
	global_load_dword v15, v[8:9], off
	s_waitcnt vmcnt(2)
	v_fma_mixlo_f16 v8, v36, v4, 0 op_sel_hi:[0,1,0]
	s_waitcnt vmcnt(1)
	v_mul_f16_e32 v8, v6, v8
	v_cvt_f32_f16_e32 v9, v8
	v_mov_b32_e32 v8, 0x80
	s_waitcnt vmcnt(0)
	v_div_scale_f32 v16, s[4:5], v15, v15, v9
	v_rcp_f32_e32 v17, v16
	v_div_scale_f32 v18, vcc, v9, v15, v9
	v_fma_f32 v19, -v16, v17, 1.0
	v_fmac_f32_e32 v17, v19, v17
	v_mul_f32_e32 v19, v18, v17
	v_fma_f32 v20, -v16, v19, v18
	v_fmac_f32_e32 v19, v20, v17
	v_fma_f32 v16, -v16, v19, v18
	v_div_fmas_f32 v16, v16, v17, v19
	v_div_fixup_f32 v9, v16, v15, v9
	v_min_f32_e32 v9, 0x43600000, v9
	v_max_f32_e32 v16, 0xc3600000, v9
	v_and_b32_e32 v17, 0x7fffffff, v16
	v_cmp_gt_u32_e32 vcc, s23, v17
	v_mov_b32_e32 v9, 0x80
	s_and_saveexec_b64 s[4:5], vcc
	s_cbranch_execz .LBB49_96
; %bb.91:                               ;   in Loop: Header=BB49_65 Depth=1
	v_cmp_lt_u32_e32 vcc, s24, v17
	s_mov_b64 s[6:7], 0
                                        ; implicit-def: $vgpr17
	s_and_saveexec_b64 s[8:9], vcc
	s_xor_b64 s[8:9], exec, s[8:9]
	s_cbranch_execnz .LBB49_170
; %bb.92:                               ;   in Loop: Header=BB49_65 Depth=1
	s_or_saveexec_b64 s[8:9], s[8:9]
                                        ; implicit-def: $sgpr10
	s_xor_b64 exec, exec, s[8:9]
	s_cbranch_execnz .LBB49_171
.LBB49_93:                              ;   in Loop: Header=BB49_65 Depth=1
	s_or_b64 exec, exec, s[8:9]
	v_mov_b32_e32 v9, s10
	s_and_saveexec_b64 s[8:9], s[6:7]
.LBB49_94:                              ;   in Loop: Header=BB49_65 Depth=1
	v_lshrrev_b32_e32 v9, 24, v16
	v_and_or_b32 v9, v9, s27, v17
.LBB49_95:                              ;   in Loop: Header=BB49_65 Depth=1
	s_or_b64 exec, exec, s[8:9]
.LBB49_96:                              ;   in Loop: Header=BB49_65 Depth=1
	s_or_b64 exec, exec, s[4:5]
	v_fma_mixlo_f16 v4, v36, v4, 0 op_sel:[0,1,0] op_sel_hi:[0,1,0]
	v_mul_f16_sdwa v4, v6, v4 dst_sel:DWORD dst_unused:UNUSED_PAD src0_sel:WORD_1 src1_sel:DWORD
	v_cvt_f32_f16_e32 v4, v4
	v_div_scale_f32 v6, s[4:5], v15, v15, v4
	v_rcp_f32_e32 v16, v6
	v_div_scale_f32 v17, vcc, v4, v15, v4
	v_fma_f32 v18, -v6, v16, 1.0
	v_fmac_f32_e32 v16, v18, v16
	v_mul_f32_e32 v18, v17, v16
	v_fma_f32 v19, -v6, v18, v17
	v_fmac_f32_e32 v18, v19, v16
	v_fma_f32 v6, -v6, v18, v17
	v_div_fmas_f32 v6, v6, v16, v18
	v_div_fixup_f32 v4, v6, v15, v4
	v_min_f32_e32 v4, 0x43600000, v4
	v_max_f32_e32 v4, 0xc3600000, v4
	v_and_b32_e32 v6, 0x7fffffff, v4
	v_cmp_gt_u32_e32 vcc, s23, v6
	s_and_saveexec_b64 s[4:5], vcc
	s_cbranch_execz .LBB49_102
; %bb.97:                               ;   in Loop: Header=BB49_65 Depth=1
	v_cmp_lt_u32_e32 vcc, s24, v6
	s_mov_b64 s[6:7], 0
                                        ; implicit-def: $vgpr6
	s_and_saveexec_b64 s[8:9], vcc
	s_xor_b64 s[8:9], exec, s[8:9]
	s_cbranch_execnz .LBB49_172
; %bb.98:                               ;   in Loop: Header=BB49_65 Depth=1
	s_or_saveexec_b64 s[8:9], s[8:9]
                                        ; implicit-def: $sgpr10
	s_xor_b64 exec, exec, s[8:9]
	s_cbranch_execnz .LBB49_173
.LBB49_99:                              ;   in Loop: Header=BB49_65 Depth=1
	s_or_b64 exec, exec, s[8:9]
	v_mov_b32_e32 v8, s10
	s_and_saveexec_b64 s[8:9], s[6:7]
.LBB49_100:                             ;   in Loop: Header=BB49_65 Depth=1
	v_lshrrev_b32_e32 v4, 24, v4
	v_and_or_b32 v8, v4, s27, v6
.LBB49_101:                             ;   in Loop: Header=BB49_65 Depth=1
	s_or_b64 exec, exec, s[8:9]
.LBB49_102:                             ;   in Loop: Header=BB49_65 Depth=1
	s_or_b64 exec, exec, s[4:5]
	v_fma_mixlo_f16 v4, v36, v5, 0 op_sel_hi:[0,1,0]
	v_mul_f16_e32 v4, v7, v4
	v_cvt_f32_f16_e32 v6, v4
	v_mov_b32_e32 v4, 0x80
	v_div_scale_f32 v16, s[4:5], v15, v15, v6
	v_rcp_f32_e32 v17, v16
	v_div_scale_f32 v18, vcc, v6, v15, v6
	v_fma_f32 v19, -v16, v17, 1.0
	v_fmac_f32_e32 v17, v19, v17
	v_mul_f32_e32 v19, v18, v17
	v_fma_f32 v20, -v16, v19, v18
	v_fmac_f32_e32 v19, v20, v17
	v_fma_f32 v16, -v16, v19, v18
	v_div_fmas_f32 v16, v16, v17, v19
	v_div_fixup_f32 v6, v16, v15, v6
	v_min_f32_e32 v6, 0x43600000, v6
	v_max_f32_e32 v16, 0xc3600000, v6
	v_and_b32_e32 v17, 0x7fffffff, v16
	v_cmp_gt_u32_e32 vcc, s23, v17
	v_mov_b32_e32 v6, 0x80
	s_and_saveexec_b64 s[4:5], vcc
	s_cbranch_execz .LBB49_108
; %bb.103:                              ;   in Loop: Header=BB49_65 Depth=1
	v_cmp_lt_u32_e32 vcc, s24, v17
	s_mov_b64 s[6:7], 0
                                        ; implicit-def: $vgpr17
	s_and_saveexec_b64 s[8:9], vcc
	s_xor_b64 s[8:9], exec, s[8:9]
	s_cbranch_execnz .LBB49_174
; %bb.104:                              ;   in Loop: Header=BB49_65 Depth=1
	s_or_saveexec_b64 s[8:9], s[8:9]
                                        ; implicit-def: $sgpr10
	s_xor_b64 exec, exec, s[8:9]
	s_cbranch_execnz .LBB49_175
.LBB49_105:                             ;   in Loop: Header=BB49_65 Depth=1
	s_or_b64 exec, exec, s[8:9]
	v_mov_b32_e32 v6, s10
	s_and_saveexec_b64 s[8:9], s[6:7]
.LBB49_106:                             ;   in Loop: Header=BB49_65 Depth=1
	v_lshrrev_b32_e32 v6, 24, v16
	v_and_or_b32 v6, v6, s27, v17
.LBB49_107:                             ;   in Loop: Header=BB49_65 Depth=1
	s_or_b64 exec, exec, s[8:9]
.LBB49_108:                             ;   in Loop: Header=BB49_65 Depth=1
	s_or_b64 exec, exec, s[4:5]
	v_fma_mixlo_f16 v5, v36, v5, 0 op_sel:[0,1,0] op_sel_hi:[0,1,0]
	v_mul_f16_sdwa v5, v7, v5 dst_sel:DWORD dst_unused:UNUSED_PAD src0_sel:WORD_1 src1_sel:DWORD
	v_cvt_f32_f16_e32 v5, v5
	v_div_scale_f32 v7, s[4:5], v15, v15, v5
	v_rcp_f32_e32 v16, v7
	v_div_scale_f32 v17, vcc, v5, v15, v5
	v_fma_f32 v18, -v7, v16, 1.0
	v_fmac_f32_e32 v16, v18, v16
	v_mul_f32_e32 v18, v17, v16
	v_fma_f32 v19, -v7, v18, v17
	v_fmac_f32_e32 v18, v19, v16
	v_fma_f32 v7, -v7, v18, v17
	v_div_fmas_f32 v7, v7, v16, v18
	v_div_fixup_f32 v5, v7, v15, v5
	v_min_f32_e32 v5, 0x43600000, v5
	v_max_f32_e32 v5, 0xc3600000, v5
	v_and_b32_e32 v7, 0x7fffffff, v5
	v_cmp_gt_u32_e32 vcc, s23, v7
	s_and_saveexec_b64 s[4:5], vcc
	s_cbranch_execz .LBB49_114
; %bb.109:                              ;   in Loop: Header=BB49_65 Depth=1
	v_cmp_lt_u32_e32 vcc, s24, v7
	s_mov_b64 s[6:7], 0
                                        ; implicit-def: $vgpr7
	s_and_saveexec_b64 s[8:9], vcc
	s_xor_b64 s[8:9], exec, s[8:9]
	s_cbranch_execnz .LBB49_176
; %bb.110:                              ;   in Loop: Header=BB49_65 Depth=1
	s_or_saveexec_b64 s[8:9], s[8:9]
                                        ; implicit-def: $sgpr10
	s_xor_b64 exec, exec, s[8:9]
	s_cbranch_execnz .LBB49_177
.LBB49_111:                             ;   in Loop: Header=BB49_65 Depth=1
	s_or_b64 exec, exec, s[8:9]
	v_mov_b32_e32 v4, s10
	s_and_saveexec_b64 s[8:9], s[6:7]
.LBB49_112:                             ;   in Loop: Header=BB49_65 Depth=1
	v_lshrrev_b32_e32 v4, 24, v5
	v_and_or_b32 v4, v4, s27, v7
.LBB49_113:                             ;   in Loop: Header=BB49_65 Depth=1
	s_or_b64 exec, exec, s[8:9]
.LBB49_114:                             ;   in Loop: Header=BB49_65 Depth=1
	s_or_b64 exec, exec, s[4:5]
	v_lshlrev_b64 v[16:17], 2, v[2:3]
	v_mov_b32_e32 v3, s18
	v_add_co_u32_e32 v16, vcc, s13, v16
	v_addc_co_u32_e32 v17, vcc, v3, v17, vcc
	v_lshlrev_b32_e32 v3, 16, v6
	v_perm_b32 v3, v4, v3, s28
	v_lshlrev_b32_e32 v4, 8, v8
	v_and_b32_e32 v4, 0xff00, v4
	v_and_b32_e32 v5, 0xff, v9
	v_or3_b32 v3, v3, v4, v5
	v_add_u32_e32 v4, s22, v0
	v_cmp_gt_u32_e32 vcc, s12, v4
	s_mov_b64 s[6:7], -1
	global_store_dword v[16:17], v3, off
	s_and_saveexec_b64 s[4:5], vcc
	s_cbranch_execz .LBB49_63
; %bb.115:                              ;   in Loop: Header=BB49_65 Depth=1
	v_mov_b32_e32 v5, v1
	v_lshlrev_b64 v[8:9], 3, v[4:5]
	v_mov_b32_e32 v3, s44
	v_add_co_u32_e32 v6, vcc, s33, v8
	v_addc_co_u32_e32 v7, vcc, v3, v9, vcc
	v_mov_b32_e32 v3, s15
	v_add_co_u32_e32 v8, vcc, s14, v8
	v_addc_co_u32_e32 v9, vcc, v3, v9, vcc
	v_bfe_u32 v3, v4, 5, 25
	v_mad_u64_u32 v[16:17], s[6:7], v10, v3, 0
	global_load_dwordx2 v[6:7], v[6:7], off
	v_mov_b32_e32 v18, v17
	global_load_dwordx2 v[8:9], v[8:9], off
	v_mad_u64_u32 v[18:19], s[6:7], v11, v3, v[18:19]
	v_mov_b32_e32 v17, v18
	v_lshlrev_b64 v[16:17], 2, v[16:17]
	v_mov_b32_e32 v3, s20
	v_add_co_u32_e32 v16, vcc, s19, v16
	v_addc_co_u32_e32 v17, vcc, v3, v17, vcc
	global_load_dword v16, v[16:17], off
	s_waitcnt vmcnt(2)
	v_fma_mixlo_f16 v3, v36, v6, 0 op_sel_hi:[0,1,0]
	s_waitcnt vmcnt(1)
	v_mul_f16_e32 v3, v8, v3
	v_cvt_f32_f16_e32 v15, v3
	v_mov_b32_e32 v3, 0x80
	s_waitcnt vmcnt(0)
	v_div_scale_f32 v17, s[6:7], v16, v16, v15
	v_rcp_f32_e32 v18, v17
	v_div_scale_f32 v19, vcc, v15, v16, v15
	v_fma_f32 v20, -v17, v18, 1.0
	v_fmac_f32_e32 v18, v20, v18
	v_mul_f32_e32 v20, v19, v18
	v_fma_f32 v21, -v17, v20, v19
	v_fmac_f32_e32 v20, v21, v18
	v_fma_f32 v17, -v17, v20, v19
	v_div_fmas_f32 v17, v17, v18, v20
	v_div_fixup_f32 v15, v17, v16, v15
	v_min_f32_e32 v15, 0x43600000, v15
	v_max_f32_e32 v17, 0xc3600000, v15
	v_and_b32_e32 v18, 0x7fffffff, v17
	v_cmp_gt_u32_e32 vcc, s23, v18
	v_mov_b32_e32 v15, 0x80
	s_and_saveexec_b64 s[6:7], vcc
	s_cbranch_execz .LBB49_121
; %bb.116:                              ;   in Loop: Header=BB49_65 Depth=1
	v_cmp_lt_u32_e32 vcc, s24, v18
	s_mov_b64 s[8:9], 0
                                        ; implicit-def: $vgpr18
	s_and_saveexec_b64 s[10:11], vcc
	s_xor_b64 s[10:11], exec, s[10:11]
	s_cbranch_execnz .LBB49_178
; %bb.117:                              ;   in Loop: Header=BB49_65 Depth=1
	s_or_saveexec_b64 s[10:11], s[10:11]
                                        ; implicit-def: $sgpr16
	s_xor_b64 exec, exec, s[10:11]
	s_cbranch_execnz .LBB49_179
.LBB49_118:                             ;   in Loop: Header=BB49_65 Depth=1
	s_or_b64 exec, exec, s[10:11]
	v_mov_b32_e32 v15, s16
	s_and_saveexec_b64 s[10:11], s[8:9]
.LBB49_119:                             ;   in Loop: Header=BB49_65 Depth=1
	v_lshrrev_b32_e32 v15, 24, v17
	v_and_or_b32 v15, v15, s27, v18
.LBB49_120:                             ;   in Loop: Header=BB49_65 Depth=1
	s_or_b64 exec, exec, s[10:11]
.LBB49_121:                             ;   in Loop: Header=BB49_65 Depth=1
	s_or_b64 exec, exec, s[6:7]
	v_fma_mixlo_f16 v6, v36, v6, 0 op_sel:[0,1,0] op_sel_hi:[0,1,0]
	v_mul_f16_sdwa v6, v8, v6 dst_sel:DWORD dst_unused:UNUSED_PAD src0_sel:WORD_1 src1_sel:DWORD
	v_cvt_f32_f16_e32 v6, v6
	v_div_scale_f32 v8, s[6:7], v16, v16, v6
	v_rcp_f32_e32 v17, v8
	v_div_scale_f32 v18, vcc, v6, v16, v6
	v_fma_f32 v19, -v8, v17, 1.0
	v_fmac_f32_e32 v17, v19, v17
	v_mul_f32_e32 v19, v18, v17
	v_fma_f32 v20, -v8, v19, v18
	v_fmac_f32_e32 v19, v20, v17
	v_fma_f32 v8, -v8, v19, v18
	v_div_fmas_f32 v8, v8, v17, v19
	v_div_fixup_f32 v6, v8, v16, v6
	v_min_f32_e32 v6, 0x43600000, v6
	v_max_f32_e32 v6, 0xc3600000, v6
	v_and_b32_e32 v8, 0x7fffffff, v6
	v_cmp_gt_u32_e32 vcc, s23, v8
	s_and_saveexec_b64 s[6:7], vcc
	s_cbranch_execz .LBB49_127
; %bb.122:                              ;   in Loop: Header=BB49_65 Depth=1
	v_cmp_lt_u32_e32 vcc, s24, v8
	s_mov_b64 s[8:9], 0
                                        ; implicit-def: $vgpr8
	s_and_saveexec_b64 s[10:11], vcc
	s_xor_b64 s[10:11], exec, s[10:11]
	s_cbranch_execnz .LBB49_180
; %bb.123:                              ;   in Loop: Header=BB49_65 Depth=1
	s_or_saveexec_b64 s[10:11], s[10:11]
                                        ; implicit-def: $sgpr16
	s_xor_b64 exec, exec, s[10:11]
	s_cbranch_execnz .LBB49_181
.LBB49_124:                             ;   in Loop: Header=BB49_65 Depth=1
	s_or_b64 exec, exec, s[10:11]
	v_mov_b32_e32 v3, s16
	s_and_saveexec_b64 s[10:11], s[8:9]
.LBB49_125:                             ;   in Loop: Header=BB49_65 Depth=1
	v_lshrrev_b32_e32 v3, 24, v6
	v_and_or_b32 v3, v3, s27, v8
.LBB49_126:                             ;   in Loop: Header=BB49_65 Depth=1
	s_or_b64 exec, exec, s[10:11]
.LBB49_127:                             ;   in Loop: Header=BB49_65 Depth=1
	s_or_b64 exec, exec, s[6:7]
	v_fma_mixlo_f16 v6, v36, v7, 0 op_sel_hi:[0,1,0]
	v_mul_f16_e32 v6, v9, v6
	v_cvt_f32_f16_e32 v8, v6
	v_mov_b32_e32 v6, 0x80
	v_div_scale_f32 v17, s[6:7], v16, v16, v8
	v_rcp_f32_e32 v18, v17
	v_div_scale_f32 v19, vcc, v8, v16, v8
	v_fma_f32 v20, -v17, v18, 1.0
	v_fmac_f32_e32 v18, v20, v18
	v_mul_f32_e32 v20, v19, v18
	v_fma_f32 v21, -v17, v20, v19
	v_fmac_f32_e32 v20, v21, v18
	v_fma_f32 v17, -v17, v20, v19
	v_div_fmas_f32 v17, v17, v18, v20
	v_div_fixup_f32 v8, v17, v16, v8
	v_min_f32_e32 v8, 0x43600000, v8
	v_max_f32_e32 v17, 0xc3600000, v8
	v_and_b32_e32 v18, 0x7fffffff, v17
	v_cmp_gt_u32_e32 vcc, s23, v18
	v_mov_b32_e32 v8, 0x80
	s_and_saveexec_b64 s[6:7], vcc
	s_cbranch_execz .LBB49_133
; %bb.128:                              ;   in Loop: Header=BB49_65 Depth=1
	v_cmp_lt_u32_e32 vcc, s24, v18
	s_mov_b64 s[8:9], 0
                                        ; implicit-def: $vgpr18
	s_and_saveexec_b64 s[10:11], vcc
	s_xor_b64 s[10:11], exec, s[10:11]
	s_cbranch_execnz .LBB49_182
; %bb.129:                              ;   in Loop: Header=BB49_65 Depth=1
	s_or_saveexec_b64 s[10:11], s[10:11]
                                        ; implicit-def: $sgpr16
	s_xor_b64 exec, exec, s[10:11]
	s_cbranch_execnz .LBB49_183
.LBB49_130:                             ;   in Loop: Header=BB49_65 Depth=1
	s_or_b64 exec, exec, s[10:11]
	v_mov_b32_e32 v8, s16
	s_and_saveexec_b64 s[10:11], s[8:9]
.LBB49_131:                             ;   in Loop: Header=BB49_65 Depth=1
	v_lshrrev_b32_e32 v8, 24, v17
	v_and_or_b32 v8, v8, s27, v18
.LBB49_132:                             ;   in Loop: Header=BB49_65 Depth=1
	s_or_b64 exec, exec, s[10:11]
.LBB49_133:                             ;   in Loop: Header=BB49_65 Depth=1
	s_or_b64 exec, exec, s[6:7]
	v_fma_mixlo_f16 v7, v36, v7, 0 op_sel:[0,1,0] op_sel_hi:[0,1,0]
	v_mul_f16_sdwa v7, v9, v7 dst_sel:DWORD dst_unused:UNUSED_PAD src0_sel:WORD_1 src1_sel:DWORD
	v_cvt_f32_f16_e32 v7, v7
	v_div_scale_f32 v9, s[6:7], v16, v16, v7
	v_rcp_f32_e32 v17, v9
	v_div_scale_f32 v18, vcc, v7, v16, v7
	v_fma_f32 v19, -v9, v17, 1.0
	v_fmac_f32_e32 v17, v19, v17
	v_mul_f32_e32 v19, v18, v17
	v_fma_f32 v20, -v9, v19, v18
	v_fmac_f32_e32 v19, v20, v17
	v_fma_f32 v9, -v9, v19, v18
	v_div_fmas_f32 v9, v9, v17, v19
	v_div_fixup_f32 v7, v9, v16, v7
	v_min_f32_e32 v7, 0x43600000, v7
	v_max_f32_e32 v7, 0xc3600000, v7
	v_and_b32_e32 v9, 0x7fffffff, v7
	v_cmp_gt_u32_e32 vcc, s23, v9
	s_and_saveexec_b64 s[6:7], vcc
	s_cbranch_execz .LBB49_139
; %bb.134:                              ;   in Loop: Header=BB49_65 Depth=1
	v_cmp_lt_u32_e32 vcc, s24, v9
	s_mov_b64 s[8:9], 0
                                        ; implicit-def: $vgpr9
	s_and_saveexec_b64 s[10:11], vcc
	s_xor_b64 s[10:11], exec, s[10:11]
	s_cbranch_execnz .LBB49_184
; %bb.135:                              ;   in Loop: Header=BB49_65 Depth=1
	s_or_saveexec_b64 s[10:11], s[10:11]
                                        ; implicit-def: $sgpr16
	s_xor_b64 exec, exec, s[10:11]
	s_cbranch_execnz .LBB49_185
.LBB49_136:                             ;   in Loop: Header=BB49_65 Depth=1
	s_or_b64 exec, exec, s[10:11]
	v_mov_b32_e32 v6, s16
	s_and_saveexec_b64 s[10:11], s[8:9]
.LBB49_137:                             ;   in Loop: Header=BB49_65 Depth=1
	v_lshrrev_b32_e32 v6, 24, v7
	v_and_or_b32 v6, v6, s27, v9
.LBB49_138:                             ;   in Loop: Header=BB49_65 Depth=1
	s_or_b64 exec, exec, s[10:11]
.LBB49_139:                             ;   in Loop: Header=BB49_65 Depth=1
	s_or_b64 exec, exec, s[6:7]
	v_lshlrev_b64 v[4:5], 2, v[4:5]
	v_mov_b32_e32 v7, s18
	v_add_co_u32_e32 v4, vcc, s13, v4
	v_addc_co_u32_e32 v5, vcc, v7, v5, vcc
	v_lshlrev_b32_e32 v7, 16, v8
	v_lshlrev_b32_e32 v3, 8, v3
	v_perm_b32 v6, v6, v7, s28
	v_and_b32_e32 v3, 0xff00, v3
	v_and_b32_e32 v7, 0xff, v15
	v_add_u32_e32 v0, s21, v0
	v_or3_b32 v3, v6, v3, v7
	v_cmp_gt_u32_e32 vcc, s12, v0
	s_mov_b64 s[8:9], -1
	global_store_dword v[4:5], v3, off
	s_and_saveexec_b64 s[6:7], vcc
	s_cbranch_execz .LBB49_62
; %bb.140:                              ;   in Loop: Header=BB49_65 Depth=1
	v_lshlrev_b64 v[6:7], 3, v[0:1]
	v_mov_b32_e32 v3, s44
	v_add_co_u32_e32 v4, vcc, s33, v6
	v_addc_co_u32_e32 v5, vcc, v3, v7, vcc
	v_mov_b32_e32 v3, s15
	v_add_co_u32_e32 v6, vcc, s14, v6
	v_addc_co_u32_e32 v7, vcc, v3, v7, vcc
	v_bfe_u32 v3, v0, 5, 25
	v_mad_u64_u32 v[8:9], s[8:9], v10, v3, 0
	global_load_dwordx2 v[4:5], v[4:5], off
	v_mov_b32_e32 v16, v9
	global_load_dwordx2 v[6:7], v[6:7], off
	v_mad_u64_u32 v[16:17], s[8:9], v11, v3, v[16:17]
	v_mov_b32_e32 v9, v16
	v_lshlrev_b64 v[8:9], 2, v[8:9]
	v_mov_b32_e32 v3, s20
	v_add_co_u32_e32 v8, vcc, s19, v8
	v_addc_co_u32_e32 v9, vcc, v3, v9, vcc
	global_load_dword v9, v[8:9], off
	s_waitcnt vmcnt(2)
	v_fma_mixlo_f16 v3, v36, v4, 0 op_sel_hi:[0,1,0]
	s_waitcnt vmcnt(1)
	v_mul_f16_e32 v3, v6, v3
	v_cvt_f32_f16_e32 v8, v3
	v_mov_b32_e32 v3, 0x80
	s_waitcnt vmcnt(0)
	v_div_scale_f32 v15, s[8:9], v9, v9, v8
	v_rcp_f32_e32 v16, v15
	v_div_scale_f32 v17, vcc, v8, v9, v8
	v_fma_f32 v18, -v15, v16, 1.0
	v_fmac_f32_e32 v16, v18, v16
	v_mul_f32_e32 v18, v17, v16
	v_fma_f32 v19, -v15, v18, v17
	v_fmac_f32_e32 v18, v19, v16
	v_fma_f32 v15, -v15, v18, v17
	v_div_fmas_f32 v15, v15, v16, v18
	v_div_fixup_f32 v8, v15, v9, v8
	v_min_f32_e32 v8, 0x43600000, v8
	v_max_f32_e32 v15, 0xc3600000, v8
	v_and_b32_e32 v16, 0x7fffffff, v15
	v_cmp_gt_u32_e32 vcc, s23, v16
	v_mov_b32_e32 v8, 0x80
	s_and_saveexec_b64 s[8:9], vcc
	s_cbranch_execz .LBB49_146
; %bb.141:                              ;   in Loop: Header=BB49_65 Depth=1
	v_cmp_lt_u32_e32 vcc, s24, v16
	s_mov_b64 s[10:11], 0
                                        ; implicit-def: $vgpr16
	s_and_saveexec_b64 s[16:17], vcc
	s_xor_b64 s[16:17], exec, s[16:17]
	s_cbranch_execnz .LBB49_186
; %bb.142:                              ;   in Loop: Header=BB49_65 Depth=1
	s_or_saveexec_b64 s[16:17], s[16:17]
                                        ; implicit-def: $sgpr29
	s_xor_b64 exec, exec, s[16:17]
	s_cbranch_execnz .LBB49_187
.LBB49_143:                             ;   in Loop: Header=BB49_65 Depth=1
	s_or_b64 exec, exec, s[16:17]
	v_mov_b32_e32 v8, s29
	s_and_saveexec_b64 s[16:17], s[10:11]
.LBB49_144:                             ;   in Loop: Header=BB49_65 Depth=1
	v_lshrrev_b32_e32 v8, 24, v15
	v_and_or_b32 v8, v8, s27, v16
.LBB49_145:                             ;   in Loop: Header=BB49_65 Depth=1
	s_or_b64 exec, exec, s[16:17]
.LBB49_146:                             ;   in Loop: Header=BB49_65 Depth=1
	s_or_b64 exec, exec, s[8:9]
	v_fma_mixlo_f16 v4, v36, v4, 0 op_sel:[0,1,0] op_sel_hi:[0,1,0]
	v_mul_f16_sdwa v4, v6, v4 dst_sel:DWORD dst_unused:UNUSED_PAD src0_sel:WORD_1 src1_sel:DWORD
	v_cvt_f32_f16_e32 v4, v4
	v_div_scale_f32 v6, s[8:9], v9, v9, v4
	v_rcp_f32_e32 v15, v6
	v_div_scale_f32 v16, vcc, v4, v9, v4
	v_fma_f32 v17, -v6, v15, 1.0
	v_fmac_f32_e32 v15, v17, v15
	v_mul_f32_e32 v17, v16, v15
	v_fma_f32 v18, -v6, v17, v16
	v_fmac_f32_e32 v17, v18, v15
	v_fma_f32 v6, -v6, v17, v16
	v_div_fmas_f32 v6, v6, v15, v17
	v_div_fixup_f32 v4, v6, v9, v4
	v_min_f32_e32 v4, 0x43600000, v4
	v_max_f32_e32 v4, 0xc3600000, v4
	v_and_b32_e32 v6, 0x7fffffff, v4
	v_cmp_gt_u32_e32 vcc, s23, v6
	s_and_saveexec_b64 s[8:9], vcc
	s_cbranch_execz .LBB49_152
; %bb.147:                              ;   in Loop: Header=BB49_65 Depth=1
	v_cmp_lt_u32_e32 vcc, s24, v6
	s_mov_b64 s[10:11], 0
                                        ; implicit-def: $vgpr6
	s_and_saveexec_b64 s[16:17], vcc
	s_xor_b64 s[16:17], exec, s[16:17]
	s_cbranch_execnz .LBB49_188
; %bb.148:                              ;   in Loop: Header=BB49_65 Depth=1
	s_or_saveexec_b64 s[16:17], s[16:17]
                                        ; implicit-def: $sgpr29
	s_xor_b64 exec, exec, s[16:17]
	s_cbranch_execnz .LBB49_189
.LBB49_149:                             ;   in Loop: Header=BB49_65 Depth=1
	s_or_b64 exec, exec, s[16:17]
	v_mov_b32_e32 v3, s29
	s_and_saveexec_b64 s[16:17], s[10:11]
.LBB49_150:                             ;   in Loop: Header=BB49_65 Depth=1
	v_lshrrev_b32_e32 v3, 24, v4
	v_and_or_b32 v3, v3, s27, v6
.LBB49_151:                             ;   in Loop: Header=BB49_65 Depth=1
	s_or_b64 exec, exec, s[16:17]
.LBB49_152:                             ;   in Loop: Header=BB49_65 Depth=1
	s_or_b64 exec, exec, s[8:9]
	v_fma_mixlo_f16 v4, v36, v5, 0 op_sel_hi:[0,1,0]
	v_mul_f16_e32 v4, v7, v4
	v_cvt_f32_f16_e32 v6, v4
	v_mov_b32_e32 v4, 0x80
	v_div_scale_f32 v15, s[8:9], v9, v9, v6
	v_rcp_f32_e32 v16, v15
	v_div_scale_f32 v17, vcc, v6, v9, v6
	v_fma_f32 v18, -v15, v16, 1.0
	v_fmac_f32_e32 v16, v18, v16
	v_mul_f32_e32 v18, v17, v16
	v_fma_f32 v19, -v15, v18, v17
	v_fmac_f32_e32 v18, v19, v16
	v_fma_f32 v15, -v15, v18, v17
	v_div_fmas_f32 v15, v15, v16, v18
	v_div_fixup_f32 v6, v15, v9, v6
	v_min_f32_e32 v6, 0x43600000, v6
	v_max_f32_e32 v15, 0xc3600000, v6
	v_and_b32_e32 v16, 0x7fffffff, v15
	v_cmp_gt_u32_e32 vcc, s23, v16
	v_mov_b32_e32 v6, 0x80
	s_and_saveexec_b64 s[8:9], vcc
	s_cbranch_execz .LBB49_158
; %bb.153:                              ;   in Loop: Header=BB49_65 Depth=1
	v_cmp_lt_u32_e32 vcc, s24, v16
	s_mov_b64 s[10:11], 0
                                        ; implicit-def: $vgpr16
	s_and_saveexec_b64 s[16:17], vcc
	s_xor_b64 s[16:17], exec, s[16:17]
	s_cbranch_execnz .LBB49_190
; %bb.154:                              ;   in Loop: Header=BB49_65 Depth=1
	s_or_saveexec_b64 s[16:17], s[16:17]
                                        ; implicit-def: $sgpr29
	s_xor_b64 exec, exec, s[16:17]
	s_cbranch_execnz .LBB49_191
.LBB49_155:                             ;   in Loop: Header=BB49_65 Depth=1
	s_or_b64 exec, exec, s[16:17]
	v_mov_b32_e32 v6, s29
	s_and_saveexec_b64 s[16:17], s[10:11]
.LBB49_156:                             ;   in Loop: Header=BB49_65 Depth=1
	v_lshrrev_b32_e32 v6, 24, v15
	v_and_or_b32 v6, v6, s27, v16
.LBB49_157:                             ;   in Loop: Header=BB49_65 Depth=1
	s_or_b64 exec, exec, s[16:17]
.LBB49_158:                             ;   in Loop: Header=BB49_65 Depth=1
	s_or_b64 exec, exec, s[8:9]
	v_fma_mixlo_f16 v5, v36, v5, 0 op_sel:[0,1,0] op_sel_hi:[0,1,0]
	v_mul_f16_sdwa v5, v7, v5 dst_sel:DWORD dst_unused:UNUSED_PAD src0_sel:WORD_1 src1_sel:DWORD
	v_cvt_f32_f16_e32 v5, v5
	v_div_scale_f32 v7, s[8:9], v9, v9, v5
	v_rcp_f32_e32 v15, v7
	v_div_scale_f32 v16, vcc, v5, v9, v5
	v_fma_f32 v17, -v7, v15, 1.0
	v_fmac_f32_e32 v15, v17, v15
	v_mul_f32_e32 v17, v16, v15
	v_fma_f32 v18, -v7, v17, v16
	v_fmac_f32_e32 v17, v18, v15
	v_fma_f32 v7, -v7, v17, v16
	v_div_fmas_f32 v7, v7, v15, v17
	v_div_fixup_f32 v5, v7, v9, v5
	v_min_f32_e32 v5, 0x43600000, v5
	v_max_f32_e32 v5, 0xc3600000, v5
	v_and_b32_e32 v7, 0x7fffffff, v5
	v_cmp_gt_u32_e32 vcc, s23, v7
	s_and_saveexec_b64 s[8:9], vcc
	s_cbranch_execz .LBB49_61
; %bb.159:                              ;   in Loop: Header=BB49_65 Depth=1
	v_cmp_lt_u32_e32 vcc, s24, v7
	s_mov_b64 s[10:11], 0
                                        ; implicit-def: $vgpr7
	s_and_saveexec_b64 s[16:17], vcc
	s_xor_b64 s[16:17], exec, s[16:17]
	s_cbranch_execnz .LBB49_192
; %bb.160:                              ;   in Loop: Header=BB49_65 Depth=1
	s_or_saveexec_b64 s[16:17], s[16:17]
                                        ; implicit-def: $sgpr29
	s_xor_b64 exec, exec, s[16:17]
	s_cbranch_execnz .LBB49_193
.LBB49_161:                             ;   in Loop: Header=BB49_65 Depth=1
	s_or_b64 exec, exec, s[16:17]
	v_mov_b32_e32 v4, s29
	s_and_saveexec_b64 s[16:17], s[10:11]
	s_cbranch_execz .LBB49_60
	s_branch .LBB49_194
.LBB49_162:                             ;   in Loop: Header=BB49_65 Depth=1
	v_bfe_u32 v8, v9, 20, 1
	v_add3_u32 v8, v9, v8, s25
	s_mov_b64 s[4:5], exec
	v_lshrrev_b32_e32 v15, 20, v8
	s_or_saveexec_b64 s[6:7], s[6:7]
                                        ; implicit-def: $sgpr8
	s_xor_b64 exec, exec, s[6:7]
	s_cbranch_execz .LBB49_68
.LBB49_163:                             ;   in Loop: Header=BB49_65 Depth=1
	v_add_f32_e64 v8, |v9|, s26
	v_and_b32_e32 v15, 0xff, v8
	v_cmp_ne_u32_e32 vcc, 0, v15
	s_andn2_b64 s[4:5], s[4:5], exec
	s_and_b64 s[10:11], vcc, exec
	s_mov_b32 s8, 0
	s_or_b64 s[4:5], s[4:5], s[10:11]
	s_or_b64 exec, exec, s[6:7]
	v_mov_b32_e32 v8, s8
	s_and_saveexec_b64 s[6:7], s[4:5]
	s_cbranch_execnz .LBB49_69
	s_branch .LBB49_70
.LBB49_164:                             ;   in Loop: Header=BB49_65 Depth=1
	v_bfe_u32 v4, v2, 20, 1
	v_add3_u32 v4, v2, v4, s25
	s_mov_b64 s[4:5], exec
	v_lshrrev_b32_e32 v4, 20, v4
	s_or_saveexec_b64 s[6:7], s[6:7]
                                        ; implicit-def: $sgpr8
	s_xor_b64 exec, exec, s[6:7]
	s_cbranch_execz .LBB49_74
.LBB49_165:                             ;   in Loop: Header=BB49_65 Depth=1
	v_add_f32_e64 v4, |v2|, s26
	v_and_b32_e32 v4, 0xff, v4
	v_cmp_ne_u32_e32 vcc, 0, v4
	s_andn2_b64 s[4:5], s[4:5], exec
	s_and_b64 s[10:11], vcc, exec
	s_mov_b32 s8, 0
	s_or_b64 s[4:5], s[4:5], s[10:11]
	s_or_b64 exec, exec, s[6:7]
	v_mov_b32_e32 v6, s8
	s_and_saveexec_b64 s[6:7], s[4:5]
	s_cbranch_execnz .LBB49_75
	s_branch .LBB49_76
.LBB49_166:                             ;   in Loop: Header=BB49_65 Depth=1
	v_bfe_u32 v4, v9, 20, 1
	v_add3_u32 v4, v9, v4, s25
	s_mov_b64 s[4:5], exec
	v_lshrrev_b32_e32 v15, 20, v4
	s_or_saveexec_b64 s[6:7], s[6:7]
                                        ; implicit-def: $sgpr8
	s_xor_b64 exec, exec, s[6:7]
	s_cbranch_execz .LBB49_80
.LBB49_167:                             ;   in Loop: Header=BB49_65 Depth=1
	v_add_f32_e64 v4, |v9|, s26
	v_and_b32_e32 v15, 0xff, v4
	v_cmp_ne_u32_e32 vcc, 0, v15
	s_andn2_b64 s[4:5], s[4:5], exec
	s_and_b64 s[10:11], vcc, exec
	s_mov_b32 s8, 0
	s_or_b64 s[4:5], s[4:5], s[10:11]
	s_or_b64 exec, exec, s[6:7]
	v_mov_b32_e32 v4, s8
	s_and_saveexec_b64 s[6:7], s[4:5]
	s_cbranch_execnz .LBB49_81
	s_branch .LBB49_82
.LBB49_168:                             ;   in Loop: Header=BB49_65 Depth=1
	v_bfe_u32 v2, v3, 20, 1
	v_add3_u32 v2, v3, v2, s25
	s_mov_b64 s[4:5], exec
	v_lshrrev_b32_e32 v5, 20, v2
	s_or_saveexec_b64 s[6:7], s[6:7]
                                        ; implicit-def: $sgpr8
	s_xor_b64 exec, exec, s[6:7]
	s_cbranch_execz .LBB49_86
.LBB49_169:                             ;   in Loop: Header=BB49_65 Depth=1
	v_add_f32_e64 v2, |v3|, s26
	v_and_b32_e32 v5, 0xff, v2
	v_cmp_ne_u32_e32 vcc, 0, v5
	s_andn2_b64 s[4:5], s[4:5], exec
	s_and_b64 s[10:11], vcc, exec
	s_mov_b32 s8, 0
	s_or_b64 s[4:5], s[4:5], s[10:11]
	s_or_b64 exec, exec, s[6:7]
	v_mov_b32_e32 v2, s8
	s_and_saveexec_b64 s[6:7], s[4:5]
	s_cbranch_execnz .LBB49_87
	s_branch .LBB49_88
.LBB49_170:                             ;   in Loop: Header=BB49_65 Depth=1
	v_bfe_u32 v9, v16, 20, 1
	v_add3_u32 v9, v16, v9, s25
	s_mov_b64 s[6:7], exec
	v_lshrrev_b32_e32 v17, 20, v9
	s_or_saveexec_b64 s[8:9], s[8:9]
                                        ; implicit-def: $sgpr10
	s_xor_b64 exec, exec, s[8:9]
	s_cbranch_execz .LBB49_93
.LBB49_171:                             ;   in Loop: Header=BB49_65 Depth=1
	v_add_f32_e64 v9, |v16|, s26
	v_and_b32_e32 v17, 0xff, v9
	v_cmp_ne_u32_e32 vcc, 0, v17
	s_andn2_b64 s[6:7], s[6:7], exec
	s_and_b64 s[16:17], vcc, exec
	s_mov_b32 s10, 0
	s_or_b64 s[6:7], s[6:7], s[16:17]
	s_or_b64 exec, exec, s[8:9]
	v_mov_b32_e32 v9, s10
	s_and_saveexec_b64 s[8:9], s[6:7]
	s_cbranch_execnz .LBB49_94
	s_branch .LBB49_95
.LBB49_172:                             ;   in Loop: Header=BB49_65 Depth=1
	v_bfe_u32 v6, v4, 20, 1
	v_add3_u32 v6, v4, v6, s25
	s_mov_b64 s[6:7], exec
	v_lshrrev_b32_e32 v6, 20, v6
	s_or_saveexec_b64 s[8:9], s[8:9]
                                        ; implicit-def: $sgpr10
	s_xor_b64 exec, exec, s[8:9]
	s_cbranch_execz .LBB49_99
.LBB49_173:                             ;   in Loop: Header=BB49_65 Depth=1
	v_add_f32_e64 v6, |v4|, s26
	v_and_b32_e32 v6, 0xff, v6
	v_cmp_ne_u32_e32 vcc, 0, v6
	s_andn2_b64 s[6:7], s[6:7], exec
	s_and_b64 s[16:17], vcc, exec
	s_mov_b32 s10, 0
	s_or_b64 s[6:7], s[6:7], s[16:17]
	s_or_b64 exec, exec, s[8:9]
	v_mov_b32_e32 v8, s10
	s_and_saveexec_b64 s[8:9], s[6:7]
	s_cbranch_execnz .LBB49_100
	s_branch .LBB49_101
.LBB49_174:                             ;   in Loop: Header=BB49_65 Depth=1
	v_bfe_u32 v6, v16, 20, 1
	v_add3_u32 v6, v16, v6, s25
	s_mov_b64 s[6:7], exec
	v_lshrrev_b32_e32 v17, 20, v6
	s_or_saveexec_b64 s[8:9], s[8:9]
                                        ; implicit-def: $sgpr10
	s_xor_b64 exec, exec, s[8:9]
	s_cbranch_execz .LBB49_105
.LBB49_175:                             ;   in Loop: Header=BB49_65 Depth=1
	v_add_f32_e64 v6, |v16|, s26
	v_and_b32_e32 v17, 0xff, v6
	v_cmp_ne_u32_e32 vcc, 0, v17
	s_andn2_b64 s[6:7], s[6:7], exec
	s_and_b64 s[16:17], vcc, exec
	s_mov_b32 s10, 0
	s_or_b64 s[6:7], s[6:7], s[16:17]
	s_or_b64 exec, exec, s[8:9]
	v_mov_b32_e32 v6, s10
	s_and_saveexec_b64 s[8:9], s[6:7]
	s_cbranch_execnz .LBB49_106
	s_branch .LBB49_107
.LBB49_176:                             ;   in Loop: Header=BB49_65 Depth=1
	v_bfe_u32 v4, v5, 20, 1
	v_add3_u32 v4, v5, v4, s25
	s_mov_b64 s[6:7], exec
	v_lshrrev_b32_e32 v7, 20, v4
	s_or_saveexec_b64 s[8:9], s[8:9]
                                        ; implicit-def: $sgpr10
	s_xor_b64 exec, exec, s[8:9]
	s_cbranch_execz .LBB49_111
.LBB49_177:                             ;   in Loop: Header=BB49_65 Depth=1
	v_add_f32_e64 v4, |v5|, s26
	v_and_b32_e32 v7, 0xff, v4
	v_cmp_ne_u32_e32 vcc, 0, v7
	s_andn2_b64 s[6:7], s[6:7], exec
	s_and_b64 s[16:17], vcc, exec
	s_mov_b32 s10, 0
	s_or_b64 s[6:7], s[6:7], s[16:17]
	s_or_b64 exec, exec, s[8:9]
	v_mov_b32_e32 v4, s10
	s_and_saveexec_b64 s[8:9], s[6:7]
	s_cbranch_execnz .LBB49_112
	s_branch .LBB49_113
.LBB49_178:                             ;   in Loop: Header=BB49_65 Depth=1
	v_bfe_u32 v15, v17, 20, 1
	v_add3_u32 v15, v17, v15, s25
	s_mov_b64 s[8:9], exec
	v_lshrrev_b32_e32 v18, 20, v15
	s_or_saveexec_b64 s[10:11], s[10:11]
                                        ; implicit-def: $sgpr16
	s_xor_b64 exec, exec, s[10:11]
	s_cbranch_execz .LBB49_118
.LBB49_179:                             ;   in Loop: Header=BB49_65 Depth=1
	v_add_f32_e64 v15, |v17|, s26
	v_and_b32_e32 v18, 0xff, v15
	v_cmp_ne_u32_e32 vcc, 0, v18
	s_andn2_b64 s[8:9], s[8:9], exec
	s_and_b64 s[30:31], vcc, exec
	s_mov_b32 s16, 0
	s_or_b64 s[8:9], s[8:9], s[30:31]
	s_or_b64 exec, exec, s[10:11]
	v_mov_b32_e32 v15, s16
	s_and_saveexec_b64 s[10:11], s[8:9]
	s_cbranch_execnz .LBB49_119
	s_branch .LBB49_120
.LBB49_180:                             ;   in Loop: Header=BB49_65 Depth=1
	v_bfe_u32 v3, v6, 20, 1
	v_add3_u32 v3, v6, v3, s25
	s_mov_b64 s[8:9], exec
	v_lshrrev_b32_e32 v8, 20, v3
	s_or_saveexec_b64 s[10:11], s[10:11]
                                        ; implicit-def: $sgpr16
	s_xor_b64 exec, exec, s[10:11]
	s_cbranch_execz .LBB49_124
.LBB49_181:                             ;   in Loop: Header=BB49_65 Depth=1
	v_add_f32_e64 v3, |v6|, s26
	v_and_b32_e32 v8, 0xff, v3
	v_cmp_ne_u32_e32 vcc, 0, v8
	s_andn2_b64 s[8:9], s[8:9], exec
	s_and_b64 s[30:31], vcc, exec
	s_mov_b32 s16, 0
	s_or_b64 s[8:9], s[8:9], s[30:31]
	s_or_b64 exec, exec, s[10:11]
	v_mov_b32_e32 v3, s16
	s_and_saveexec_b64 s[10:11], s[8:9]
	s_cbranch_execnz .LBB49_125
	s_branch .LBB49_126
.LBB49_182:                             ;   in Loop: Header=BB49_65 Depth=1
	v_bfe_u32 v8, v17, 20, 1
	v_add3_u32 v8, v17, v8, s25
	s_mov_b64 s[8:9], exec
	v_lshrrev_b32_e32 v18, 20, v8
	s_or_saveexec_b64 s[10:11], s[10:11]
                                        ; implicit-def: $sgpr16
	s_xor_b64 exec, exec, s[10:11]
	s_cbranch_execz .LBB49_130
.LBB49_183:                             ;   in Loop: Header=BB49_65 Depth=1
	v_add_f32_e64 v8, |v17|, s26
	v_and_b32_e32 v18, 0xff, v8
	v_cmp_ne_u32_e32 vcc, 0, v18
	s_andn2_b64 s[8:9], s[8:9], exec
	s_and_b64 s[30:31], vcc, exec
	s_mov_b32 s16, 0
	s_or_b64 s[8:9], s[8:9], s[30:31]
	s_or_b64 exec, exec, s[10:11]
	v_mov_b32_e32 v8, s16
	s_and_saveexec_b64 s[10:11], s[8:9]
	s_cbranch_execnz .LBB49_131
	s_branch .LBB49_132
.LBB49_184:                             ;   in Loop: Header=BB49_65 Depth=1
	v_bfe_u32 v6, v7, 20, 1
	v_add3_u32 v6, v7, v6, s25
	s_mov_b64 s[8:9], exec
	v_lshrrev_b32_e32 v9, 20, v6
	s_or_saveexec_b64 s[10:11], s[10:11]
                                        ; implicit-def: $sgpr16
	s_xor_b64 exec, exec, s[10:11]
	s_cbranch_execz .LBB49_136
.LBB49_185:                             ;   in Loop: Header=BB49_65 Depth=1
	v_add_f32_e64 v6, |v7|, s26
	v_and_b32_e32 v9, 0xff, v6
	v_cmp_ne_u32_e32 vcc, 0, v9
	s_andn2_b64 s[8:9], s[8:9], exec
	s_and_b64 s[30:31], vcc, exec
	s_mov_b32 s16, 0
	s_or_b64 s[8:9], s[8:9], s[30:31]
	s_or_b64 exec, exec, s[10:11]
	v_mov_b32_e32 v6, s16
	s_and_saveexec_b64 s[10:11], s[8:9]
	s_cbranch_execnz .LBB49_137
	s_branch .LBB49_138
.LBB49_186:                             ;   in Loop: Header=BB49_65 Depth=1
	v_bfe_u32 v8, v15, 20, 1
	v_add3_u32 v8, v15, v8, s25
	s_mov_b64 s[10:11], exec
	v_lshrrev_b32_e32 v16, 20, v8
	s_or_saveexec_b64 s[16:17], s[16:17]
                                        ; implicit-def: $sgpr29
	s_xor_b64 exec, exec, s[16:17]
	s_cbranch_execz .LBB49_143
.LBB49_187:                             ;   in Loop: Header=BB49_65 Depth=1
	v_add_f32_e64 v8, |v15|, s26
	v_and_b32_e32 v16, 0xff, v8
	v_cmp_ne_u32_e32 vcc, 0, v16
	s_andn2_b64 s[10:11], s[10:11], exec
	s_and_b64 s[30:31], vcc, exec
	s_mov_b32 s29, 0
	s_or_b64 s[10:11], s[10:11], s[30:31]
	s_or_b64 exec, exec, s[16:17]
	v_mov_b32_e32 v8, s29
	s_and_saveexec_b64 s[16:17], s[10:11]
	s_cbranch_execnz .LBB49_144
	s_branch .LBB49_145
.LBB49_188:                             ;   in Loop: Header=BB49_65 Depth=1
	v_bfe_u32 v3, v4, 20, 1
	v_add3_u32 v3, v4, v3, s25
	s_mov_b64 s[10:11], exec
	v_lshrrev_b32_e32 v6, 20, v3
	s_or_saveexec_b64 s[16:17], s[16:17]
                                        ; implicit-def: $sgpr29
	s_xor_b64 exec, exec, s[16:17]
	s_cbranch_execz .LBB49_149
.LBB49_189:                             ;   in Loop: Header=BB49_65 Depth=1
	v_add_f32_e64 v3, |v4|, s26
	v_and_b32_e32 v6, 0xff, v3
	v_cmp_ne_u32_e32 vcc, 0, v6
	s_andn2_b64 s[10:11], s[10:11], exec
	s_and_b64 s[30:31], vcc, exec
	s_mov_b32 s29, 0
	s_or_b64 s[10:11], s[10:11], s[30:31]
	s_or_b64 exec, exec, s[16:17]
	v_mov_b32_e32 v3, s29
	s_and_saveexec_b64 s[16:17], s[10:11]
	s_cbranch_execnz .LBB49_150
	s_branch .LBB49_151
.LBB49_190:                             ;   in Loop: Header=BB49_65 Depth=1
	v_bfe_u32 v6, v15, 20, 1
	v_add3_u32 v6, v15, v6, s25
	s_mov_b64 s[10:11], exec
	v_lshrrev_b32_e32 v16, 20, v6
	s_or_saveexec_b64 s[16:17], s[16:17]
                                        ; implicit-def: $sgpr29
	s_xor_b64 exec, exec, s[16:17]
	s_cbranch_execz .LBB49_155
.LBB49_191:                             ;   in Loop: Header=BB49_65 Depth=1
	v_add_f32_e64 v6, |v15|, s26
	v_and_b32_e32 v16, 0xff, v6
	v_cmp_ne_u32_e32 vcc, 0, v16
	s_andn2_b64 s[10:11], s[10:11], exec
	s_and_b64 s[30:31], vcc, exec
	s_mov_b32 s29, 0
	s_or_b64 s[10:11], s[10:11], s[30:31]
	s_or_b64 exec, exec, s[16:17]
	v_mov_b32_e32 v6, s29
	s_and_saveexec_b64 s[16:17], s[10:11]
	s_cbranch_execnz .LBB49_156
	s_branch .LBB49_157
.LBB49_192:                             ;   in Loop: Header=BB49_65 Depth=1
	v_bfe_u32 v4, v5, 20, 1
	v_add3_u32 v4, v5, v4, s25
	s_mov_b64 s[10:11], exec
	v_lshrrev_b32_e32 v7, 20, v4
	s_or_saveexec_b64 s[16:17], s[16:17]
                                        ; implicit-def: $sgpr29
	s_xor_b64 exec, exec, s[16:17]
	s_cbranch_execz .LBB49_161
.LBB49_193:                             ;   in Loop: Header=BB49_65 Depth=1
	v_add_f32_e64 v4, |v5|, s26
	v_and_b32_e32 v7, 0xff, v4
	v_cmp_ne_u32_e32 vcc, 0, v7
	s_andn2_b64 s[10:11], s[10:11], exec
	s_and_b64 s[30:31], vcc, exec
	s_mov_b32 s29, 0
	s_or_b64 s[10:11], s[10:11], s[30:31]
	s_or_b64 exec, exec, s[16:17]
	v_mov_b32_e32 v4, s29
	s_and_saveexec_b64 s[16:17], s[10:11]
	s_cbranch_execz .LBB49_60
.LBB49_194:                             ;   in Loop: Header=BB49_65 Depth=1
	v_lshrrev_b32_e32 v4, 24, v5
	v_and_or_b32 v4, v4, s27, v7
	s_branch .LBB49_60
.LBB49_195:
	s_endpgm
.LBB49_196:
                                        ; implicit-def: $vgpr4_vgpr5
	s_andn2_b64 vcc, exec, s[26:27]
	s_cbranch_vccz .LBB49_53
	s_branch .LBB49_54
.LBB49_197:
                                        ; implicit-def: $vgpr2_vgpr3
	s_andn2_b64 vcc, exec, s[22:23]
	s_cbranch_vccz .LBB49_58
	s_branch .LBB49_59
	.section	.rodata,"a",@progbits
	.p2align	6, 0x0
	.amdhsa_kernel _ZN4vllm31rms_norm_per_block_quant_kernelIN3c104HalfENS1_15Float8_e4m3fnuzELb0ELb1ELi128EEEvPT0_PfPKT_S9_PKffiiPS7_l
		.amdhsa_group_segment_fixed_size 4164
		.amdhsa_private_segment_fixed_size 0
		.amdhsa_kernarg_size 328
		.amdhsa_user_sgpr_count 6
		.amdhsa_user_sgpr_private_segment_buffer 1
		.amdhsa_user_sgpr_dispatch_ptr 0
		.amdhsa_user_sgpr_queue_ptr 0
		.amdhsa_user_sgpr_kernarg_segment_ptr 1
		.amdhsa_user_sgpr_dispatch_id 0
		.amdhsa_user_sgpr_flat_scratch_init 0
		.amdhsa_user_sgpr_kernarg_preload_length 0
		.amdhsa_user_sgpr_kernarg_preload_offset 0
		.amdhsa_user_sgpr_private_segment_size 0
		.amdhsa_uses_dynamic_stack 0
		.amdhsa_system_sgpr_private_segment_wavefront_offset 0
		.amdhsa_system_sgpr_workgroup_id_x 1
		.amdhsa_system_sgpr_workgroup_id_y 0
		.amdhsa_system_sgpr_workgroup_id_z 0
		.amdhsa_system_sgpr_workgroup_info 0
		.amdhsa_system_vgpr_workitem_id 0
		.amdhsa_next_free_vgpr 40
		.amdhsa_next_free_sgpr 47
		.amdhsa_accum_offset 40
		.amdhsa_reserve_vcc 1
		.amdhsa_reserve_flat_scratch 0
		.amdhsa_float_round_mode_32 0
		.amdhsa_float_round_mode_16_64 0
		.amdhsa_float_denorm_mode_32 3
		.amdhsa_float_denorm_mode_16_64 3
		.amdhsa_dx10_clamp 1
		.amdhsa_ieee_mode 1
		.amdhsa_fp16_overflow 0
		.amdhsa_tg_split 0
		.amdhsa_exception_fp_ieee_invalid_op 0
		.amdhsa_exception_fp_denorm_src 0
		.amdhsa_exception_fp_ieee_div_zero 0
		.amdhsa_exception_fp_ieee_overflow 0
		.amdhsa_exception_fp_ieee_underflow 0
		.amdhsa_exception_fp_ieee_inexact 0
		.amdhsa_exception_int_div_zero 0
	.end_amdhsa_kernel
	.section	.text._ZN4vllm31rms_norm_per_block_quant_kernelIN3c104HalfENS1_15Float8_e4m3fnuzELb0ELb1ELi128EEEvPT0_PfPKT_S9_PKffiiPS7_l,"axG",@progbits,_ZN4vllm31rms_norm_per_block_quant_kernelIN3c104HalfENS1_15Float8_e4m3fnuzELb0ELb1ELi128EEEvPT0_PfPKT_S9_PKffiiPS7_l,comdat
.Lfunc_end49:
	.size	_ZN4vllm31rms_norm_per_block_quant_kernelIN3c104HalfENS1_15Float8_e4m3fnuzELb0ELb1ELi128EEEvPT0_PfPKT_S9_PKffiiPS7_l, .Lfunc_end49-_ZN4vllm31rms_norm_per_block_quant_kernelIN3c104HalfENS1_15Float8_e4m3fnuzELb0ELb1ELi128EEEvPT0_PfPKT_S9_PKffiiPS7_l
                                        ; -- End function
	.section	.AMDGPU.csdata,"",@progbits
; Kernel info:
; codeLenInByte = 11132
; NumSgprs: 51
; NumVgprs: 40
; NumAgprs: 0
; TotalNumVgprs: 40
; ScratchSize: 0
; MemoryBound: 0
; FloatMode: 240
; IeeeMode: 1
; LDSByteSize: 4164 bytes/workgroup (compile time only)
; SGPRBlocks: 6
; VGPRBlocks: 4
; NumSGPRsForWavesPerEU: 51
; NumVGPRsForWavesPerEU: 40
; AccumOffset: 40
; Occupancy: 8
; WaveLimiterHint : 0
; COMPUTE_PGM_RSRC2:SCRATCH_EN: 0
; COMPUTE_PGM_RSRC2:USER_SGPR: 6
; COMPUTE_PGM_RSRC2:TRAP_HANDLER: 0
; COMPUTE_PGM_RSRC2:TGID_X_EN: 1
; COMPUTE_PGM_RSRC2:TGID_Y_EN: 0
; COMPUTE_PGM_RSRC2:TGID_Z_EN: 0
; COMPUTE_PGM_RSRC2:TIDIG_COMP_CNT: 0
; COMPUTE_PGM_RSRC3_GFX90A:ACCUM_OFFSET: 9
; COMPUTE_PGM_RSRC3_GFX90A:TG_SPLIT: 0
	.section	.text._ZN4vllm31rms_norm_per_block_quant_kernelIN3c104HalfEaLb0ELb1ELi128EEEvPT0_PfPKT_S8_PKffiiPS6_l,"axG",@progbits,_ZN4vllm31rms_norm_per_block_quant_kernelIN3c104HalfEaLb0ELb1ELi128EEEvPT0_PfPKT_S8_PKffiiPS6_l,comdat
	.protected	_ZN4vllm31rms_norm_per_block_quant_kernelIN3c104HalfEaLb0ELb1ELi128EEEvPT0_PfPKT_S8_PKffiiPS6_l ; -- Begin function _ZN4vllm31rms_norm_per_block_quant_kernelIN3c104HalfEaLb0ELb1ELi128EEEvPT0_PfPKT_S8_PKffiiPS6_l
	.globl	_ZN4vllm31rms_norm_per_block_quant_kernelIN3c104HalfEaLb0ELb1ELi128EEEvPT0_PfPKT_S8_PKffiiPS6_l
	.p2align	8
	.type	_ZN4vllm31rms_norm_per_block_quant_kernelIN3c104HalfEaLb0ELb1ELi128EEEvPT0_PfPKT_S8_PKffiiPS6_l,@function
_ZN4vllm31rms_norm_per_block_quant_kernelIN3c104HalfEaLb0ELb1ELi128EEEvPT0_PfPKT_S8_PKffiiPS6_l: ; @_ZN4vllm31rms_norm_per_block_quant_kernelIN3c104HalfEaLb0ELb1ELi128EEEvPT0_PfPKT_S8_PKffiiPS6_l
; %bb.0:
	s_load_dwordx4 s[16:19], s[4:5], 0x28
	s_load_dwordx8 s[8:15], s[4:5], 0x0
	s_load_dword s46, s[4:5], 0x48
	s_mov_b32 s7, 0
	v_mov_b32_e32 v1, 0
	s_waitcnt lgkmcnt(0)
	s_ashr_i32 s0, s18, 31
	s_mul_hi_u32 s1, s18, s6
	s_mul_i32 s0, s0, s6
	s_add_i32 s1, s1, s0
	s_mul_i32 s0, s18, s6
	s_lshl_b64 s[0:1], s[0:1], 1
	s_add_u32 s33, s12, s0
	s_addc_u32 s44, s13, s1
	s_ashr_i32 s12, s17, 2
	s_add_u32 s18, s4, 0x48
	s_mov_b32 s20, s17
	v_cmp_gt_u32_e64 s[0:1], s12, v0
	s_addc_u32 s19, s5, 0
	s_and_saveexec_b64 s[2:3], s[0:1]
	s_cbranch_execz .LBB50_10
; %bb.1:
	s_cmp_lt_u32 s6, s46
	s_cselect_b32 s13, 12, 18
	s_add_u32 s22, s18, s13
	s_addc_u32 s23, s19, 0
	v_mov_b32_e32 v3, 0
	global_load_ushort v8, v3, s[22:23]
	s_mov_b64 s[22:23], 0
	v_mov_b32_e32 v9, s44
	v_mov_b32_e32 v2, v0
                                        ; implicit-def: $sgpr24_sgpr25
	s_waitcnt vmcnt(0)
	v_add_u32_e32 v1, v8, v8
	v_mul_lo_u32 v10, v8, 3
	v_lshlrev_b32_e32 v11, 1, v8
	v_add_u32_e32 v12, v1, v8
	v_mov_b32_e32 v1, v3
	s_branch .LBB50_5
.LBB50_2:                               ;   in Loop: Header=BB50_5 Depth=1
	s_or_b64 exec, exec, s[30:31]
	s_orn2_b64 s[30:31], s[34:35], exec
.LBB50_3:                               ;   in Loop: Header=BB50_5 Depth=1
	s_or_b64 exec, exec, s[28:29]
	s_andn2_b64 s[24:25], s[24:25], exec
	s_and_b64 s[28:29], s[30:31], exec
	s_or_b64 s[24:25], s[24:25], s[28:29]
.LBB50_4:                               ;   in Loop: Header=BB50_5 Depth=1
	s_or_b64 exec, exec, s[26:27]
	s_and_b64 s[26:27], exec, s[24:25]
	s_or_b64 s[22:23], s[26:27], s[22:23]
	s_andn2_b64 exec, exec, s[22:23]
	s_cbranch_execz .LBB50_9
.LBB50_5:                               ; =>This Inner Loop Header: Depth=1
	v_lshlrev_b64 v[4:5], 3, v[2:3]
	v_add_co_u32_e32 v4, vcc, s33, v4
	v_addc_co_u32_e32 v5, vcc, v9, v5, vcc
	global_load_dwordx2 v[6:7], v[4:5], off
	v_add_u32_e32 v4, v2, v8
	v_cmp_gt_u32_e32 vcc, s12, v4
	s_or_b64 s[24:25], s[24:25], exec
	s_waitcnt vmcnt(0)
	v_fma_mix_f32 v1, v6, v6, v1 op_sel_hi:[1,1,0]
	v_fma_mix_f32 v1, v6, v6, v1 op_sel:[1,1,0] op_sel_hi:[1,1,0]
	v_fma_mix_f32 v1, v7, v7, v1 op_sel_hi:[1,1,0]
	v_fma_mix_f32 v1, v7, v7, v1 op_sel:[1,1,0] op_sel_hi:[1,1,0]
	s_and_saveexec_b64 s[26:27], vcc
	s_cbranch_execz .LBB50_4
; %bb.6:                                ;   in Loop: Header=BB50_5 Depth=1
	v_mov_b32_e32 v5, v3
	v_lshlrev_b64 v[6:7], 3, v[4:5]
	v_add_co_u32_e32 v6, vcc, s33, v6
	v_addc_co_u32_e32 v7, vcc, v9, v7, vcc
	global_load_dwordx2 v[14:15], v[6:7], off
	v_add_u32_e32 v6, v11, v2
	v_cmp_gt_u32_e32 vcc, s12, v6
	s_mov_b64 s[30:31], -1
	s_waitcnt vmcnt(0)
	v_fma_mix_f32 v1, v14, v14, v1 op_sel_hi:[1,1,0]
	v_fma_mix_f32 v1, v14, v14, v1 op_sel:[1,1,0] op_sel_hi:[1,1,0]
	v_fma_mix_f32 v1, v15, v15, v1 op_sel_hi:[1,1,0]
	v_fma_mix_f32 v1, v15, v15, v1 op_sel:[1,1,0] op_sel_hi:[1,1,0]
	s_and_saveexec_b64 s[28:29], vcc
	s_cbranch_execz .LBB50_3
; %bb.7:                                ;   in Loop: Header=BB50_5 Depth=1
	v_mov_b32_e32 v7, v3
	v_lshlrev_b64 v[6:7], 3, v[6:7]
	v_add_co_u32_e32 v6, vcc, s33, v6
	v_addc_co_u32_e32 v7, vcc, v9, v7, vcc
	global_load_dwordx2 v[6:7], v[6:7], off
	v_add_u32_e32 v2, v10, v2
	v_cmp_gt_u32_e32 vcc, s12, v2
	s_mov_b64 s[34:35], -1
	s_waitcnt vmcnt(0)
	v_fma_mix_f32 v1, v6, v6, v1 op_sel_hi:[1,1,0]
	v_fma_mix_f32 v1, v6, v6, v1 op_sel:[1,1,0] op_sel_hi:[1,1,0]
	v_fma_mix_f32 v1, v7, v7, v1 op_sel_hi:[1,1,0]
	v_fma_mix_f32 v1, v7, v7, v1 op_sel:[1,1,0] op_sel_hi:[1,1,0]
	s_and_saveexec_b64 s[30:31], vcc
	s_xor_b64 s[30:31], exec, s[30:31]
	s_cbranch_execz .LBB50_2
; %bb.8:                                ;   in Loop: Header=BB50_5 Depth=1
	v_lshlrev_b64 v[6:7], 3, v[2:3]
	v_add_co_u32_e32 v6, vcc, s33, v6
	v_addc_co_u32_e32 v7, vcc, v9, v7, vcc
	global_load_dwordx2 v[6:7], v[6:7], off
	v_add_u32_e32 v2, v12, v4
	v_cmp_le_u32_e32 vcc, s12, v2
	s_orn2_b64 s[34:35], vcc, exec
	s_waitcnt vmcnt(0)
	v_fma_mix_f32 v1, v6, v6, v1 op_sel_hi:[1,1,0]
	v_fma_mix_f32 v1, v6, v6, v1 op_sel:[1,1,0] op_sel_hi:[1,1,0]
	v_fma_mix_f32 v1, v7, v7, v1 op_sel_hi:[1,1,0]
	v_fma_mix_f32 v1, v7, v7, v1 op_sel:[1,1,0] op_sel_hi:[1,1,0]
	s_branch .LBB50_2
.LBB50_9:
	s_or_b64 exec, exec, s[22:23]
.LBB50_10:
	s_or_b64 exec, exec, s[2:3]
	v_mbcnt_lo_u32_b32 v2, -1, 0
	v_mbcnt_hi_u32_b32 v2, -1, v2
	v_and_b32_e32 v3, 63, v2
	v_cmp_ne_u32_e32 vcc, 63, v3
	s_load_dword s2, s[18:19], 0xc
	v_addc_co_u32_e32 v4, vcc, 0, v2, vcc
	v_lshlrev_b32_e32 v4, 2, v4
	ds_bpermute_b32 v4, v4, v1
	s_waitcnt lgkmcnt(0)
	s_and_b32 s13, s2, 0xffff
	v_and_b32_e32 v5, 0x3c0, v0
	v_sub_u32_e64 v5, s13, v5 clamp
	v_add_u32_e32 v6, 1, v2
	v_add_f32_e32 v4, v1, v4
	v_cmp_lt_u32_e32 vcc, v6, v5
	v_cndmask_b32_e32 v1, v1, v4, vcc
	v_cmp_gt_u32_e32 vcc, 62, v3
	v_cndmask_b32_e64 v4, 0, 1, vcc
	v_lshlrev_b32_e32 v4, 1, v4
	v_add_lshl_u32 v4, v4, v2, 2
	ds_bpermute_b32 v4, v4, v1
	v_add_u32_e32 v6, 2, v2
	v_cmp_lt_u32_e32 vcc, v6, v5
	v_add_u32_e32 v6, 4, v2
	s_waitcnt lgkmcnt(0)
	v_add_f32_e32 v4, v1, v4
	v_cndmask_b32_e32 v1, v1, v4, vcc
	v_cmp_gt_u32_e32 vcc, 60, v3
	v_cndmask_b32_e64 v4, 0, 1, vcc
	v_lshlrev_b32_e32 v4, 2, v4
	v_add_lshl_u32 v4, v4, v2, 2
	ds_bpermute_b32 v4, v4, v1
	v_cmp_lt_u32_e32 vcc, v6, v5
	v_add_u32_e32 v6, 8, v2
	s_waitcnt lgkmcnt(0)
	v_add_f32_e32 v4, v1, v4
	v_cndmask_b32_e32 v1, v1, v4, vcc
	v_cmp_gt_u32_e32 vcc, 56, v3
	v_cndmask_b32_e64 v4, 0, 1, vcc
	v_lshlrev_b32_e32 v4, 3, v4
	v_add_lshl_u32 v4, v4, v2, 2
	ds_bpermute_b32 v4, v4, v1
	;; [unrolled: 10-line block ×3, first 2 shown]
	v_cmp_lt_u32_e32 vcc, v6, v5
	s_waitcnt lgkmcnt(0)
	v_add_f32_e32 v4, v1, v4
	v_cndmask_b32_e32 v1, v1, v4, vcc
	v_cmp_gt_u32_e32 vcc, 32, v3
	v_cndmask_b32_e64 v3, 0, 1, vcc
	v_lshlrev_b32_e32 v3, 5, v3
	v_add_lshl_u32 v3, v3, v2, 2
	ds_bpermute_b32 v3, v3, v1
	v_add_u32_e32 v4, 32, v2
	v_cmp_lt_u32_e32 vcc, v4, v5
	s_waitcnt lgkmcnt(0)
	v_add_f32_e32 v3, v1, v3
	v_cndmask_b32_e32 v1, v1, v3, vcc
	v_cmp_eq_u32_e32 vcc, 0, v2
	s_and_saveexec_b64 s[2:3], vcc
	s_cbranch_execz .LBB50_12
; %bb.11:
	v_lshrrev_b32_e32 v3, 4, v0
	v_and_b32_e32 v3, 60, v3
	ds_write_b32 v3, v1 offset:4096
.LBB50_12:
	s_or_b64 exec, exec, s[2:3]
	v_cmp_gt_u32_e32 vcc, 16, v0
	s_waitcnt lgkmcnt(0)
	s_barrier
	s_and_saveexec_b64 s[22:23], vcc
	s_cbranch_execz .LBB50_14
; %bb.13:
	v_lshlrev_b32_e32 v1, 2, v2
	ds_read_b32 v1, v1 offset:4096
	v_and_b32_e32 v3, 15, v2
	v_cmp_ne_u32_e32 vcc, 15, v3
	v_addc_co_u32_e32 v4, vcc, 0, v2, vcc
	v_lshlrev_b32_e32 v4, 2, v4
	s_waitcnt lgkmcnt(0)
	ds_bpermute_b32 v4, v4, v1
	s_add_i32 s13, s13, 63
	s_lshr_b32 s13, s13, 6
	v_add_u32_e32 v5, 1, v3
	v_cmp_gt_u32_e64 s[2:3], 14, v3
	v_cmp_gt_u32_e32 vcc, s13, v5
	v_cndmask_b32_e64 v5, 0, 1, s[2:3]
	s_waitcnt lgkmcnt(0)
	v_add_f32_e32 v4, v1, v4
	v_lshlrev_b32_e32 v5, 1, v5
	v_cndmask_b32_e32 v4, v1, v4, vcc
	v_add_lshl_u32 v5, v5, v2, 2
	ds_bpermute_b32 v5, v5, v4
	v_add_u32_e32 v6, 2, v3
	v_cmp_gt_u32_e64 s[2:3], s13, v6
	v_add_u32_e32 v6, 4, v3
	s_waitcnt lgkmcnt(0)
	v_add_f32_e32 v5, v4, v5
	v_cndmask_b32_e64 v4, v4, v5, s[2:3]
	v_cmp_gt_u32_e64 s[2:3], 12, v3
	v_cndmask_b32_e64 v5, 0, 1, s[2:3]
	v_lshlrev_b32_e32 v5, 2, v5
	v_add_lshl_u32 v5, v5, v2, 2
	ds_bpermute_b32 v5, v5, v4
	v_cmp_gt_u32_e64 s[2:3], s13, v6
	s_waitcnt lgkmcnt(0)
	v_add_f32_e32 v5, v4, v5
	v_cndmask_b32_e64 v4, v4, v5, s[2:3]
	v_cmp_gt_u32_e64 s[2:3], 8, v3
	v_cndmask_b32_e64 v5, 0, 1, s[2:3]
	v_lshlrev_b32_e32 v5, 3, v5
	v_add_lshl_u32 v2, v5, v2, 2
	ds_bpermute_b32 v2, v2, v4
	v_add_u32_e32 v3, 8, v3
	v_cmp_gt_u32_e64 s[2:3], s13, v3
	s_waitcnt lgkmcnt(0)
	v_add_f32_e32 v2, v4, v2
	v_cndmask_b32_e64 v2, v4, v2, s[2:3]
	v_cndmask_b32_e32 v1, v1, v2, vcc
.LBB50_14:
	s_or_b64 exec, exec, s[22:23]
	v_cmp_eq_u32_e32 vcc, 0, v0
	s_and_saveexec_b64 s[2:3], vcc
	s_cbranch_execz .LBB50_16
; %bb.15:
	v_cvt_f32_i32_e32 v2, s17
	s_mov_b32 s13, 0x800000
	v_div_scale_f32 v3, s[22:23], v2, v2, v1
	v_rcp_f32_e32 v4, v3
	v_div_scale_f32 v5, vcc, v1, v2, v1
	v_fma_f32 v6, -v3, v4, 1.0
	v_fmac_f32_e32 v4, v6, v4
	v_mul_f32_e32 v6, v5, v4
	v_fma_f32 v7, -v3, v6, v5
	v_fmac_f32_e32 v6, v7, v4
	v_fma_f32 v3, -v3, v6, v5
	v_div_fmas_f32 v3, v3, v4, v6
	v_div_fixup_f32 v1, v3, v2, v1
	v_add_f32_e32 v1, s16, v1
	v_mul_f32_e32 v2, 0x4b800000, v1
	v_cmp_gt_f32_e32 vcc, s13, v1
	v_cndmask_b32_e32 v1, v1, v2, vcc
	v_rsq_f32_e32 v1, v1
	v_mul_f32_e32 v2, 0x45800000, v1
	v_cndmask_b32_e32 v1, v1, v2, vcc
	v_mov_b32_e32 v2, 0
	ds_write_b32 v2, v1 offset:4160
.LBB50_16:
	s_or_b64 exec, exec, s[2:3]
	s_ashr_i32 s21, s17, 31
	s_lshr_b32 s2, s21, 25
	s_add_i32 s3, s17, s2
	s_ashr_i32 s2, s3, 7
	s_cmp_lt_u32 s6, s46
	s_cselect_b32 s13, 12, 18
	s_add_u32 s18, s18, s13
	v_mov_b32_e32 v5, 0
	s_addc_u32 s19, s19, 0
	s_waitcnt lgkmcnt(0)
	s_barrier
	global_load_ushort v1, v5, s[18:19]
	ds_read_b32 v36, v5 offset:4160
	s_abs_i32 s13, s2
	v_cvt_f32_u32_e32 v2, s13
	s_sub_i32 s16, 0, s13
	s_ashr_i32 s3, s3, 31
	v_mov_b32_e32 v10, s12
	v_rcp_iflag_f32_e32 v2, v2
	v_mul_f32_e32 v2, 0x4f7ffffe, v2
	v_cvt_u32_f32_e32 v2, v2
	v_readfirstlane_b32 s18, v2
	s_mul_i32 s16, s16, s18
	s_mul_hi_u32 s16, s18, s16
	s_add_i32 s18, s18, s16
	s_waitcnt vmcnt(0)
	v_readfirstlane_b32 s45, v1
	s_mul_hi_u32 s16, s45, s18
	s_mul_i32 s18, s16, s13
	s_sub_i32 s18, s45, s18
	s_add_i32 s19, s16, 1
	s_sub_i32 s22, s18, s13
	s_cmp_ge_u32 s18, s13
	s_cselect_b32 s16, s19, s16
	s_cselect_b32 s18, s22, s18
	s_add_i32 s19, s16, 1
	s_cmp_ge_u32 s18, s13
	s_cselect_b32 s13, s19, s16
	s_xor_b32 s13, s13, s3
	s_sub_i32 s18, s13, s3
	s_abs_i32 s3, s18
	v_cvt_f32_u32_e32 v1, s3
	s_sub_i32 s16, 0, s3
	s_ashr_i32 s19, s18, 31
	s_ashr_i32 s13, s12, 31
	v_rcp_iflag_f32_e32 v1, v1
	v_mov_b32_e32 v11, s13
	v_mul_f32_e32 v1, 0x4f7ffffe, v1
	v_cvt_u32_f32_e32 v1, v1
	v_mul_lo_u32 v2, s16, v1
	v_mul_hi_u32 v2, v1, v2
	v_add_u32_e32 v1, v1, v2
	v_mul_hi_u32 v1, v0, v1
	v_mul_lo_u32 v2, v1, s3
	v_sub_u32_e32 v2, v0, v2
	v_add_u32_e32 v3, 1, v1
	v_cmp_le_u32_e32 vcc, s3, v2
	v_cndmask_b32_e32 v1, v1, v3, vcc
	v_subrev_u32_e32 v3, s3, v2
	v_cndmask_b32_e32 v2, v2, v3, vcc
	v_add_u32_e32 v3, 1, v1
	v_cmp_le_u32_e32 vcc, s3, v2
	v_cndmask_b32_e32 v1, v1, v3, vcc
	v_xor_b32_e32 v1, s19, v1
	v_subrev_u32_e32 v2, s19, v1
	v_mul_lo_u32 v1, v2, s18
	v_ashrrev_i32_e32 v3, 31, v2
	v_sub_u32_e32 v4, v0, v1
	v_lshlrev_b64 v[8:9], 5, v[2:3]
	v_add_co_u32_e32 v6, vcc, v8, v4
	v_addc_co_u32_e32 v7, vcc, 0, v9, vcc
	v_add_co_u32_e32 v8, vcc, 32, v8
	v_addc_co_u32_e32 v9, vcc, 0, v9, vcc
	v_cmp_gt_i64_e32 vcc, s[12:13], v[8:9]
	v_cndmask_b32_e32 v8, v10, v8, vcc
	v_cndmask_b32_e32 v9, v11, v9, vcc
	v_ashrrev_i32_e32 v11, 31, v8
	v_mov_b32_e32 v10, v8
	v_cmp_lt_i64_e32 vcc, v[6:7], v[10:11]
	s_and_saveexec_b64 s[22:23], vcc
	s_cbranch_execz .LBB50_26
; %bb.17:
	v_lshlrev_b64 v[12:13], 8, v[2:3]
	v_lshlrev_b64 v[14:15], 3, v[4:5]
	v_add_co_u32_e32 v12, vcc, v12, v14
	v_addc_co_u32_e32 v1, vcc, v13, v15, vcc
	s_lshl_b64 s[24:25], s[18:19], 5
	s_mul_hi_i32 s3, s18, 3
	s_mul_i32 s13, s18, 3
	s_lshl_b64 s[26:27], s[18:19], 1
	s_lshl_b64 s[30:31], s[18:19], 3
	s_mov_b64 s[28:29], 0
	v_mov_b32_e32 v5, 0
	v_mov_b32_e32 v13, s44
	;; [unrolled: 1-line block ×4, first 2 shown]
	v_pk_mov_b32 v[14:15], v[6:7], v[6:7] op_sel:[0,1]
                                        ; implicit-def: $sgpr34_sgpr35
	s_branch .LBB50_21
.LBB50_18:                              ;   in Loop: Header=BB50_21 Depth=1
	s_or_b64 exec, exec, s[40:41]
	s_orn2_b64 s[40:41], s[42:43], exec
.LBB50_19:                              ;   in Loop: Header=BB50_21 Depth=1
	s_or_b64 exec, exec, s[38:39]
	s_andn2_b64 s[34:35], s[34:35], exec
	s_and_b64 s[38:39], s[40:41], exec
	s_or_b64 s[34:35], s[34:35], s[38:39]
.LBB50_20:                              ;   in Loop: Header=BB50_21 Depth=1
	s_or_b64 exec, exec, s[36:37]
	s_and_b64 s[36:37], exec, s[34:35]
	s_or_b64 s[28:29], s[36:37], s[28:29]
	s_andn2_b64 exec, exec, s[28:29]
	s_cbranch_execz .LBB50_25
.LBB50_21:                              ; =>This Inner Loop Header: Depth=1
	v_add_co_u32_e32 v18, vcc, s33, v12
	v_addc_co_u32_e32 v19, vcc, v13, v1, vcc
	v_add_co_u32_e32 v20, vcc, s14, v12
	global_load_dwordx2 v[16:17], v[18:19], off
	v_addc_co_u32_e32 v21, vcc, v22, v1, vcc
	global_load_dwordx2 v[24:25], v[20:21], off
	s_or_b64 s[34:35], s[34:35], exec
	s_waitcnt vmcnt(1) lgkmcnt(0)
	v_fma_mixlo_f16 v26, v36, v16, 0 op_sel_hi:[0,1,0]
	v_fma_mixlo_f16 v16, v36, v16, 0 op_sel:[0,1,0] op_sel_hi:[0,1,0]
	v_fma_mixlo_f16 v27, v36, v17, 0 op_sel_hi:[0,1,0]
	v_fma_mixlo_f16 v17, v36, v17, 0 op_sel:[0,1,0] op_sel_hi:[0,1,0]
	s_waitcnt vmcnt(0)
	v_mul_f16_e32 v26, v24, v26
	v_mul_f16_sdwa v16, v24, v16 dst_sel:DWORD dst_unused:UNUSED_PAD src0_sel:WORD_1 src1_sel:DWORD
	v_mul_f16_e32 v24, v25, v27
	v_mul_f16_sdwa v17, v25, v17 dst_sel:DWORD dst_unused:UNUSED_PAD src0_sel:WORD_1 src1_sel:DWORD
	v_cvt_f32_f16_e64 v25, |v26|
	v_cvt_f32_f16_e64 v26, |v16|
	;; [unrolled: 1-line block ×4, first 2 shown]
	v_add_co_u32_e32 v16, vcc, s18, v14
	v_addc_co_u32_e32 v17, vcc, v15, v23, vcc
	v_max3_f32 v5, v5, v25, v26
	v_cmp_lt_i64_e32 vcc, v[16:17], v[10:11]
	v_max3_f32 v5, v5, v24, v27
	s_and_saveexec_b64 s[36:37], vcc
	s_cbranch_execz .LBB50_20
; %bb.22:                               ;   in Loop: Header=BB50_21 Depth=1
	v_mov_b32_e32 v26, s31
	v_add_co_u32_e32 v18, vcc, s30, v18
	v_addc_co_u32_e32 v19, vcc, v19, v26, vcc
	v_add_co_u32_e32 v20, vcc, s30, v20
	global_load_dwordx2 v[24:25], v[18:19], off
	v_addc_co_u32_e32 v21, vcc, v21, v26, vcc
	global_load_dwordx2 v[26:27], v[20:21], off
	v_mov_b32_e32 v28, s27
	s_mov_b64 s[40:41], -1
	s_waitcnt vmcnt(1)
	v_fma_mixlo_f16 v29, v36, v24, 0 op_sel_hi:[0,1,0]
	v_fma_mixlo_f16 v24, v36, v24, 0 op_sel:[0,1,0] op_sel_hi:[0,1,0]
	v_fma_mixlo_f16 v30, v36, v25, 0 op_sel_hi:[0,1,0]
	v_fma_mixlo_f16 v25, v36, v25, 0 op_sel:[0,1,0] op_sel_hi:[0,1,0]
	s_waitcnt vmcnt(0)
	v_mul_f16_e32 v29, v26, v29
	v_mul_f16_sdwa v24, v26, v24 dst_sel:DWORD dst_unused:UNUSED_PAD src0_sel:WORD_1 src1_sel:DWORD
	v_mul_f16_e32 v26, v27, v30
	v_mul_f16_sdwa v25, v27, v25 dst_sel:DWORD dst_unused:UNUSED_PAD src0_sel:WORD_1 src1_sel:DWORD
	v_cvt_f32_f16_e64 v27, |v29|
	v_cvt_f32_f16_e64 v29, |v24|
	;; [unrolled: 1-line block ×4, first 2 shown]
	v_add_co_u32_e32 v24, vcc, s26, v14
	v_addc_co_u32_e32 v25, vcc, v28, v15, vcc
	v_max3_f32 v5, v5, v27, v29
	v_cmp_lt_i64_e32 vcc, v[24:25], v[10:11]
	v_max3_f32 v5, v5, v26, v30
	s_and_saveexec_b64 s[38:39], vcc
	s_cbranch_execz .LBB50_19
; %bb.23:                               ;   in Loop: Header=BB50_21 Depth=1
	v_mov_b32_e32 v26, s31
	v_add_co_u32_e32 v18, vcc, s30, v18
	v_addc_co_u32_e32 v19, vcc, v19, v26, vcc
	v_add_co_u32_e32 v20, vcc, s30, v20
	global_load_dwordx2 v[24:25], v[18:19], off
	v_addc_co_u32_e32 v21, vcc, v21, v26, vcc
	global_load_dwordx2 v[26:27], v[20:21], off
	v_mov_b32_e32 v28, s3
	v_add_co_u32_e32 v14, vcc, s13, v14
	v_addc_co_u32_e32 v15, vcc, v28, v15, vcc
	v_cmp_lt_i64_e32 vcc, v[14:15], v[10:11]
	s_mov_b64 s[42:43], -1
                                        ; implicit-def: $vgpr14_vgpr15
	s_waitcnt vmcnt(1)
	v_fma_mixlo_f16 v29, v36, v24, 0 op_sel_hi:[0,1,0]
	v_fma_mixlo_f16 v24, v36, v24, 0 op_sel:[0,1,0] op_sel_hi:[0,1,0]
	v_fma_mixlo_f16 v30, v36, v25, 0 op_sel_hi:[0,1,0]
	v_fma_mixlo_f16 v25, v36, v25, 0 op_sel:[0,1,0] op_sel_hi:[0,1,0]
	s_waitcnt vmcnt(0)
	v_mul_f16_e32 v29, v26, v29
	v_mul_f16_sdwa v24, v26, v24 dst_sel:DWORD dst_unused:UNUSED_PAD src0_sel:WORD_1 src1_sel:DWORD
	v_mul_f16_e32 v26, v27, v30
	v_mul_f16_sdwa v25, v27, v25 dst_sel:DWORD dst_unused:UNUSED_PAD src0_sel:WORD_1 src1_sel:DWORD
	v_cvt_f32_f16_e64 v27, |v29|
	v_cvt_f32_f16_e64 v24, |v24|
	;; [unrolled: 1-line block ×4, first 2 shown]
	v_max3_f32 v5, v5, v27, v24
	v_max3_f32 v5, v5, v26, v25
	s_and_saveexec_b64 s[40:41], vcc
	s_xor_b64 s[40:41], exec, s[40:41]
	s_cbranch_execz .LBB50_18
; %bb.24:                               ;   in Loop: Header=BB50_21 Depth=1
	v_mov_b32_e32 v24, s31
	v_add_co_u32_e32 v14, vcc, s30, v18
	v_addc_co_u32_e32 v15, vcc, v19, v24, vcc
	v_add_co_u32_e32 v18, vcc, s30, v20
	global_load_dwordx2 v[14:15], v[14:15], off
	v_addc_co_u32_e32 v19, vcc, v21, v24, vcc
	global_load_dwordx2 v[18:19], v[18:19], off
	s_add_u32 s16, s18, s18
	s_addc_u32 s42, s19, s19
	v_mov_b32_e32 v20, s25
	v_add_co_u32_e32 v12, vcc, s24, v12
	s_add_u32 s16, s16, s18
	v_addc_co_u32_e32 v1, vcc, v1, v20, vcc
	s_addc_u32 s42, s42, s19
	v_mov_b32_e32 v20, s42
	s_waitcnt vmcnt(1)
	v_fma_mixlo_f16 v21, v36, v14, 0 op_sel_hi:[0,1,0]
	v_fma_mixlo_f16 v14, v36, v14, 0 op_sel:[0,1,0] op_sel_hi:[0,1,0]
	v_fma_mixlo_f16 v24, v36, v15, 0 op_sel_hi:[0,1,0]
	v_fma_mixlo_f16 v15, v36, v15, 0 op_sel:[0,1,0] op_sel_hi:[0,1,0]
	s_waitcnt vmcnt(0)
	v_mul_f16_e32 v21, v18, v21
	v_mul_f16_sdwa v14, v18, v14 dst_sel:DWORD dst_unused:UNUSED_PAD src0_sel:WORD_1 src1_sel:DWORD
	v_mul_f16_e32 v18, v19, v24
	v_mul_f16_sdwa v15, v19, v15 dst_sel:DWORD dst_unused:UNUSED_PAD src0_sel:WORD_1 src1_sel:DWORD
	v_cvt_f32_f16_e64 v19, |v21|
	v_cvt_f32_f16_e64 v21, |v14|
	;; [unrolled: 1-line block ×4, first 2 shown]
	v_add_co_u32_e32 v14, vcc, s16, v16
	v_addc_co_u32_e32 v15, vcc, v20, v17, vcc
	v_cmp_ge_i64_e32 vcc, v[14:15], v[10:11]
	v_max3_f32 v5, v5, v19, v21
	v_max3_f32 v5, v5, v18, v24
	s_orn2_b64 s[42:43], vcc, exec
	s_branch .LBB50_18
.LBB50_25:
	s_or_b64 exec, exec, s[28:29]
.LBB50_26:
	s_or_b64 exec, exec, s[22:23]
	s_lshr_b32 s13, s45, 6
	v_cvt_f32_u32_e32 v10, s13
	v_lshlrev_b32_e32 v1, 2, v0
	ds_write_b32 v1, v5
	s_sub_i32 s22, 0, s13
	v_rcp_iflag_f32_e32 v5, v10
	s_add_i32 s3, s2, s13
	s_add_i32 s3, s3, -1
	s_ashr_i32 s16, s3, 31
	v_mul_f32_e32 v5, 0x4f7ffffe, v5
	v_cvt_u32_f32_e32 v5, v5
	s_abs_i32 s3, s3
	s_waitcnt lgkmcnt(0)
	s_barrier
	v_readfirstlane_b32 s23, v5
	s_mul_i32 s22, s22, s23
	s_mul_hi_u32 s22, s23, s22
	s_add_i32 s23, s23, s22
	s_mul_hi_u32 s22, s3, s23
	s_mul_i32 s23, s22, s13
	s_sub_i32 s3, s3, s23
	s_add_i32 s23, s22, 1
	s_sub_i32 s24, s3, s13
	s_cmp_ge_u32 s3, s13
	s_cselect_b32 s22, s23, s22
	s_cselect_b32 s3, s24, s3
	s_add_i32 s23, s22, 1
	s_cmp_ge_u32 s3, s13
	s_cselect_b32 s3, s23, s22
	s_xor_b32 s3, s3, s16
	s_sub_i32 s22, s3, s16
	s_ashr_i32 s23, s22, 31
	v_cmp_lt_i64_e64 s[24:25], s[22:23], 1
	s_and_b64 vcc, exec, s[24:25]
	s_cbranch_vccnz .LBB50_48
; %bb.27:
	v_and_b32_e32 v12, 63, v0
	v_add_co_u32_e32 v14, vcc, 32, v12
	v_addc_co_u32_e64 v15, s[24:25], 0, 0, vcc
	v_add_co_u32_e32 v16, vcc, 16, v12
	v_addc_co_u32_e64 v17, s[24:25], 0, 0, vcc
	v_add_co_u32_e32 v18, vcc, 8, v12
	v_lshrrev_b32_e32 v10, 6, v0
	v_addc_co_u32_e64 v19, s[24:25], 0, 0, vcc
	v_add_co_u32_e32 v20, vcc, 4, v12
	v_addc_co_u32_e64 v21, s[24:25], 0, 0, vcc
	v_add_co_u32_e32 v22, vcc, 2, v12
	v_mul_lo_u32 v5, s18, v10
	v_addc_co_u32_e64 v23, s[24:25], 0, 0, vcc
	v_add_co_u32_e32 v24, vcc, 1, v12
	v_lshlrev_b32_e32 v5, 2, v5
	v_lshlrev_b32_e32 v26, 2, v12
	s_movk_i32 s16, 0x100
	v_mov_b32_e32 v11, 0
	v_addc_co_u32_e64 v25, s[24:25], 0, 0, vcc
	v_add3_u32 v5, v5, v26, s16
	s_mul_i32 s16, s18, s13
	s_ashr_i32 s3, s2, 31
	v_mov_b32_e32 v13, v11
	s_lshl_b32 s16, s16, 2
	s_mov_b64 s[24:25], 0
	v_mov_b32_e32 v37, s13
	s_mov_b64 s[26:27], src_shared_base
	s_branch .LBB50_30
.LBB50_28:                              ;   in Loop: Header=BB50_30 Depth=1
	s_or_b64 exec, exec, s[30:31]
	v_mov_b32_e32 v27, s27
	flat_load_dword v26, v[26:27] glc
	s_waitcnt vmcnt(0)
.LBB50_29:                              ;   in Loop: Header=BB50_30 Depth=1
	s_or_b64 exec, exec, s[28:29]
	s_add_u32 s24, s24, 1
	s_addc_u32 s25, s25, 0
	s_cmp_eq_u64 s[24:25], s[22:23]
	v_add_u32_e32 v5, s16, v5
	s_cbranch_scc1 .LBB50_48
.LBB50_30:                              ; =>This Loop Header: Depth=1
                                        ;     Child Loop BB50_33 Depth 2
	v_mad_u64_u32 v[30:31], s[28:29], s24, v37, v[10:11]
	s_mul_i32 s26, s25, s13
	v_add_u32_e32 v31, s26, v31
	v_cmp_gt_i64_e32 vcc, s[2:3], v[30:31]
	s_and_saveexec_b64 s[28:29], vcc
	s_cbranch_execz .LBB50_29
; %bb.31:                               ;   in Loop: Header=BB50_30 Depth=1
	v_pk_mov_b32 v[32:33], s[18:19], s[18:19] op_sel:[0,1]
	v_mul_lo_u32 v29, v31, s18
	v_mul_lo_u32 v38, v30, s19
	v_mad_u64_u32 v[32:33], s[30:31], v30, s18, v[32:33]
	v_add3_u32 v33, v29, v33, v38
	v_mov_b32_e32 v28, s21
	v_cmp_gt_i64_e32 vcc, s[20:21], v[32:33]
	s_waitcnt lgkmcnt(0)
	v_mad_u64_u32 v[26:27], s[30:31], v30, s18, v[12:13]
	v_cndmask_b32_e32 v33, v28, v33, vcc
	v_mov_b32_e32 v28, s17
	v_add3_u32 v27, v29, v27, v38
	v_cndmask_b32_e32 v32, v28, v32, vcc
	v_add_co_u32_e32 v34, vcc, 64, v26
	v_addc_co_u32_e32 v35, vcc, 0, v27, vcc
	v_cmp_lt_i64_e32 vcc, v[34:35], v[32:33]
	v_lshlrev_b32_e32 v28, 2, v26
	s_and_saveexec_b64 s[30:31], vcc
	s_cbranch_execz .LBB50_34
; %bb.32:                               ;   in Loop: Header=BB50_30 Depth=1
	ds_read_b32 v31, v28
	s_mov_b64 s[34:35], 0
	v_mov_b32_e32 v27, v5
.LBB50_33:                              ;   Parent Loop BB50_30 Depth=1
                                        ; =>  This Inner Loop Header: Depth=2
	ds_read_b32 v39, v27
	v_add_co_u32_e32 v34, vcc, 64, v34
	v_addc_co_u32_e32 v35, vcc, 0, v35, vcc
	s_waitcnt lgkmcnt(1)
	v_max_f32_e32 v31, v31, v31
	v_cmp_ge_i64_e32 vcc, v[34:35], v[32:33]
	s_waitcnt lgkmcnt(0)
	v_max_f32_e32 v39, v39, v39
	v_add_u32_e32 v27, 0x100, v27
	s_or_b64 s[34:35], vcc, s[34:35]
	v_max_f32_e32 v31, v31, v39
	ds_write_b32 v28, v31
	s_andn2_b64 exec, exec, s[34:35]
	s_cbranch_execnz .LBB50_33
.LBB50_34:                              ;   in Loop: Header=BB50_30 Depth=1
	s_or_b64 exec, exec, s[30:31]
	v_mad_u64_u32 v[30:31], s[30:31], v30, s18, 0
	v_add3_u32 v27, v31, v38, v29
	v_sub_co_u32_e32 v30, vcc, v32, v30
	v_subb_co_u32_e32 v31, vcc, v33, v27, vcc
	v_cmp_gt_i64_e32 vcc, 64, v[30:31]
	v_cndmask_b32_e32 v31, 0, v31, vcc
	v_cndmask_b32_e32 v30, 64, v30, vcc
	v_cmp_lt_i64_e32 vcc, v[14:15], v[30:31]
	s_and_saveexec_b64 s[30:31], vcc
	s_cbranch_execnz .LBB50_46
; %bb.35:                               ;   in Loop: Header=BB50_30 Depth=1
	s_or_b64 exec, exec, s[30:31]
	v_cmp_lt_i64_e32 vcc, v[16:17], v[30:31]
	s_and_saveexec_b64 s[30:31], vcc
	s_cbranch_execnz .LBB50_47
.LBB50_36:                              ;   in Loop: Header=BB50_30 Depth=1
	s_or_b64 exec, exec, s[30:31]
	v_cmp_lt_i64_e32 vcc, v[18:19], v[30:31]
	s_and_saveexec_b64 s[30:31], vcc
	s_cbranch_execz .LBB50_38
.LBB50_37:                              ;   in Loop: Header=BB50_30 Depth=1
	v_mov_b32_e32 v29, s27
	v_add_u32_e32 v32, 32, v28
	v_mov_b32_e32 v33, s27
	flat_load_dword v27, v[28:29] glc
	s_waitcnt vmcnt(0)
	flat_load_dword v34, v[32:33] glc
	s_waitcnt vmcnt(0) lgkmcnt(0)
	v_max_f32_e32 v27, v27, v27
	v_max_f32_e32 v32, v34, v34
	;; [unrolled: 1-line block ×3, first 2 shown]
	flat_store_dword v[28:29], v27
	s_waitcnt vmcnt(0)
.LBB50_38:                              ;   in Loop: Header=BB50_30 Depth=1
	s_or_b64 exec, exec, s[30:31]
	v_cmp_ge_i64_e32 vcc, v[20:21], v[30:31]
	s_and_saveexec_b64 s[30:31], vcc
	s_xor_b64 s[30:31], exec, s[30:31]
; %bb.39:                               ;   in Loop: Header=BB50_30 Depth=1
                                        ; implicit-def: $vgpr28
; %bb.40:                               ;   in Loop: Header=BB50_30 Depth=1
	s_andn2_saveexec_b64 s[30:31], s[30:31]
	s_cbranch_execz .LBB50_42
; %bb.41:                               ;   in Loop: Header=BB50_30 Depth=1
	v_mov_b32_e32 v29, s27
	v_add_u32_e32 v32, 16, v28
	v_mov_b32_e32 v33, s27
	flat_load_dword v27, v[28:29] glc
	s_waitcnt vmcnt(0)
	flat_load_dword v34, v[32:33] glc
	s_waitcnt vmcnt(0) lgkmcnt(0)
	v_max_f32_e32 v27, v27, v27
	v_max_f32_e32 v32, v34, v34
	;; [unrolled: 1-line block ×3, first 2 shown]
	flat_store_dword v[28:29], v27
	s_waitcnt vmcnt(0)
.LBB50_42:                              ;   in Loop: Header=BB50_30 Depth=1
	s_or_b64 exec, exec, s[30:31]
	v_cmp_lt_i64_e32 vcc, v[22:23], v[30:31]
	v_lshlrev_b32_e32 v26, 2, v26
	s_and_saveexec_b64 s[30:31], vcc
	s_cbranch_execz .LBB50_44
; %bb.43:                               ;   in Loop: Header=BB50_30 Depth=1
	v_mov_b32_e32 v27, s27
	v_add_u32_e32 v28, 8, v26
	v_mov_b32_e32 v29, s27
	flat_load_dword v32, v[26:27] glc
	s_waitcnt vmcnt(0)
	flat_load_dword v33, v[28:29] glc
	s_waitcnt vmcnt(0) lgkmcnt(0)
	v_max_f32_e32 v28, v32, v32
	v_max_f32_e32 v29, v33, v33
	;; [unrolled: 1-line block ×3, first 2 shown]
	flat_store_dword v[26:27], v28
	s_waitcnt vmcnt(0)
.LBB50_44:                              ;   in Loop: Header=BB50_30 Depth=1
	s_or_b64 exec, exec, s[30:31]
	v_cmp_lt_i64_e32 vcc, v[24:25], v[30:31]
	s_and_saveexec_b64 s[30:31], vcc
	s_cbranch_execz .LBB50_28
; %bb.45:                               ;   in Loop: Header=BB50_30 Depth=1
	v_mov_b32_e32 v27, s27
	v_add_u32_e32 v28, 4, v26
	v_mov_b32_e32 v29, s27
	flat_load_dword v30, v[26:27] glc
	s_waitcnt vmcnt(0)
	flat_load_dword v31, v[28:29] glc
	s_waitcnt vmcnt(0) lgkmcnt(0)
	v_max_f32_e32 v28, v30, v30
	v_max_f32_e32 v29, v31, v31
	;; [unrolled: 1-line block ×3, first 2 shown]
	flat_store_dword v[26:27], v28
	s_waitcnt vmcnt(0)
	s_branch .LBB50_28
.LBB50_46:                              ;   in Loop: Header=BB50_30 Depth=1
	v_mov_b32_e32 v29, s27
	v_add_u32_e32 v32, 0x80, v28
	v_mov_b32_e32 v33, s27
	flat_load_dword v27, v[28:29] glc
	s_waitcnt vmcnt(0)
	flat_load_dword v34, v[32:33] glc
	s_waitcnt vmcnt(0) lgkmcnt(0)
	v_max_f32_e32 v27, v27, v27
	v_max_f32_e32 v32, v34, v34
	;; [unrolled: 1-line block ×3, first 2 shown]
	flat_store_dword v[28:29], v27
	s_waitcnt vmcnt(0)
	s_or_b64 exec, exec, s[30:31]
	v_cmp_lt_i64_e32 vcc, v[16:17], v[30:31]
	s_and_saveexec_b64 s[30:31], vcc
	s_cbranch_execz .LBB50_36
.LBB50_47:                              ;   in Loop: Header=BB50_30 Depth=1
	v_mov_b32_e32 v29, s27
	v_add_u32_e32 v32, 64, v28
	v_mov_b32_e32 v33, s27
	flat_load_dword v27, v[28:29] glc
	s_waitcnt vmcnt(0)
	flat_load_dword v34, v[32:33] glc
	s_waitcnt vmcnt(0) lgkmcnt(0)
	v_max_f32_e32 v27, v27, v27
	v_max_f32_e32 v32, v34, v34
	;; [unrolled: 1-line block ×3, first 2 shown]
	flat_store_dword v[28:29], v27
	s_waitcnt vmcnt(0)
	s_or_b64 exec, exec, s[30:31]
	v_cmp_lt_i64_e32 vcc, v[18:19], v[30:31]
	s_and_saveexec_b64 s[30:31], vcc
	s_cbranch_execnz .LBB50_37
	s_branch .LBB50_38
.LBB50_48:
	s_load_dwordx2 s[18:19], s[4:5], 0x40
	v_cmp_eq_u32_e32 vcc, 0, v4
	v_cmp_lt_i64_e64 s[2:3], v[6:7], v[8:9]
	s_and_b64 s[2:3], vcc, s[2:3]
	s_waitcnt lgkmcnt(0)
	s_barrier
	s_and_saveexec_b64 s[22:23], s[2:3]
	s_cbranch_execz .LBB50_55
; %bb.49:
	s_load_dwordx2 s[2:3], s[4:5], 0x20
	ds_read_b32 v1, v1
	s_waitcnt lgkmcnt(0)
	s_cmp_eq_u64 s[2:3], 0
	s_cbranch_scc1 .LBB50_51
; %bb.50:
	s_load_dword s2, s[2:3], 0x0
	v_max_f32_e32 v1, v1, v1
	s_waitcnt lgkmcnt(0)
	v_max_f32_e64 v4, s2, s2
	v_min_f32_e32 v1, v1, v4
.LBB50_51:
	s_add_u32 s3, s18, s46
	s_addc_u32 s4, s19, 0
	s_add_u32 s24, s3, -1
	s_addc_u32 s25, s4, -1
	s_or_b64 s[4:5], s[24:25], s[18:19]
	s_mov_b32 s2, 0
	s_mov_b32 s3, s5
	s_cmp_lg_u64 s[2:3], 0
	s_mov_b64 s[26:27], -1
	s_cbranch_scc0 .LBB50_68
; %bb.52:
	s_ashr_i32 s2, s19, 31
	s_add_u32 s4, s18, s2
	s_mov_b32 s3, s2
	s_addc_u32 s5, s19, s2
	s_xor_b64 s[28:29], s[4:5], s[2:3]
	v_cvt_f32_u32_e32 v4, s28
	v_cvt_f32_u32_e32 v5, s29
	s_sub_u32 s2, 0, s28
	s_subb_u32 s3, 0, s29
	v_madmk_f32 v4, v5, 0x4f800000, v4
	v_rcp_f32_e32 v4, v4
	v_mul_f32_e32 v4, 0x5f7ffffc, v4
	v_mul_f32_e32 v5, 0x2f800000, v4
	v_trunc_f32_e32 v5, v5
	v_madmk_f32 v4, v5, 0xcf800000, v4
	v_cvt_u32_f32_e32 v5, v5
	v_cvt_u32_f32_e32 v4, v4
	v_readfirstlane_b32 s4, v5
	v_readfirstlane_b32 s5, v4
	s_mul_i32 s13, s2, s4
	s_mul_hi_u32 s20, s2, s5
	s_mul_i32 s16, s3, s5
	s_add_i32 s13, s20, s13
	s_add_i32 s13, s13, s16
	s_mul_i32 s30, s2, s5
	s_mul_hi_u32 s16, s5, s13
	s_mul_i32 s20, s5, s13
	s_mul_hi_u32 s5, s5, s30
	s_add_u32 s5, s5, s20
	s_addc_u32 s16, 0, s16
	s_mul_hi_u32 s31, s4, s30
	s_mul_i32 s30, s4, s30
	s_add_u32 s5, s5, s30
	s_mul_hi_u32 s20, s4, s13
	s_addc_u32 s5, s16, s31
	s_addc_u32 s16, s20, 0
	s_mul_i32 s13, s4, s13
	s_add_u32 s5, s5, s13
	s_addc_u32 s13, 0, s16
	v_add_co_u32_e32 v4, vcc, s5, v4
	s_cmp_lg_u64 vcc, 0
	s_addc_u32 s4, s4, s13
	v_readfirstlane_b32 s13, v4
	s_mul_i32 s5, s2, s4
	s_mul_hi_u32 s16, s2, s13
	s_add_i32 s5, s16, s5
	s_mul_i32 s3, s3, s13
	s_add_i32 s5, s5, s3
	s_mul_i32 s2, s2, s13
	s_mul_hi_u32 s16, s4, s2
	s_mul_i32 s20, s4, s2
	s_mul_i32 s31, s13, s5
	s_mul_hi_u32 s2, s13, s2
	s_mul_hi_u32 s30, s13, s5
	s_add_u32 s2, s2, s31
	s_addc_u32 s13, 0, s30
	s_add_u32 s2, s2, s20
	s_mul_hi_u32 s3, s4, s5
	s_addc_u32 s2, s13, s16
	s_addc_u32 s3, s3, 0
	s_mul_i32 s5, s4, s5
	s_add_u32 s2, s2, s5
	s_addc_u32 s3, 0, s3
	v_add_co_u32_e32 v4, vcc, s2, v4
	s_cmp_lg_u64 vcc, 0
	s_addc_u32 s4, s4, s3
	s_ashr_i32 s30, s25, 31
	s_add_u32 s2, s24, s30
	s_mov_b32 s31, s30
	s_addc_u32 s3, s25, s30
	s_xor_b64 s[34:35], s[2:3], s[30:31]
	v_readfirstlane_b32 s5, v4
	s_mul_i32 s3, s34, s4
	s_mul_hi_u32 s13, s34, s5
	s_mul_hi_u32 s2, s34, s4
	s_add_u32 s3, s13, s3
	s_addc_u32 s2, 0, s2
	s_mul_hi_u32 s16, s35, s5
	s_mul_i32 s5, s35, s5
	s_add_u32 s3, s3, s5
	s_mul_hi_u32 s13, s35, s4
	s_addc_u32 s2, s2, s16
	s_addc_u32 s3, s13, 0
	s_mul_i32 s4, s35, s4
	s_add_u32 s2, s2, s4
	s_addc_u32 s3, 0, s3
	s_mul_i32 s3, s28, s3
	s_mul_hi_u32 s4, s28, s2
	s_add_i32 s3, s4, s3
	s_mul_i32 s4, s29, s2
	s_mul_i32 s2, s28, s2
	s_add_i32 s13, s3, s4
	v_mov_b32_e32 v4, s2
	s_sub_i32 s3, s35, s13
	v_sub_co_u32_e32 v4, vcc, s34, v4
	s_cmp_lg_u64 vcc, 0
	s_subb_u32 s16, s3, s29
	v_subrev_co_u32_e64 v5, s[2:3], s28, v4
	s_cmp_lg_u64 s[2:3], 0
	s_subb_u32 s20, s16, 0
	s_cmp_ge_u32 s20, s29
	s_cselect_b32 s31, -1, 0
	v_cmp_le_u32_e64 s[4:5], s28, v5
	s_cmp_eq_u32 s20, s29
	v_cndmask_b32_e64 v6, 0, -1, s[4:5]
	v_mov_b32_e32 v7, s31
	s_cselect_b64 s[4:5], -1, 0
	s_cmp_lg_u64 s[2:3], 0
	v_cndmask_b32_e64 v6, v7, v6, s[4:5]
	s_subb_u32 s4, s16, s29
	v_subrev_co_u32_e64 v7, s[2:3], s28, v5
	s_cmp_lg_u64 s[2:3], 0
	s_subb_u32 s4, s4, 0
	v_cmp_ne_u32_e64 s[2:3], 0, v6
	v_cndmask_b32_e64 v5, v5, v7, s[2:3]
	v_mov_b32_e32 v6, s20
	v_mov_b32_e32 v7, s4
	s_cmp_lg_u64 vcc, 0
	v_cndmask_b32_e64 v6, v6, v7, s[2:3]
	s_subb_u32 s2, s35, s13
	s_cmp_ge_u32 s2, s29
	s_cselect_b32 s3, -1, 0
	v_cmp_le_u32_e32 vcc, s28, v4
	s_cmp_eq_u32 s2, s29
	v_cndmask_b32_e64 v7, 0, -1, vcc
	v_mov_b32_e32 v8, s3
	s_cselect_b64 vcc, -1, 0
	v_cndmask_b32_e32 v7, v8, v7, vcc
	v_cmp_ne_u32_e32 vcc, 0, v7
	v_mov_b32_e32 v8, s2
	v_cndmask_b32_e32 v4, v4, v5, vcc
	v_cndmask_b32_e32 v6, v8, v6, vcc
	v_xor_b32_e32 v4, s30, v4
	v_xor_b32_e32 v5, s30, v6
	v_mov_b32_e32 v6, s30
	v_subrev_co_u32_e32 v4, vcc, s30, v4
	v_subb_co_u32_e32 v5, vcc, v5, v6, vcc
	s_cbranch_execnz .LBB50_54
.LBB50_53:
	v_cvt_f32_u32_e32 v4, s18
	s_sub_i32 s2, 0, s18
	v_rcp_iflag_f32_e32 v4, v4
	v_mul_f32_e32 v4, 0x4f7ffffe, v4
	v_cvt_u32_f32_e32 v4, v4
	v_mul_lo_u32 v5, s2, v4
	v_mul_hi_u32 v5, v4, v5
	v_add_u32_e32 v4, v4, v5
	v_mul_hi_u32 v4, s24, v4
	v_mul_lo_u32 v4, v4, s18
	v_sub_u32_e32 v4, s24, v4
	v_subrev_u32_e32 v5, s18, v4
	v_cmp_le_u32_e32 vcc, s18, v4
	v_cndmask_b32_e32 v4, v4, v5, vcc
	v_subrev_u32_e32 v5, s18, v4
	v_cmp_le_u32_e32 vcc, s18, v4
	v_cndmask_b32_e32 v4, v4, v5, vcc
	v_mov_b32_e32 v5, 0
.LBB50_54:
	s_mov_b32 s4, 0x42fe0000
	v_div_scale_f32 v6, s[2:3], s4, s4, v1
	v_rcp_f32_e32 v7, v6
	v_div_scale_f32 v8, vcc, v1, s4, v1
	v_fma_f32 v9, -v6, v7, 1.0
	v_fmac_f32_e32 v7, v9, v7
	v_mul_f32_e32 v9, v8, v7
	v_fma_f32 v10, -v6, v9, v8
	v_fmac_f32_e32 v9, v10, v7
	v_fma_f32 v6, -v6, v9, v8
	v_div_fmas_f32 v6, v6, v7, v9
	v_div_fixup_f32 v1, v6, s4, v1
	v_mov_b32_e32 v6, s25
	v_sub_co_u32_e32 v4, vcc, s24, v4
	v_subb_co_u32_e32 v5, vcc, v6, v5, vcc
	v_mul_lo_u32 v5, v5, v2
	v_mul_lo_u32 v6, v4, v3
	v_mad_u64_u32 v[2:3], s[2:3], v4, v2, 0
	s_lshl_b64 s[2:3], s[6:7], 2
	v_add3_u32 v3, v3, v6, v5
	s_add_u32 s2, s2, s10
	v_lshlrev_b64 v[2:3], 2, v[2:3]
	s_addc_u32 s3, s3, s11
	v_mov_b32_e32 v4, s3
	v_add_co_u32_e32 v2, vcc, s2, v2
	v_max_f32_e32 v1, 0x34000000, v1
	v_addc_co_u32_e32 v3, vcc, v4, v3, vcc
	global_store_dword v[2:3], v1, off
.LBB50_55:
	s_or_b64 exec, exec, s[22:23]
	s_barrier
	s_and_saveexec_b64 s[2:3], s[0:1]
	s_cbranch_execz .LBB50_67
; %bb.56:
	s_add_u32 s1, s18, s46
	s_addc_u32 s2, s19, 0
	s_add_u32 s4, s1, -1
	s_addc_u32 s5, s2, -1
	s_or_b64 s[2:3], s[4:5], s[18:19]
	s_mov_b32 s0, 0
	s_mov_b32 s1, s3
	s_cmp_lg_u64 s[0:1], 0
	s_mov_b64 s[22:23], -1
	s_cbranch_scc0 .LBB50_69
; %bb.57:
	s_ashr_i32 s0, s19, 31
	s_add_u32 s2, s18, s0
	s_mov_b32 s1, s0
	s_addc_u32 s3, s19, s0
	s_xor_b64 s[24:25], s[2:3], s[0:1]
	v_cvt_f32_u32_e32 v1, s24
	v_cvt_f32_u32_e32 v2, s25
	s_sub_u32 s0, 0, s24
	s_subb_u32 s1, 0, s25
	v_madmk_f32 v1, v2, 0x4f800000, v1
	v_rcp_f32_e32 v1, v1
	v_mul_f32_e32 v1, 0x5f7ffffc, v1
	v_mul_f32_e32 v2, 0x2f800000, v1
	v_trunc_f32_e32 v2, v2
	v_madmk_f32 v1, v2, 0xcf800000, v1
	v_cvt_u32_f32_e32 v2, v2
	v_cvt_u32_f32_e32 v1, v1
	v_readfirstlane_b32 s2, v2
	v_readfirstlane_b32 s3, v1
	s_mul_i32 s13, s0, s2
	s_mul_hi_u32 s19, s0, s3
	s_mul_i32 s16, s1, s3
	s_add_i32 s13, s19, s13
	s_add_i32 s13, s13, s16
	s_mul_i32 s20, s0, s3
	s_mul_hi_u32 s16, s3, s13
	s_mul_i32 s19, s3, s13
	s_mul_hi_u32 s3, s3, s20
	s_add_u32 s3, s3, s19
	s_addc_u32 s16, 0, s16
	s_mul_hi_u32 s26, s2, s20
	s_mul_i32 s20, s2, s20
	s_add_u32 s3, s3, s20
	s_mul_hi_u32 s19, s2, s13
	s_addc_u32 s3, s16, s26
	s_addc_u32 s16, s19, 0
	s_mul_i32 s13, s2, s13
	s_add_u32 s3, s3, s13
	s_addc_u32 s13, 0, s16
	v_add_co_u32_e32 v1, vcc, s3, v1
	s_cmp_lg_u64 vcc, 0
	s_addc_u32 s2, s2, s13
	v_readfirstlane_b32 s13, v1
	s_mul_i32 s3, s0, s2
	s_mul_hi_u32 s16, s0, s13
	s_add_i32 s3, s16, s3
	s_mul_i32 s1, s1, s13
	s_add_i32 s3, s3, s1
	s_mul_i32 s0, s0, s13
	s_mul_hi_u32 s16, s2, s0
	s_mul_i32 s19, s2, s0
	s_mul_i32 s26, s13, s3
	s_mul_hi_u32 s0, s13, s0
	s_mul_hi_u32 s20, s13, s3
	s_add_u32 s0, s0, s26
	s_addc_u32 s13, 0, s20
	s_add_u32 s0, s0, s19
	s_mul_hi_u32 s1, s2, s3
	s_addc_u32 s0, s13, s16
	s_addc_u32 s1, s1, 0
	s_mul_i32 s3, s2, s3
	s_add_u32 s0, s0, s3
	s_addc_u32 s1, 0, s1
	v_add_co_u32_e32 v1, vcc, s0, v1
	s_cmp_lg_u64 vcc, 0
	s_addc_u32 s2, s2, s1
	s_ashr_i32 s26, s5, 31
	s_add_u32 s0, s4, s26
	s_mov_b32 s27, s26
	s_addc_u32 s1, s5, s26
	s_xor_b64 s[28:29], s[0:1], s[26:27]
	v_readfirstlane_b32 s3, v1
	s_mul_i32 s1, s28, s2
	s_mul_hi_u32 s13, s28, s3
	s_mul_hi_u32 s0, s28, s2
	s_add_u32 s1, s13, s1
	s_addc_u32 s0, 0, s0
	s_mul_hi_u32 s16, s29, s3
	s_mul_i32 s3, s29, s3
	s_add_u32 s1, s1, s3
	s_mul_hi_u32 s13, s29, s2
	s_addc_u32 s0, s0, s16
	s_addc_u32 s1, s13, 0
	s_mul_i32 s2, s29, s2
	s_add_u32 s0, s0, s2
	s_addc_u32 s1, 0, s1
	s_mul_i32 s1, s24, s1
	s_mul_hi_u32 s2, s24, s0
	s_add_i32 s1, s2, s1
	s_mul_i32 s2, s25, s0
	s_mul_i32 s0, s24, s0
	s_add_i32 s13, s1, s2
	v_mov_b32_e32 v1, s0
	s_sub_i32 s1, s29, s13
	v_sub_co_u32_e32 v1, vcc, s28, v1
	s_cmp_lg_u64 vcc, 0
	s_subb_u32 s16, s1, s25
	v_subrev_co_u32_e64 v2, s[0:1], s24, v1
	s_cmp_lg_u64 s[0:1], 0
	s_subb_u32 s19, s16, 0
	s_cmp_ge_u32 s19, s25
	s_cselect_b32 s20, -1, 0
	v_cmp_le_u32_e64 s[2:3], s24, v2
	s_cmp_eq_u32 s19, s25
	v_cndmask_b32_e64 v3, 0, -1, s[2:3]
	v_mov_b32_e32 v4, s20
	s_cselect_b64 s[2:3], -1, 0
	s_cmp_lg_u64 s[0:1], 0
	v_cndmask_b32_e64 v3, v4, v3, s[2:3]
	s_subb_u32 s2, s16, s25
	v_subrev_co_u32_e64 v4, s[0:1], s24, v2
	s_cmp_lg_u64 s[0:1], 0
	s_subb_u32 s2, s2, 0
	v_cmp_ne_u32_e64 s[0:1], 0, v3
	v_cndmask_b32_e64 v2, v2, v4, s[0:1]
	v_mov_b32_e32 v3, s19
	v_mov_b32_e32 v4, s2
	s_cmp_lg_u64 vcc, 0
	v_cndmask_b32_e64 v3, v3, v4, s[0:1]
	s_subb_u32 s0, s29, s13
	s_cmp_ge_u32 s0, s25
	s_cselect_b32 s1, -1, 0
	v_cmp_le_u32_e32 vcc, s24, v1
	s_cmp_eq_u32 s0, s25
	v_cndmask_b32_e64 v4, 0, -1, vcc
	v_mov_b32_e32 v5, s1
	s_cselect_b64 vcc, -1, 0
	v_cndmask_b32_e32 v4, v5, v4, vcc
	v_cmp_ne_u32_e32 vcc, 0, v4
	v_mov_b32_e32 v5, s0
	v_cndmask_b32_e32 v1, v1, v2, vcc
	v_cndmask_b32_e32 v3, v5, v3, vcc
	v_xor_b32_e32 v1, s26, v1
	v_xor_b32_e32 v3, s26, v3
	v_mov_b32_e32 v4, s26
	v_subrev_co_u32_e32 v2, vcc, s26, v1
	v_subb_co_u32_e32 v3, vcc, v3, v4, vcc
	s_cbranch_execnz .LBB50_59
.LBB50_58:
	v_cvt_f32_u32_e32 v1, s18
	s_sub_i32 s0, 0, s18
	v_mov_b32_e32 v3, 0
	v_rcp_iflag_f32_e32 v1, v1
	v_mul_f32_e32 v1, 0x4f7ffffe, v1
	v_cvt_u32_f32_e32 v1, v1
	v_mul_lo_u32 v2, s0, v1
	v_mul_hi_u32 v2, v1, v2
	v_add_u32_e32 v1, v1, v2
	v_mul_hi_u32 v1, s4, v1
	v_mul_lo_u32 v1, v1, s18
	v_sub_u32_e32 v1, s4, v1
	v_subrev_u32_e32 v2, s18, v1
	v_cmp_le_u32_e32 vcc, s18, v1
	v_cndmask_b32_e32 v1, v1, v2, vcc
	v_subrev_u32_e32 v2, s18, v1
	v_cmp_le_u32_e32 vcc, s18, v1
	v_cndmask_b32_e32 v2, v1, v2, vcc
.LBB50_59:
	s_mul_i32 s0, s21, s6
	s_mul_hi_u32 s1, s17, s6
	s_add_i32 s1, s1, s0
	s_mul_i32 s0, s17, s6
	s_add_u32 s13, s8, s0
	s_addc_u32 s18, s9, s1
	s_lshl_b64 s[0:1], s[6:7], 2
	s_add_u32 s19, s10, s0
	s_addc_u32 s20, s11, s1
	v_mov_b32_e32 v1, s5
	v_sub_co_u32_e32 v6, vcc, s4, v2
	v_subb_co_u32_e32 v7, vcc, v1, v3, vcc
	s_mul_i32 s21, s45, 3
	s_lshl_b32 s22, s45, 1
	s_mov_b64 s[2:3], 0
	v_mov_b32_e32 v1, 0
	v_mov_b32_e32 v8, s44
	;; [unrolled: 1-line block ×4, first 2 shown]
	s_mov_b32 s23, 0x42fe0000
	v_mov_b32_e32 v11, 0x42fe0000
	s_mov_b32 s24, 0xc3000000
	v_mov_b32_e32 v12, 0xc3000000
	v_mov_b32_e32 v13, s18
	;; [unrolled: 1-line block ×3, first 2 shown]
                                        ; implicit-def: $sgpr4_sgpr5
	s_branch .LBB50_63
.LBB50_60:                              ;   in Loop: Header=BB50_63 Depth=1
	s_or_b64 exec, exec, s[10:11]
	s_orn2_b64 s[10:11], s[16:17], exec
.LBB50_61:                              ;   in Loop: Header=BB50_63 Depth=1
	s_or_b64 exec, exec, s[8:9]
	s_andn2_b64 s[0:1], s[4:5], exec
	s_and_b64 s[4:5], s[10:11], exec
	s_or_b64 s[4:5], s[0:1], s[4:5]
.LBB50_62:                              ;   in Loop: Header=BB50_63 Depth=1
	s_or_b64 exec, exec, s[6:7]
	s_and_b64 s[0:1], exec, s[4:5]
	s_or_b64 s[2:3], s[0:1], s[2:3]
	s_andn2_b64 exec, exec, s[2:3]
	s_cbranch_execz .LBB50_67
.LBB50_63:                              ; =>This Inner Loop Header: Depth=1
	v_lshlrev_b64 v[2:3], 3, v[0:1]
	v_add_co_u32_e32 v4, vcc, s33, v2
	v_addc_co_u32_e32 v5, vcc, v8, v3, vcc
	v_add_co_u32_e32 v2, vcc, s14, v2
	v_addc_co_u32_e32 v3, vcc, v9, v3, vcc
	v_bfe_u32 v15, v0, 5, 25
	global_load_dwordx2 v[16:17], v[2:3], off
	v_mad_u64_u32 v[2:3], s[0:1], v6, v15, 0
	v_mov_b32_e32 v18, v3
	v_mad_u64_u32 v[18:19], s[0:1], v7, v15, v[18:19]
	v_mov_b32_e32 v3, v18
	v_lshlrev_b64 v[2:3], 2, v[2:3]
	v_add_co_u32_e32 v2, vcc, s19, v2
	global_load_dwordx2 v[4:5], v[4:5], off
	v_addc_co_u32_e32 v3, vcc, v10, v3, vcc
	global_load_dword v3, v[2:3], off
	v_lshlrev_b64 v[18:19], 2, v[0:1]
	v_add_co_u32_e32 v18, vcc, s13, v18
	v_addc_co_u32_e32 v19, vcc, v13, v19, vcc
	v_add_u32_e32 v2, s45, v0
	v_cmp_gt_u32_e64 s[0:1], s12, v2
	s_or_b64 s[4:5], s[4:5], exec
	s_waitcnt vmcnt(1)
	v_fma_mixlo_f16 v15, v36, v4, 0 op_sel_hi:[0,1,0]
	v_fma_mixlo_f16 v4, v36, v4, 0 op_sel:[0,1,0] op_sel_hi:[0,1,0]
	v_fma_mixlo_f16 v20, v36, v5, 0 op_sel_hi:[0,1,0]
	v_fma_mixlo_f16 v5, v36, v5, 0 op_sel:[0,1,0] op_sel_hi:[0,1,0]
	v_mul_f16_e32 v15, v16, v15
	v_mul_f16_sdwa v4, v16, v4 dst_sel:DWORD dst_unused:UNUSED_PAD src0_sel:WORD_1 src1_sel:DWORD
	v_mul_f16_e32 v16, v17, v20
	v_mul_f16_sdwa v5, v17, v5 dst_sel:DWORD dst_unused:UNUSED_PAD src0_sel:WORD_1 src1_sel:DWORD
	s_waitcnt vmcnt(0)
	v_div_scale_f32 v17, s[6:7], v3, v3, 1.0
	v_rcp_f32_e32 v20, v17
	v_div_scale_f32 v21, vcc, 1.0, v3, 1.0
	v_cvt_f32_f16_e32 v15, v15
	v_fma_f32 v22, -v17, v20, 1.0
	v_fmac_f32_e32 v20, v22, v20
	v_mul_f32_e32 v22, v21, v20
	v_fma_f32 v23, -v17, v22, v21
	v_fmac_f32_e32 v22, v23, v20
	v_cvt_f32_f16_e32 v4, v4
	v_cvt_f32_f16_e32 v16, v16
	;; [unrolled: 1-line block ×3, first 2 shown]
	v_fma_f32 v17, -v17, v22, v21
	v_div_fmas_f32 v17, v17, v20, v22
	v_div_fixup_f32 v3, v17, v3, 1.0
	v_mul_f32_e32 v15, v3, v15
	v_mul_f32_e32 v4, v3, v4
	;; [unrolled: 1-line block ×4, first 2 shown]
	v_rndne_f32_e32 v5, v15
	v_rndne_f32_e32 v4, v4
	v_cmp_nlt_f32_e32 vcc, s23, v5
	v_rndne_f32_e32 v15, v16
	v_cndmask_b32_e32 v16, v11, v5, vcc
	v_cmp_nlt_f32_e32 vcc, s23, v4
	v_rndne_f32_e32 v3, v3
	v_cndmask_b32_e32 v17, v11, v4, vcc
	v_cmp_nlt_f32_e32 vcc, s23, v15
	v_cndmask_b32_e32 v20, v11, v15, vcc
	v_cmp_nlt_f32_e32 vcc, s23, v3
	v_cndmask_b32_e32 v21, v11, v3, vcc
	v_cmp_ngt_f32_e32 vcc, s24, v5
	v_cndmask_b32_e32 v5, v12, v16, vcc
	v_cmp_ngt_f32_e32 vcc, s24, v4
	;; [unrolled: 2-line block ×4, first 2 shown]
	v_cvt_i32_f32_e32 v15, v15
	v_cndmask_b32_e32 v3, v12, v21, vcc
	v_cvt_i32_f32_e32 v4, v4
	v_cvt_i32_f32_e32 v5, v5
	;; [unrolled: 1-line block ×3, first 2 shown]
	v_and_b32_e32 v15, 0xff, v15
	v_lshlrev_b32_e32 v15, 16, v15
	v_lshlrev_b32_sdwa v4, v14, v4 dst_sel:DWORD dst_unused:UNUSED_PAD src0_sel:DWORD src1_sel:BYTE_0
	v_and_b32_e32 v5, 0xff, v5
	v_lshl_or_b32 v3, v3, 24, v15
	v_or3_b32 v3, v3, v4, v5
	global_store_dword v[18:19], v3, off
	s_and_saveexec_b64 s[6:7], s[0:1]
	s_cbranch_execz .LBB50_62
; %bb.64:                               ;   in Loop: Header=BB50_63 Depth=1
	v_mov_b32_e32 v3, v1
	v_lshlrev_b64 v[4:5], 3, v[2:3]
	v_add_co_u32_e32 v16, vcc, s33, v4
	v_addc_co_u32_e32 v17, vcc, v8, v5, vcc
	v_add_co_u32_e32 v4, vcc, s14, v4
	v_addc_co_u32_e32 v5, vcc, v9, v5, vcc
	v_bfe_u32 v15, v2, 5, 25
	global_load_dwordx2 v[18:19], v[4:5], off
	v_mad_u64_u32 v[4:5], s[0:1], v6, v15, 0
	v_mov_b32_e32 v20, v5
	v_mad_u64_u32 v[20:21], s[0:1], v7, v15, v[20:21]
	v_mov_b32_e32 v5, v20
	v_lshlrev_b64 v[4:5], 2, v[4:5]
	v_add_co_u32_e32 v4, vcc, s19, v4
	global_load_dwordx2 v[16:17], v[16:17], off
	v_addc_co_u32_e32 v5, vcc, v10, v5, vcc
	global_load_dword v5, v[4:5], off
	v_lshlrev_b64 v[20:21], 2, v[2:3]
	v_add_co_u32_e32 v20, vcc, s13, v20
	v_addc_co_u32_e32 v21, vcc, v13, v21, vcc
	v_add_u32_e32 v4, s22, v0
	v_cmp_gt_u32_e64 s[0:1], s12, v4
	s_mov_b64 s[10:11], -1
	s_waitcnt vmcnt(1)
	v_fma_mixlo_f16 v3, v36, v16, 0 op_sel_hi:[0,1,0]
	v_fma_mixlo_f16 v15, v36, v16, 0 op_sel:[0,1,0] op_sel_hi:[0,1,0]
	v_fma_mixlo_f16 v16, v36, v17, 0 op_sel_hi:[0,1,0]
	v_fma_mixlo_f16 v17, v36, v17, 0 op_sel:[0,1,0] op_sel_hi:[0,1,0]
	v_mul_f16_e32 v3, v18, v3
	v_mul_f16_sdwa v15, v18, v15 dst_sel:DWORD dst_unused:UNUSED_PAD src0_sel:WORD_1 src1_sel:DWORD
	s_waitcnt vmcnt(0)
	v_div_scale_f32 v18, s[8:9], v5, v5, 1.0
	v_mul_f16_e32 v16, v19, v16
	v_mul_f16_sdwa v17, v19, v17 dst_sel:DWORD dst_unused:UNUSED_PAD src0_sel:WORD_1 src1_sel:DWORD
	v_rcp_f32_e32 v19, v18
	v_div_scale_f32 v22, vcc, 1.0, v5, 1.0
	v_cvt_f32_f16_e32 v3, v3
	v_fma_f32 v23, -v18, v19, 1.0
	v_fmac_f32_e32 v19, v23, v19
	v_mul_f32_e32 v23, v22, v19
	v_fma_f32 v24, -v18, v23, v22
	v_fmac_f32_e32 v23, v24, v19
	v_cvt_f32_f16_e32 v15, v15
	v_fma_f32 v18, -v18, v23, v22
	v_cvt_f32_f16_e32 v16, v16
	v_div_fmas_f32 v18, v18, v19, v23
	v_cvt_f32_f16_e32 v17, v17
	v_div_fixup_f32 v5, v18, v5, 1.0
	v_mul_f32_e32 v3, v5, v3
	v_mul_f32_e32 v15, v5, v15
	v_rndne_f32_e32 v3, v3
	v_mul_f32_e32 v16, v5, v16
	v_rndne_f32_e32 v15, v15
	v_cmp_nlt_f32_e32 vcc, s23, v3
	v_mul_f32_e32 v5, v5, v17
	v_rndne_f32_e32 v16, v16
	v_cndmask_b32_e32 v17, v11, v3, vcc
	v_cmp_nlt_f32_e32 vcc, s23, v15
	v_rndne_f32_e32 v5, v5
	v_cndmask_b32_e32 v18, v11, v15, vcc
	v_cmp_nlt_f32_e32 vcc, s23, v16
	v_cndmask_b32_e32 v19, v11, v16, vcc
	v_cmp_nlt_f32_e32 vcc, s23, v5
	v_cndmask_b32_e32 v22, v11, v5, vcc
	v_cmp_ngt_f32_e32 vcc, s24, v3
	v_cndmask_b32_e32 v3, v12, v17, vcc
	v_cmp_ngt_f32_e32 vcc, s24, v15
	v_cndmask_b32_e32 v15, v12, v18, vcc
	v_cmp_ngt_f32_e32 vcc, s24, v16
	v_cndmask_b32_e32 v16, v12, v19, vcc
	v_cmp_ngt_f32_e32 vcc, s24, v5
	v_cvt_i32_f32_e32 v16, v16
	v_cndmask_b32_e32 v5, v12, v22, vcc
	v_cvt_i32_f32_e32 v15, v15
	v_cvt_i32_f32_e32 v3, v3
	;; [unrolled: 1-line block ×3, first 2 shown]
	v_and_b32_e32 v16, 0xff, v16
	v_lshlrev_b32_e32 v16, 16, v16
	v_lshlrev_b32_sdwa v15, v14, v15 dst_sel:DWORD dst_unused:UNUSED_PAD src0_sel:DWORD src1_sel:BYTE_0
	v_and_b32_e32 v3, 0xff, v3
	v_lshl_or_b32 v5, v5, 24, v16
	v_or3_b32 v3, v5, v15, v3
	global_store_dword v[20:21], v3, off
	s_and_saveexec_b64 s[8:9], s[0:1]
	s_cbranch_execz .LBB50_61
; %bb.65:                               ;   in Loop: Header=BB50_63 Depth=1
	v_mov_b32_e32 v5, v1
	v_lshlrev_b64 v[16:17], 3, v[4:5]
	v_mov_b32_e32 v3, s44
	v_add_co_u32_e32 v18, vcc, s33, v16
	v_addc_co_u32_e32 v19, vcc, v3, v17, vcc
	v_mov_b32_e32 v3, s15
	v_add_co_u32_e32 v16, vcc, s14, v16
	v_addc_co_u32_e32 v17, vcc, v3, v17, vcc
	v_bfe_u32 v3, v4, 5, 25
	v_mad_u64_u32 v[20:21], s[0:1], v6, v3, 0
	v_mov_b32_e32 v22, v21
	v_mad_u64_u32 v[22:23], s[0:1], v7, v3, v[22:23]
	v_mov_b32_e32 v21, v22
	v_lshlrev_b64 v[20:21], 2, v[20:21]
	v_mov_b32_e32 v3, s20
	v_add_co_u32_e32 v20, vcc, s19, v20
	global_load_dwordx2 v[18:19], v[18:19], off
	v_addc_co_u32_e32 v21, vcc, v3, v21, vcc
	global_load_dwordx2 v[16:17], v[16:17], off
	v_lshlrev_b64 v[4:5], 2, v[4:5]
	global_load_dword v3, v[20:21], off
	v_mov_b32_e32 v15, s18
	v_add_co_u32_e32 v4, vcc, s13, v4
	v_addc_co_u32_e32 v5, vcc, v15, v5, vcc
	v_add_u32_e32 v0, s21, v0
	v_cmp_gt_u32_e64 s[0:1], s12, v0
	s_mov_b64 s[16:17], -1
	s_waitcnt vmcnt(2)
	v_fma_mixlo_f16 v15, v36, v18, 0 op_sel_hi:[0,1,0]
	v_fma_mixlo_f16 v18, v36, v18, 0 op_sel:[0,1,0] op_sel_hi:[0,1,0]
	v_fma_mixlo_f16 v20, v36, v19, 0 op_sel_hi:[0,1,0]
	v_fma_mixlo_f16 v19, v36, v19, 0 op_sel:[0,1,0] op_sel_hi:[0,1,0]
	s_waitcnt vmcnt(1)
	v_mul_f16_e32 v15, v16, v15
	v_mul_f16_sdwa v16, v16, v18 dst_sel:DWORD dst_unused:UNUSED_PAD src0_sel:WORD_1 src1_sel:DWORD
	v_mul_f16_e32 v18, v17, v20
	v_mul_f16_sdwa v17, v17, v19 dst_sel:DWORD dst_unused:UNUSED_PAD src0_sel:WORD_1 src1_sel:DWORD
	s_waitcnt vmcnt(0)
	v_div_scale_f32 v19, s[10:11], v3, v3, 1.0
	v_rcp_f32_e32 v20, v19
	v_div_scale_f32 v21, vcc, 1.0, v3, 1.0
	v_cvt_f32_f16_e32 v15, v15
	v_fma_f32 v22, -v19, v20, 1.0
	v_fmac_f32_e32 v20, v22, v20
	v_mul_f32_e32 v22, v21, v20
	v_fma_f32 v23, -v19, v22, v21
	v_fmac_f32_e32 v22, v23, v20
	v_cvt_f32_f16_e32 v16, v16
	v_fma_f32 v19, -v19, v22, v21
	v_cvt_f32_f16_e32 v18, v18
	v_div_fmas_f32 v19, v19, v20, v22
	v_cvt_f32_f16_e32 v17, v17
	v_div_fixup_f32 v3, v19, v3, 1.0
	v_mul_f32_e32 v15, v3, v15
	v_mul_f32_e32 v16, v3, v16
	v_rndne_f32_e32 v15, v15
	v_mul_f32_e32 v18, v3, v18
	v_rndne_f32_e32 v16, v16
	v_cmp_nlt_f32_e32 vcc, s23, v15
	v_mul_f32_e32 v3, v3, v17
	v_rndne_f32_e32 v17, v18
	v_cndmask_b32_e32 v18, v11, v15, vcc
	v_cmp_nlt_f32_e32 vcc, s23, v16
	v_rndne_f32_e32 v3, v3
	v_cndmask_b32_e32 v19, v11, v16, vcc
	v_cmp_nlt_f32_e32 vcc, s23, v17
	v_cndmask_b32_e32 v20, v11, v17, vcc
	v_cmp_nlt_f32_e32 vcc, s23, v3
	v_cndmask_b32_e32 v21, v11, v3, vcc
	v_cmp_ngt_f32_e32 vcc, s24, v15
	v_cndmask_b32_e32 v15, v12, v18, vcc
	v_cmp_ngt_f32_e32 vcc, s24, v16
	v_cndmask_b32_e32 v16, v12, v19, vcc
	v_cmp_ngt_f32_e32 vcc, s24, v17
	v_cndmask_b32_e32 v17, v12, v20, vcc
	v_cmp_ngt_f32_e32 vcc, s24, v3
	v_cvt_i32_f32_e32 v17, v17
	v_cndmask_b32_e32 v3, v12, v21, vcc
	v_cvt_i32_f32_e32 v16, v16
	v_cvt_i32_f32_e32 v15, v15
	;; [unrolled: 1-line block ×3, first 2 shown]
	v_and_b32_e32 v17, 0xff, v17
	v_lshlrev_b32_e32 v17, 16, v17
	v_lshlrev_b32_sdwa v16, v14, v16 dst_sel:DWORD dst_unused:UNUSED_PAD src0_sel:DWORD src1_sel:BYTE_0
	v_and_b32_e32 v15, 0xff, v15
	v_lshl_or_b32 v3, v3, 24, v17
	v_or3_b32 v3, v3, v16, v15
	global_store_dword v[4:5], v3, off
	s_and_saveexec_b64 s[10:11], s[0:1]
	s_cbranch_execz .LBB50_60
; %bb.66:                               ;   in Loop: Header=BB50_63 Depth=1
	v_lshlrev_b64 v[4:5], 3, v[0:1]
	v_mov_b32_e32 v3, s44
	v_add_co_u32_e32 v16, vcc, s33, v4
	v_addc_co_u32_e32 v17, vcc, v3, v5, vcc
	v_mov_b32_e32 v3, s15
	v_add_co_u32_e32 v4, vcc, s14, v4
	v_addc_co_u32_e32 v5, vcc, v3, v5, vcc
	v_bfe_u32 v3, v0, 5, 25
	v_mad_u64_u32 v[18:19], s[0:1], v6, v3, 0
	v_mov_b32_e32 v20, v19
	v_mad_u64_u32 v[20:21], s[0:1], v7, v3, v[20:21]
	v_mov_b32_e32 v19, v20
	v_lshlrev_b64 v[18:19], 2, v[18:19]
	v_mov_b32_e32 v3, s20
	v_add_co_u32_e32 v18, vcc, s19, v18
	global_load_dwordx2 v[16:17], v[16:17], off
	v_addc_co_u32_e32 v19, vcc, v3, v19, vcc
	global_load_dwordx2 v[4:5], v[4:5], off
	s_add_i32 s0, s45, s45
	global_load_dword v3, v[18:19], off
	v_lshlrev_b64 v[18:19], 2, v[0:1]
	v_mov_b32_e32 v0, s18
	v_add_co_u32_e32 v18, vcc, s13, v18
	s_add_i32 s0, s0, s45
	v_addc_co_u32_e32 v19, vcc, v0, v19, vcc
	v_add_u32_e32 v0, s0, v2
	v_cmp_le_u32_e64 s[0:1], s12, v0
	s_waitcnt vmcnt(2)
	v_fma_mixlo_f16 v2, v36, v16, 0 op_sel_hi:[0,1,0]
	v_fma_mixlo_f16 v15, v36, v16, 0 op_sel:[0,1,0] op_sel_hi:[0,1,0]
	v_fma_mixlo_f16 v16, v36, v17, 0 op_sel_hi:[0,1,0]
	v_fma_mixlo_f16 v17, v36, v17, 0 op_sel:[0,1,0] op_sel_hi:[0,1,0]
	s_waitcnt vmcnt(1)
	v_mul_f16_e32 v2, v4, v2
	v_mul_f16_sdwa v4, v4, v15 dst_sel:DWORD dst_unused:UNUSED_PAD src0_sel:WORD_1 src1_sel:DWORD
	v_mul_f16_e32 v15, v5, v16
	s_waitcnt vmcnt(0)
	v_div_scale_f32 v16, s[16:17], v3, v3, 1.0
	v_mul_f16_sdwa v5, v5, v17 dst_sel:DWORD dst_unused:UNUSED_PAD src0_sel:WORD_1 src1_sel:DWORD
	v_rcp_f32_e32 v17, v16
	v_div_scale_f32 v20, vcc, 1.0, v3, 1.0
	v_cvt_f32_f16_e32 v2, v2
	v_fma_f32 v21, -v16, v17, 1.0
	v_fmac_f32_e32 v17, v21, v17
	v_mul_f32_e32 v21, v20, v17
	v_fma_f32 v22, -v16, v21, v20
	v_fmac_f32_e32 v21, v22, v17
	v_cvt_f32_f16_e32 v4, v4
	v_fma_f32 v16, -v16, v21, v20
	v_cvt_f32_f16_e32 v15, v15
	v_div_fmas_f32 v16, v16, v17, v21
	v_cvt_f32_f16_e32 v5, v5
	v_div_fixup_f32 v3, v16, v3, 1.0
	v_mul_f32_e32 v2, v3, v2
	v_mul_f32_e32 v4, v3, v4
	v_rndne_f32_e32 v2, v2
	v_mul_f32_e32 v15, v3, v15
	v_rndne_f32_e32 v4, v4
	v_cmp_nlt_f32_e32 vcc, s23, v2
	v_mul_f32_e32 v3, v3, v5
	v_rndne_f32_e32 v5, v15
	v_cndmask_b32_e32 v15, v11, v2, vcc
	v_cmp_nlt_f32_e32 vcc, s23, v4
	v_rndne_f32_e32 v3, v3
	v_cndmask_b32_e32 v16, v11, v4, vcc
	v_cmp_nlt_f32_e32 vcc, s23, v5
	v_cndmask_b32_e32 v17, v11, v5, vcc
	v_cmp_nlt_f32_e32 vcc, s23, v3
	v_cndmask_b32_e32 v20, v11, v3, vcc
	v_cmp_ngt_f32_e32 vcc, s24, v2
	v_cndmask_b32_e32 v2, v12, v15, vcc
	v_cmp_ngt_f32_e32 vcc, s24, v4
	;; [unrolled: 2-line block ×4, first 2 shown]
	v_cvt_i32_f32_e32 v5, v5
	v_cndmask_b32_e32 v3, v12, v20, vcc
	v_cvt_i32_f32_e32 v4, v4
	v_cvt_i32_f32_e32 v2, v2
	;; [unrolled: 1-line block ×3, first 2 shown]
	v_and_b32_e32 v5, 0xff, v5
	v_lshlrev_b32_e32 v5, 16, v5
	v_lshlrev_b32_sdwa v4, v14, v4 dst_sel:DWORD dst_unused:UNUSED_PAD src0_sel:DWORD src1_sel:BYTE_0
	v_and_b32_e32 v2, 0xff, v2
	v_lshl_or_b32 v3, v3, 24, v5
	v_or3_b32 v2, v3, v4, v2
	s_orn2_b64 s[16:17], s[0:1], exec
	global_store_dword v[18:19], v2, off
	s_branch .LBB50_60
.LBB50_67:
	s_endpgm
.LBB50_68:
                                        ; implicit-def: $vgpr4_vgpr5
	s_andn2_b64 vcc, exec, s[26:27]
	s_cbranch_vccz .LBB50_53
	s_branch .LBB50_54
.LBB50_69:
                                        ; implicit-def: $vgpr2_vgpr3
	s_andn2_b64 vcc, exec, s[22:23]
	s_cbranch_vccz .LBB50_58
	s_branch .LBB50_59
	.section	.rodata,"a",@progbits
	.p2align	6, 0x0
	.amdhsa_kernel _ZN4vllm31rms_norm_per_block_quant_kernelIN3c104HalfEaLb0ELb1ELi128EEEvPT0_PfPKT_S8_PKffiiPS6_l
		.amdhsa_group_segment_fixed_size 4164
		.amdhsa_private_segment_fixed_size 0
		.amdhsa_kernarg_size 328
		.amdhsa_user_sgpr_count 6
		.amdhsa_user_sgpr_private_segment_buffer 1
		.amdhsa_user_sgpr_dispatch_ptr 0
		.amdhsa_user_sgpr_queue_ptr 0
		.amdhsa_user_sgpr_kernarg_segment_ptr 1
		.amdhsa_user_sgpr_dispatch_id 0
		.amdhsa_user_sgpr_flat_scratch_init 0
		.amdhsa_user_sgpr_kernarg_preload_length 0
		.amdhsa_user_sgpr_kernarg_preload_offset 0
		.amdhsa_user_sgpr_private_segment_size 0
		.amdhsa_uses_dynamic_stack 0
		.amdhsa_system_sgpr_private_segment_wavefront_offset 0
		.amdhsa_system_sgpr_workgroup_id_x 1
		.amdhsa_system_sgpr_workgroup_id_y 0
		.amdhsa_system_sgpr_workgroup_id_z 0
		.amdhsa_system_sgpr_workgroup_info 0
		.amdhsa_system_vgpr_workitem_id 0
		.amdhsa_next_free_vgpr 40
		.amdhsa_next_free_sgpr 47
		.amdhsa_accum_offset 40
		.amdhsa_reserve_vcc 1
		.amdhsa_reserve_flat_scratch 0
		.amdhsa_float_round_mode_32 0
		.amdhsa_float_round_mode_16_64 0
		.amdhsa_float_denorm_mode_32 3
		.amdhsa_float_denorm_mode_16_64 3
		.amdhsa_dx10_clamp 1
		.amdhsa_ieee_mode 1
		.amdhsa_fp16_overflow 0
		.amdhsa_tg_split 0
		.amdhsa_exception_fp_ieee_invalid_op 0
		.amdhsa_exception_fp_denorm_src 0
		.amdhsa_exception_fp_ieee_div_zero 0
		.amdhsa_exception_fp_ieee_overflow 0
		.amdhsa_exception_fp_ieee_underflow 0
		.amdhsa_exception_fp_ieee_inexact 0
		.amdhsa_exception_int_div_zero 0
	.end_amdhsa_kernel
	.section	.text._ZN4vllm31rms_norm_per_block_quant_kernelIN3c104HalfEaLb0ELb1ELi128EEEvPT0_PfPKT_S8_PKffiiPS6_l,"axG",@progbits,_ZN4vllm31rms_norm_per_block_quant_kernelIN3c104HalfEaLb0ELb1ELi128EEEvPT0_PfPKT_S8_PKffiiPS6_l,comdat
.Lfunc_end50:
	.size	_ZN4vllm31rms_norm_per_block_quant_kernelIN3c104HalfEaLb0ELb1ELi128EEEvPT0_PfPKT_S8_PKffiiPS6_l, .Lfunc_end50-_ZN4vllm31rms_norm_per_block_quant_kernelIN3c104HalfEaLb0ELb1ELi128EEEvPT0_PfPKT_S8_PKffiiPS6_l
                                        ; -- End function
	.section	.AMDGPU.csdata,"",@progbits
; Kernel info:
; codeLenInByte = 7520
; NumSgprs: 51
; NumVgprs: 40
; NumAgprs: 0
; TotalNumVgprs: 40
; ScratchSize: 0
; MemoryBound: 0
; FloatMode: 240
; IeeeMode: 1
; LDSByteSize: 4164 bytes/workgroup (compile time only)
; SGPRBlocks: 6
; VGPRBlocks: 4
; NumSGPRsForWavesPerEU: 51
; NumVGPRsForWavesPerEU: 40
; AccumOffset: 40
; Occupancy: 8
; WaveLimiterHint : 0
; COMPUTE_PGM_RSRC2:SCRATCH_EN: 0
; COMPUTE_PGM_RSRC2:USER_SGPR: 6
; COMPUTE_PGM_RSRC2:TRAP_HANDLER: 0
; COMPUTE_PGM_RSRC2:TGID_X_EN: 1
; COMPUTE_PGM_RSRC2:TGID_Y_EN: 0
; COMPUTE_PGM_RSRC2:TGID_Z_EN: 0
; COMPUTE_PGM_RSRC2:TIDIG_COMP_CNT: 0
; COMPUTE_PGM_RSRC3_GFX90A:ACCUM_OFFSET: 9
; COMPUTE_PGM_RSRC3_GFX90A:TG_SPLIT: 0
	.section	.text._ZN4vllm31rms_norm_per_block_quant_kernelIN3c104HalfENS1_13Float8_e4m3fnELb0ELb0ELi128EEEvPT0_PfPKT_S9_PKffiiPS7_l,"axG",@progbits,_ZN4vllm31rms_norm_per_block_quant_kernelIN3c104HalfENS1_13Float8_e4m3fnELb0ELb0ELi128EEEvPT0_PfPKT_S9_PKffiiPS7_l,comdat
	.protected	_ZN4vllm31rms_norm_per_block_quant_kernelIN3c104HalfENS1_13Float8_e4m3fnELb0ELb0ELi128EEEvPT0_PfPKT_S9_PKffiiPS7_l ; -- Begin function _ZN4vllm31rms_norm_per_block_quant_kernelIN3c104HalfENS1_13Float8_e4m3fnELb0ELb0ELi128EEEvPT0_PfPKT_S9_PKffiiPS7_l
	.globl	_ZN4vllm31rms_norm_per_block_quant_kernelIN3c104HalfENS1_13Float8_e4m3fnELb0ELb0ELi128EEEvPT0_PfPKT_S9_PKffiiPS7_l
	.p2align	8
	.type	_ZN4vllm31rms_norm_per_block_quant_kernelIN3c104HalfENS1_13Float8_e4m3fnELb0ELb0ELi128EEEvPT0_PfPKT_S9_PKffiiPS7_l,@function
_ZN4vllm31rms_norm_per_block_quant_kernelIN3c104HalfENS1_13Float8_e4m3fnELb0ELb0ELi128EEEvPT0_PfPKT_S9_PKffiiPS7_l: ; @_ZN4vllm31rms_norm_per_block_quant_kernelIN3c104HalfENS1_13Float8_e4m3fnELb0ELb0ELi128EEEvPT0_PfPKT_S9_PKffiiPS7_l
; %bb.0:
	s_load_dwordx4 s[16:19], s[4:5], 0x28
	s_load_dwordx8 s[8:15], s[4:5], 0x0
	v_mov_b32_e32 v1, 0
	s_waitcnt lgkmcnt(0)
	s_ashr_i32 s0, s18, 31
	s_mul_hi_u32 s1, s18, s6
	s_mul_i32 s0, s0, s6
	s_add_i32 s1, s1, s0
	s_mul_i32 s0, s18, s6
	s_lshl_b64 s[0:1], s[0:1], 1
	s_add_u32 s33, s12, s0
	s_addc_u32 s44, s13, s1
	s_ashr_i32 s12, s17, 2
	s_add_u32 s2, s4, 0x48
	s_mov_b32 s20, s17
	v_cmp_gt_u32_e64 s[0:1], s12, v0
	s_addc_u32 s3, s5, 0
	s_and_saveexec_b64 s[18:19], s[0:1]
	s_cbranch_execz .LBB51_10
; %bb.1:
	s_load_dword s7, s[2:3], 0x0
	v_mov_b32_e32 v3, 0
	v_mov_b32_e32 v9, s44
	;; [unrolled: 1-line block ×3, first 2 shown]
                                        ; implicit-def: $sgpr24_sgpr25
	s_waitcnt lgkmcnt(0)
	s_cmp_lt_u32 s6, s7
	s_cselect_b32 s7, 12, 18
	s_add_u32 s22, s2, s7
	s_addc_u32 s23, s3, 0
	global_load_ushort v8, v3, s[22:23]
	s_mov_b64 s[22:23], 0
	s_waitcnt vmcnt(0)
	v_add_u32_e32 v1, v8, v8
	v_mul_lo_u32 v10, v8, 3
	v_lshlrev_b32_e32 v11, 1, v8
	v_add_u32_e32 v12, v1, v8
	v_mov_b32_e32 v1, v3
	s_branch .LBB51_5
.LBB51_2:                               ;   in Loop: Header=BB51_5 Depth=1
	s_or_b64 exec, exec, s[30:31]
	s_orn2_b64 s[30:31], s[34:35], exec
.LBB51_3:                               ;   in Loop: Header=BB51_5 Depth=1
	s_or_b64 exec, exec, s[28:29]
	s_andn2_b64 s[24:25], s[24:25], exec
	s_and_b64 s[28:29], s[30:31], exec
	s_or_b64 s[24:25], s[24:25], s[28:29]
.LBB51_4:                               ;   in Loop: Header=BB51_5 Depth=1
	s_or_b64 exec, exec, s[26:27]
	s_and_b64 s[26:27], exec, s[24:25]
	s_or_b64 s[22:23], s[26:27], s[22:23]
	s_andn2_b64 exec, exec, s[22:23]
	s_cbranch_execz .LBB51_9
.LBB51_5:                               ; =>This Inner Loop Header: Depth=1
	v_lshlrev_b64 v[4:5], 3, v[2:3]
	v_add_co_u32_e32 v4, vcc, s33, v4
	v_addc_co_u32_e32 v5, vcc, v9, v5, vcc
	global_load_dwordx2 v[6:7], v[4:5], off
	v_add_u32_e32 v4, v2, v8
	v_cmp_gt_u32_e32 vcc, s12, v4
	s_or_b64 s[24:25], s[24:25], exec
	s_waitcnt vmcnt(0)
	v_fma_mix_f32 v1, v6, v6, v1 op_sel_hi:[1,1,0]
	v_fma_mix_f32 v1, v6, v6, v1 op_sel:[1,1,0] op_sel_hi:[1,1,0]
	v_fma_mix_f32 v1, v7, v7, v1 op_sel_hi:[1,1,0]
	v_fma_mix_f32 v1, v7, v7, v1 op_sel:[1,1,0] op_sel_hi:[1,1,0]
	s_and_saveexec_b64 s[26:27], vcc
	s_cbranch_execz .LBB51_4
; %bb.6:                                ;   in Loop: Header=BB51_5 Depth=1
	v_mov_b32_e32 v5, v3
	v_lshlrev_b64 v[6:7], 3, v[4:5]
	v_add_co_u32_e32 v6, vcc, s33, v6
	v_addc_co_u32_e32 v7, vcc, v9, v7, vcc
	global_load_dwordx2 v[14:15], v[6:7], off
	v_add_u32_e32 v6, v11, v2
	v_cmp_gt_u32_e32 vcc, s12, v6
	s_mov_b64 s[30:31], -1
	s_waitcnt vmcnt(0)
	v_fma_mix_f32 v1, v14, v14, v1 op_sel_hi:[1,1,0]
	v_fma_mix_f32 v1, v14, v14, v1 op_sel:[1,1,0] op_sel_hi:[1,1,0]
	v_fma_mix_f32 v1, v15, v15, v1 op_sel_hi:[1,1,0]
	v_fma_mix_f32 v1, v15, v15, v1 op_sel:[1,1,0] op_sel_hi:[1,1,0]
	s_and_saveexec_b64 s[28:29], vcc
	s_cbranch_execz .LBB51_3
; %bb.7:                                ;   in Loop: Header=BB51_5 Depth=1
	v_mov_b32_e32 v7, v3
	v_lshlrev_b64 v[6:7], 3, v[6:7]
	v_add_co_u32_e32 v6, vcc, s33, v6
	v_addc_co_u32_e32 v7, vcc, v9, v7, vcc
	global_load_dwordx2 v[6:7], v[6:7], off
	v_add_u32_e32 v2, v10, v2
	v_cmp_gt_u32_e32 vcc, s12, v2
	s_mov_b64 s[34:35], -1
	s_waitcnt vmcnt(0)
	v_fma_mix_f32 v1, v6, v6, v1 op_sel_hi:[1,1,0]
	v_fma_mix_f32 v1, v6, v6, v1 op_sel:[1,1,0] op_sel_hi:[1,1,0]
	v_fma_mix_f32 v1, v7, v7, v1 op_sel_hi:[1,1,0]
	v_fma_mix_f32 v1, v7, v7, v1 op_sel:[1,1,0] op_sel_hi:[1,1,0]
	s_and_saveexec_b64 s[30:31], vcc
	s_xor_b64 s[30:31], exec, s[30:31]
	s_cbranch_execz .LBB51_2
; %bb.8:                                ;   in Loop: Header=BB51_5 Depth=1
	v_lshlrev_b64 v[6:7], 3, v[2:3]
	v_add_co_u32_e32 v6, vcc, s33, v6
	v_addc_co_u32_e32 v7, vcc, v9, v7, vcc
	global_load_dwordx2 v[6:7], v[6:7], off
	v_add_u32_e32 v2, v12, v4
	v_cmp_le_u32_e32 vcc, s12, v2
	s_orn2_b64 s[34:35], vcc, exec
	s_waitcnt vmcnt(0)
	v_fma_mix_f32 v1, v6, v6, v1 op_sel_hi:[1,1,0]
	v_fma_mix_f32 v1, v6, v6, v1 op_sel:[1,1,0] op_sel_hi:[1,1,0]
	v_fma_mix_f32 v1, v7, v7, v1 op_sel_hi:[1,1,0]
	v_fma_mix_f32 v1, v7, v7, v1 op_sel:[1,1,0] op_sel_hi:[1,1,0]
	s_branch .LBB51_2
.LBB51_9:
	s_or_b64 exec, exec, s[22:23]
.LBB51_10:
	s_or_b64 exec, exec, s[18:19]
	v_mbcnt_lo_u32_b32 v2, -1, 0
	v_mbcnt_hi_u32_b32 v2, -1, v2
	v_and_b32_e32 v3, 63, v2
	v_cmp_ne_u32_e32 vcc, 63, v3
	s_load_dword s2, s[2:3], 0xc
	v_addc_co_u32_e32 v4, vcc, 0, v2, vcc
	v_lshlrev_b32_e32 v4, 2, v4
	ds_bpermute_b32 v4, v4, v1
	s_waitcnt lgkmcnt(0)
	s_and_b32 s45, s2, 0xffff
	v_and_b32_e32 v5, 0x3c0, v0
	v_sub_u32_e64 v5, s45, v5 clamp
	v_add_u32_e32 v6, 1, v2
	v_add_f32_e32 v4, v1, v4
	v_cmp_lt_u32_e32 vcc, v6, v5
	v_cndmask_b32_e32 v1, v1, v4, vcc
	v_cmp_gt_u32_e32 vcc, 62, v3
	v_cndmask_b32_e64 v4, 0, 1, vcc
	v_lshlrev_b32_e32 v4, 1, v4
	v_add_lshl_u32 v4, v4, v2, 2
	ds_bpermute_b32 v4, v4, v1
	v_add_u32_e32 v6, 2, v2
	v_cmp_lt_u32_e32 vcc, v6, v5
	v_add_u32_e32 v6, 4, v2
	s_waitcnt lgkmcnt(0)
	v_add_f32_e32 v4, v1, v4
	v_cndmask_b32_e32 v1, v1, v4, vcc
	v_cmp_gt_u32_e32 vcc, 60, v3
	v_cndmask_b32_e64 v4, 0, 1, vcc
	v_lshlrev_b32_e32 v4, 2, v4
	v_add_lshl_u32 v4, v4, v2, 2
	ds_bpermute_b32 v4, v4, v1
	v_cmp_lt_u32_e32 vcc, v6, v5
	v_add_u32_e32 v6, 8, v2
	s_waitcnt lgkmcnt(0)
	v_add_f32_e32 v4, v1, v4
	v_cndmask_b32_e32 v1, v1, v4, vcc
	v_cmp_gt_u32_e32 vcc, 56, v3
	v_cndmask_b32_e64 v4, 0, 1, vcc
	v_lshlrev_b32_e32 v4, 3, v4
	v_add_lshl_u32 v4, v4, v2, 2
	ds_bpermute_b32 v4, v4, v1
	v_cmp_lt_u32_e32 vcc, v6, v5
	v_add_u32_e32 v6, 16, v2
	s_waitcnt lgkmcnt(0)
	v_add_f32_e32 v4, v1, v4
	v_cndmask_b32_e32 v1, v1, v4, vcc
	v_cmp_gt_u32_e32 vcc, 48, v3
	v_cndmask_b32_e64 v4, 0, 1, vcc
	v_lshlrev_b32_e32 v4, 4, v4
	v_add_lshl_u32 v4, v4, v2, 2
	ds_bpermute_b32 v4, v4, v1
	v_cmp_lt_u32_e32 vcc, v6, v5
	s_waitcnt lgkmcnt(0)
	v_add_f32_e32 v4, v1, v4
	v_cndmask_b32_e32 v1, v1, v4, vcc
	v_cmp_gt_u32_e32 vcc, 32, v3
	v_cndmask_b32_e64 v3, 0, 1, vcc
	v_lshlrev_b32_e32 v3, 5, v3
	v_add_lshl_u32 v3, v3, v2, 2
	ds_bpermute_b32 v3, v3, v1
	v_add_u32_e32 v4, 32, v2
	v_cmp_lt_u32_e32 vcc, v4, v5
	s_waitcnt lgkmcnt(0)
	v_add_f32_e32 v3, v1, v3
	v_cndmask_b32_e32 v1, v1, v3, vcc
	v_cmp_eq_u32_e32 vcc, 0, v2
	s_and_saveexec_b64 s[2:3], vcc
	s_cbranch_execz .LBB51_12
; %bb.11:
	v_lshrrev_b32_e32 v3, 4, v0
	v_and_b32_e32 v3, 60, v3
	ds_write_b32 v3, v1 offset:4096
.LBB51_12:
	s_or_b64 exec, exec, s[2:3]
	v_cmp_gt_u32_e32 vcc, 16, v0
	s_waitcnt lgkmcnt(0)
	s_barrier
	s_and_saveexec_b64 s[18:19], vcc
	s_cbranch_execz .LBB51_14
; %bb.13:
	v_lshlrev_b32_e32 v1, 2, v2
	ds_read_b32 v1, v1 offset:4096
	v_and_b32_e32 v3, 15, v2
	v_cmp_ne_u32_e32 vcc, 15, v3
	v_addc_co_u32_e32 v4, vcc, 0, v2, vcc
	v_lshlrev_b32_e32 v4, 2, v4
	s_waitcnt lgkmcnt(0)
	ds_bpermute_b32 v4, v4, v1
	s_add_i32 s2, s45, 63
	s_lshr_b32 s7, s2, 6
	v_add_u32_e32 v5, 1, v3
	v_cmp_gt_u32_e64 s[2:3], 14, v3
	v_cmp_gt_u32_e32 vcc, s7, v5
	v_cndmask_b32_e64 v5, 0, 1, s[2:3]
	s_waitcnt lgkmcnt(0)
	v_add_f32_e32 v4, v1, v4
	v_lshlrev_b32_e32 v5, 1, v5
	v_cndmask_b32_e32 v4, v1, v4, vcc
	v_add_lshl_u32 v5, v5, v2, 2
	ds_bpermute_b32 v5, v5, v4
	v_add_u32_e32 v6, 2, v3
	v_cmp_gt_u32_e64 s[2:3], s7, v6
	v_add_u32_e32 v6, 4, v3
	s_waitcnt lgkmcnt(0)
	v_add_f32_e32 v5, v4, v5
	v_cndmask_b32_e64 v4, v4, v5, s[2:3]
	v_cmp_gt_u32_e64 s[2:3], 12, v3
	v_cndmask_b32_e64 v5, 0, 1, s[2:3]
	v_lshlrev_b32_e32 v5, 2, v5
	v_add_lshl_u32 v5, v5, v2, 2
	ds_bpermute_b32 v5, v5, v4
	v_cmp_gt_u32_e64 s[2:3], s7, v6
	s_waitcnt lgkmcnt(0)
	v_add_f32_e32 v5, v4, v5
	v_cndmask_b32_e64 v4, v4, v5, s[2:3]
	v_cmp_gt_u32_e64 s[2:3], 8, v3
	v_cndmask_b32_e64 v5, 0, 1, s[2:3]
	v_lshlrev_b32_e32 v5, 3, v5
	v_add_lshl_u32 v2, v5, v2, 2
	ds_bpermute_b32 v2, v2, v4
	v_add_u32_e32 v3, 8, v3
	v_cmp_gt_u32_e64 s[2:3], s7, v3
	s_waitcnt lgkmcnt(0)
	v_add_f32_e32 v2, v4, v2
	v_cndmask_b32_e64 v2, v4, v2, s[2:3]
	v_cndmask_b32_e32 v1, v1, v2, vcc
.LBB51_14:
	s_or_b64 exec, exec, s[18:19]
	v_cmp_eq_u32_e32 vcc, 0, v0
	s_and_saveexec_b64 s[2:3], vcc
	s_cbranch_execz .LBB51_16
; %bb.15:
	v_cvt_f32_i32_e32 v2, s17
	s_mov_b32 s7, 0x800000
	v_div_scale_f32 v3, s[18:19], v2, v2, v1
	v_rcp_f32_e32 v4, v3
	v_div_scale_f32 v5, vcc, v1, v2, v1
	v_fma_f32 v6, -v3, v4, 1.0
	v_fmac_f32_e32 v4, v6, v4
	v_mul_f32_e32 v6, v5, v4
	v_fma_f32 v7, -v3, v6, v5
	v_fmac_f32_e32 v6, v7, v4
	v_fma_f32 v3, -v3, v6, v5
	v_div_fmas_f32 v3, v3, v4, v6
	v_div_fixup_f32 v1, v3, v2, v1
	v_add_f32_e32 v1, s16, v1
	v_mul_f32_e32 v2, 0x4b800000, v1
	v_cmp_gt_f32_e32 vcc, s7, v1
	v_cndmask_b32_e32 v1, v1, v2, vcc
	v_rsq_f32_e32 v1, v1
	v_mul_f32_e32 v2, 0x45800000, v1
	v_cndmask_b32_e32 v1, v1, v2, vcc
	v_mov_b32_e32 v2, 0
	ds_write_b32 v2, v1 offset:4160
.LBB51_16:
	s_or_b64 exec, exec, s[2:3]
	s_ashr_i32 s21, s17, 31
	s_lshr_b32 s2, s21, 25
	s_add_i32 s2, s17, s2
	s_ashr_i32 s18, s2, 7
	s_abs_i32 s3, s18
	v_cvt_f32_u32_e32 v1, s3
	s_sub_i32 s7, 0, s3
	s_ashr_i32 s2, s2, 31
	v_mov_b32_e32 v5, 0
	v_rcp_iflag_f32_e32 v1, v1
	s_waitcnt lgkmcnt(0)
	s_barrier
	v_mul_f32_e32 v1, 0x4f7ffffe, v1
	v_cvt_u32_f32_e32 v1, v1
	ds_read_b32 v36, v5 offset:4160
	v_readfirstlane_b32 s13, v1
	s_mul_i32 s7, s7, s13
	s_mul_hi_u32 s7, s13, s7
	s_add_i32 s13, s13, s7
	s_mul_hi_u32 s7, s45, s13
	s_mul_i32 s13, s7, s3
	s_sub_i32 s13, s45, s13
	s_add_i32 s16, s7, 1
	s_sub_i32 s19, s13, s3
	s_cmp_ge_u32 s13, s3
	s_cselect_b32 s7, s16, s7
	s_cselect_b32 s13, s19, s13
	s_add_i32 s16, s7, 1
	s_cmp_ge_u32 s13, s3
	s_cselect_b32 s3, s16, s7
	s_xor_b32 s3, s3, s2
	s_sub_i32 s2, s3, s2
	s_abs_i32 s7, s2
	v_cvt_f32_u32_e32 v1, s7
	s_sub_i32 s13, 0, s7
	s_ashr_i32 s3, s2, 31
	v_rcp_iflag_f32_e32 v1, v1
	v_mul_f32_e32 v1, 0x4f7ffffe, v1
	v_cvt_u32_f32_e32 v1, v1
	v_mul_lo_u32 v2, s13, v1
	v_mul_hi_u32 v2, v1, v2
	v_add_u32_e32 v1, v1, v2
	v_mul_hi_u32 v1, v0, v1
	v_mul_lo_u32 v2, v1, s7
	v_sub_u32_e32 v2, v0, v2
	v_add_u32_e32 v3, 1, v1
	v_cmp_le_u32_e32 vcc, s7, v2
	v_cndmask_b32_e32 v1, v1, v3, vcc
	v_subrev_u32_e32 v3, s7, v2
	v_cndmask_b32_e32 v2, v2, v3, vcc
	v_add_u32_e32 v3, 1, v1
	v_cmp_le_u32_e32 vcc, s7, v2
	v_cndmask_b32_e32 v1, v1, v3, vcc
	v_xor_b32_e32 v1, s3, v1
	v_subrev_u32_e32 v2, s3, v1
	v_mul_lo_u32 v1, v2, s2
	v_ashrrev_i32_e32 v3, 31, v2
	v_sub_u32_e32 v4, v0, v1
	v_lshlrev_b64 v[8:9], 5, v[2:3]
	v_add_co_u32_e32 v6, vcc, v8, v4
	v_addc_co_u32_e32 v7, vcc, 0, v9, vcc
	v_add_co_u32_e32 v8, vcc, 32, v8
	v_addc_co_u32_e32 v9, vcc, 0, v9, vcc
	s_ashr_i32 s13, s12, 31
	v_mov_b32_e32 v1, s13
	v_cmp_gt_i64_e32 vcc, s[12:13], v[8:9]
	v_cndmask_b32_e32 v9, v1, v9, vcc
	v_mov_b32_e32 v1, s12
	v_cndmask_b32_e32 v8, v1, v8, vcc
	v_ashrrev_i32_e32 v11, 31, v8
	v_mov_b32_e32 v10, v8
	v_cmp_lt_i64_e32 vcc, v[6:7], v[10:11]
	s_and_saveexec_b64 s[22:23], vcc
	s_cbranch_execz .LBB51_26
; %bb.17:
	v_lshlrev_b64 v[12:13], 8, v[2:3]
	v_lshlrev_b64 v[14:15], 3, v[4:5]
	v_add_co_u32_e32 v12, vcc, v12, v14
	v_addc_co_u32_e32 v1, vcc, v13, v15, vcc
	s_lshl_b64 s[24:25], s[2:3], 5
	s_mul_hi_i32 s7, s2, 3
	s_mul_i32 s13, s2, 3
	s_lshl_b64 s[26:27], s[2:3], 1
	s_lshl_b64 s[30:31], s[2:3], 3
	s_mov_b64 s[28:29], 0
	v_mov_b32_e32 v5, 0
	v_mov_b32_e32 v13, s44
	;; [unrolled: 1-line block ×4, first 2 shown]
	v_pk_mov_b32 v[14:15], v[6:7], v[6:7] op_sel:[0,1]
                                        ; implicit-def: $sgpr34_sgpr35
	s_branch .LBB51_21
.LBB51_18:                              ;   in Loop: Header=BB51_21 Depth=1
	s_or_b64 exec, exec, s[40:41]
	s_orn2_b64 s[40:41], s[42:43], exec
.LBB51_19:                              ;   in Loop: Header=BB51_21 Depth=1
	s_or_b64 exec, exec, s[38:39]
	s_andn2_b64 s[34:35], s[34:35], exec
	s_and_b64 s[38:39], s[40:41], exec
	s_or_b64 s[34:35], s[34:35], s[38:39]
.LBB51_20:                              ;   in Loop: Header=BB51_21 Depth=1
	s_or_b64 exec, exec, s[36:37]
	s_and_b64 s[36:37], exec, s[34:35]
	s_or_b64 s[28:29], s[36:37], s[28:29]
	s_andn2_b64 exec, exec, s[28:29]
	s_cbranch_execz .LBB51_25
.LBB51_21:                              ; =>This Inner Loop Header: Depth=1
	v_add_co_u32_e32 v18, vcc, s33, v12
	v_addc_co_u32_e32 v19, vcc, v13, v1, vcc
	v_add_co_u32_e32 v20, vcc, s14, v12
	global_load_dwordx2 v[16:17], v[18:19], off
	v_addc_co_u32_e32 v21, vcc, v22, v1, vcc
	global_load_dwordx2 v[24:25], v[20:21], off
	s_or_b64 s[34:35], s[34:35], exec
	s_waitcnt vmcnt(1) lgkmcnt(0)
	v_fma_mixlo_f16 v26, v36, v16, 0 op_sel_hi:[0,1,0]
	v_fma_mixlo_f16 v16, v36, v16, 0 op_sel:[0,1,0] op_sel_hi:[0,1,0]
	v_fma_mixlo_f16 v27, v36, v17, 0 op_sel_hi:[0,1,0]
	v_fma_mixlo_f16 v17, v36, v17, 0 op_sel:[0,1,0] op_sel_hi:[0,1,0]
	s_waitcnt vmcnt(0)
	v_mul_f16_e32 v26, v24, v26
	v_mul_f16_sdwa v16, v24, v16 dst_sel:DWORD dst_unused:UNUSED_PAD src0_sel:WORD_1 src1_sel:DWORD
	v_mul_f16_e32 v24, v25, v27
	v_mul_f16_sdwa v17, v25, v17 dst_sel:DWORD dst_unused:UNUSED_PAD src0_sel:WORD_1 src1_sel:DWORD
	v_cvt_f32_f16_e64 v25, |v26|
	v_cvt_f32_f16_e64 v26, |v16|
	;; [unrolled: 1-line block ×4, first 2 shown]
	v_add_co_u32_e32 v16, vcc, s2, v14
	v_addc_co_u32_e32 v17, vcc, v15, v23, vcc
	v_max3_f32 v5, v5, v25, v26
	v_cmp_lt_i64_e32 vcc, v[16:17], v[10:11]
	v_max3_f32 v5, v5, v24, v27
	s_and_saveexec_b64 s[36:37], vcc
	s_cbranch_execz .LBB51_20
; %bb.22:                               ;   in Loop: Header=BB51_21 Depth=1
	v_mov_b32_e32 v26, s31
	v_add_co_u32_e32 v18, vcc, s30, v18
	v_addc_co_u32_e32 v19, vcc, v19, v26, vcc
	v_add_co_u32_e32 v20, vcc, s30, v20
	global_load_dwordx2 v[24:25], v[18:19], off
	v_addc_co_u32_e32 v21, vcc, v21, v26, vcc
	global_load_dwordx2 v[26:27], v[20:21], off
	v_mov_b32_e32 v28, s27
	s_mov_b64 s[40:41], -1
	s_waitcnt vmcnt(1)
	v_fma_mixlo_f16 v29, v36, v24, 0 op_sel_hi:[0,1,0]
	v_fma_mixlo_f16 v24, v36, v24, 0 op_sel:[0,1,0] op_sel_hi:[0,1,0]
	v_fma_mixlo_f16 v30, v36, v25, 0 op_sel_hi:[0,1,0]
	v_fma_mixlo_f16 v25, v36, v25, 0 op_sel:[0,1,0] op_sel_hi:[0,1,0]
	s_waitcnt vmcnt(0)
	v_mul_f16_e32 v29, v26, v29
	v_mul_f16_sdwa v24, v26, v24 dst_sel:DWORD dst_unused:UNUSED_PAD src0_sel:WORD_1 src1_sel:DWORD
	v_mul_f16_e32 v26, v27, v30
	v_mul_f16_sdwa v25, v27, v25 dst_sel:DWORD dst_unused:UNUSED_PAD src0_sel:WORD_1 src1_sel:DWORD
	v_cvt_f32_f16_e64 v27, |v29|
	v_cvt_f32_f16_e64 v29, |v24|
	;; [unrolled: 1-line block ×4, first 2 shown]
	v_add_co_u32_e32 v24, vcc, s26, v14
	v_addc_co_u32_e32 v25, vcc, v28, v15, vcc
	v_max3_f32 v5, v5, v27, v29
	v_cmp_lt_i64_e32 vcc, v[24:25], v[10:11]
	v_max3_f32 v5, v5, v26, v30
	s_and_saveexec_b64 s[38:39], vcc
	s_cbranch_execz .LBB51_19
; %bb.23:                               ;   in Loop: Header=BB51_21 Depth=1
	v_mov_b32_e32 v26, s31
	v_add_co_u32_e32 v18, vcc, s30, v18
	v_addc_co_u32_e32 v19, vcc, v19, v26, vcc
	v_add_co_u32_e32 v20, vcc, s30, v20
	global_load_dwordx2 v[24:25], v[18:19], off
	v_addc_co_u32_e32 v21, vcc, v21, v26, vcc
	global_load_dwordx2 v[26:27], v[20:21], off
	v_mov_b32_e32 v28, s7
	v_add_co_u32_e32 v14, vcc, s13, v14
	v_addc_co_u32_e32 v15, vcc, v28, v15, vcc
	v_cmp_lt_i64_e32 vcc, v[14:15], v[10:11]
	s_mov_b64 s[42:43], -1
                                        ; implicit-def: $vgpr14_vgpr15
	s_waitcnt vmcnt(1)
	v_fma_mixlo_f16 v29, v36, v24, 0 op_sel_hi:[0,1,0]
	v_fma_mixlo_f16 v24, v36, v24, 0 op_sel:[0,1,0] op_sel_hi:[0,1,0]
	v_fma_mixlo_f16 v30, v36, v25, 0 op_sel_hi:[0,1,0]
	v_fma_mixlo_f16 v25, v36, v25, 0 op_sel:[0,1,0] op_sel_hi:[0,1,0]
	s_waitcnt vmcnt(0)
	v_mul_f16_e32 v29, v26, v29
	v_mul_f16_sdwa v24, v26, v24 dst_sel:DWORD dst_unused:UNUSED_PAD src0_sel:WORD_1 src1_sel:DWORD
	v_mul_f16_e32 v26, v27, v30
	v_mul_f16_sdwa v25, v27, v25 dst_sel:DWORD dst_unused:UNUSED_PAD src0_sel:WORD_1 src1_sel:DWORD
	v_cvt_f32_f16_e64 v27, |v29|
	v_cvt_f32_f16_e64 v24, |v24|
	;; [unrolled: 1-line block ×4, first 2 shown]
	v_max3_f32 v5, v5, v27, v24
	v_max3_f32 v5, v5, v26, v25
	s_and_saveexec_b64 s[40:41], vcc
	s_xor_b64 s[40:41], exec, s[40:41]
	s_cbranch_execz .LBB51_18
; %bb.24:                               ;   in Loop: Header=BB51_21 Depth=1
	v_mov_b32_e32 v24, s31
	v_add_co_u32_e32 v14, vcc, s30, v18
	v_addc_co_u32_e32 v15, vcc, v19, v24, vcc
	v_add_co_u32_e32 v18, vcc, s30, v20
	global_load_dwordx2 v[14:15], v[14:15], off
	v_addc_co_u32_e32 v19, vcc, v21, v24, vcc
	global_load_dwordx2 v[18:19], v[18:19], off
	s_add_u32 s16, s2, s2
	s_addc_u32 s19, s3, s3
	v_mov_b32_e32 v20, s25
	v_add_co_u32_e32 v12, vcc, s24, v12
	s_add_u32 s16, s16, s2
	v_addc_co_u32_e32 v1, vcc, v1, v20, vcc
	s_addc_u32 s19, s19, s3
	v_mov_b32_e32 v20, s19
	s_waitcnt vmcnt(1)
	v_fma_mixlo_f16 v21, v36, v14, 0 op_sel_hi:[0,1,0]
	v_fma_mixlo_f16 v14, v36, v14, 0 op_sel:[0,1,0] op_sel_hi:[0,1,0]
	v_fma_mixlo_f16 v24, v36, v15, 0 op_sel_hi:[0,1,0]
	v_fma_mixlo_f16 v15, v36, v15, 0 op_sel:[0,1,0] op_sel_hi:[0,1,0]
	s_waitcnt vmcnt(0)
	v_mul_f16_e32 v21, v18, v21
	v_mul_f16_sdwa v14, v18, v14 dst_sel:DWORD dst_unused:UNUSED_PAD src0_sel:WORD_1 src1_sel:DWORD
	v_mul_f16_e32 v18, v19, v24
	v_mul_f16_sdwa v15, v19, v15 dst_sel:DWORD dst_unused:UNUSED_PAD src0_sel:WORD_1 src1_sel:DWORD
	v_cvt_f32_f16_e64 v19, |v21|
	v_cvt_f32_f16_e64 v21, |v14|
	v_cvt_f32_f16_e64 v18, |v18|
	v_cvt_f32_f16_e64 v24, |v15|
	v_add_co_u32_e32 v14, vcc, s16, v16
	v_addc_co_u32_e32 v15, vcc, v20, v17, vcc
	v_cmp_ge_i64_e32 vcc, v[14:15], v[10:11]
	v_max3_f32 v5, v5, v19, v21
	v_max3_f32 v5, v5, v18, v24
	s_orn2_b64 s[42:43], vcc, exec
	s_branch .LBB51_18
.LBB51_25:
	s_or_b64 exec, exec, s[28:29]
.LBB51_26:
	s_or_b64 exec, exec, s[22:23]
	s_lshr_b32 s7, s45, 6
	v_cvt_f32_u32_e32 v10, s7
	v_lshlrev_b32_e32 v1, 2, v0
	ds_write_b32 v1, v5
	s_sub_i32 s22, 0, s7
	v_rcp_iflag_f32_e32 v5, v10
	s_add_i32 s13, s18, s7
	s_add_i32 s13, s13, -1
	s_ashr_i32 s16, s13, 31
	v_mul_f32_e32 v5, 0x4f7ffffe, v5
	v_cvt_u32_f32_e32 v5, v5
	s_abs_i32 s13, s13
	s_ashr_i32 s19, s18, 31
	s_waitcnt lgkmcnt(0)
	v_readfirstlane_b32 s23, v5
	s_mul_i32 s22, s22, s23
	s_mul_hi_u32 s22, s23, s22
	s_add_i32 s23, s23, s22
	s_mul_hi_u32 s22, s13, s23
	s_mul_i32 s23, s22, s7
	s_sub_i32 s13, s13, s23
	s_add_i32 s23, s22, 1
	s_sub_i32 s24, s13, s7
	s_cmp_ge_u32 s13, s7
	s_cselect_b32 s22, s23, s22
	s_cselect_b32 s13, s24, s13
	s_add_i32 s23, s22, 1
	s_cmp_ge_u32 s13, s7
	s_cselect_b32 s13, s23, s22
	s_xor_b32 s13, s13, s16
	s_sub_i32 s22, s13, s16
	s_ashr_i32 s23, s22, 31
	v_cmp_lt_i64_e64 s[24:25], s[22:23], 1
	s_and_b64 vcc, exec, s[24:25]
	s_barrier
	s_cbranch_vccnz .LBB51_48
; %bb.27:
	v_and_b32_e32 v12, 63, v0
	v_add_co_u32_e32 v14, vcc, 32, v12
	v_addc_co_u32_e64 v15, s[24:25], 0, 0, vcc
	v_add_co_u32_e32 v16, vcc, 16, v12
	v_addc_co_u32_e64 v17, s[24:25], 0, 0, vcc
	v_add_co_u32_e32 v18, vcc, 8, v12
	v_lshrrev_b32_e32 v10, 6, v0
	v_addc_co_u32_e64 v19, s[24:25], 0, 0, vcc
	v_add_co_u32_e32 v20, vcc, 4, v12
	v_addc_co_u32_e64 v21, s[24:25], 0, 0, vcc
	v_add_co_u32_e32 v22, vcc, 2, v12
	v_mul_lo_u32 v5, s2, v10
	v_addc_co_u32_e64 v23, s[24:25], 0, 0, vcc
	v_add_co_u32_e32 v24, vcc, 1, v12
	v_lshlrev_b32_e32 v5, 2, v5
	v_lshlrev_b32_e32 v26, 2, v12
	s_movk_i32 s13, 0x100
	v_mov_b32_e32 v11, 0
	v_addc_co_u32_e64 v25, s[24:25], 0, 0, vcc
	v_add3_u32 v5, v5, v26, s13
	s_mul_i32 s13, s2, s7
	v_mov_b32_e32 v13, v11
	s_lshl_b32 s13, s13, 2
	s_mov_b64 s[24:25], 0
	v_mov_b32_e32 v37, s7
	s_mov_b64 s[26:27], src_shared_base
	s_branch .LBB51_30
.LBB51_28:                              ;   in Loop: Header=BB51_30 Depth=1
	s_or_b64 exec, exec, s[30:31]
	v_mov_b32_e32 v27, s27
	flat_load_dword v26, v[26:27] glc
	s_waitcnt vmcnt(0)
.LBB51_29:                              ;   in Loop: Header=BB51_30 Depth=1
	s_or_b64 exec, exec, s[28:29]
	s_add_u32 s24, s24, 1
	s_addc_u32 s25, s25, 0
	s_cmp_eq_u64 s[24:25], s[22:23]
	v_add_u32_e32 v5, s13, v5
	s_cbranch_scc1 .LBB51_48
.LBB51_30:                              ; =>This Loop Header: Depth=1
                                        ;     Child Loop BB51_33 Depth 2
	v_mad_u64_u32 v[30:31], s[28:29], s24, v37, v[10:11]
	s_mul_i32 s16, s25, s7
	v_add_u32_e32 v31, s16, v31
	v_cmp_gt_i64_e32 vcc, s[18:19], v[30:31]
	s_and_saveexec_b64 s[28:29], vcc
	s_cbranch_execz .LBB51_29
; %bb.31:                               ;   in Loop: Header=BB51_30 Depth=1
	v_pk_mov_b32 v[32:33], s[2:3], s[2:3] op_sel:[0,1]
	v_mul_lo_u32 v29, v31, s2
	v_mul_lo_u32 v38, v30, s3
	v_mad_u64_u32 v[32:33], s[30:31], v30, s2, v[32:33]
	v_add3_u32 v33, v29, v33, v38
	v_mov_b32_e32 v28, s21
	v_cmp_gt_i64_e32 vcc, s[20:21], v[32:33]
	s_waitcnt lgkmcnt(0)
	v_mad_u64_u32 v[26:27], s[30:31], v30, s2, v[12:13]
	v_cndmask_b32_e32 v33, v28, v33, vcc
	v_mov_b32_e32 v28, s17
	v_add3_u32 v27, v29, v27, v38
	v_cndmask_b32_e32 v32, v28, v32, vcc
	v_add_co_u32_e32 v34, vcc, 64, v26
	v_addc_co_u32_e32 v35, vcc, 0, v27, vcc
	v_cmp_lt_i64_e32 vcc, v[34:35], v[32:33]
	v_lshlrev_b32_e32 v28, 2, v26
	s_and_saveexec_b64 s[30:31], vcc
	s_cbranch_execz .LBB51_34
; %bb.32:                               ;   in Loop: Header=BB51_30 Depth=1
	ds_read_b32 v31, v28
	s_mov_b64 s[34:35], 0
	v_mov_b32_e32 v27, v5
.LBB51_33:                              ;   Parent Loop BB51_30 Depth=1
                                        ; =>  This Inner Loop Header: Depth=2
	ds_read_b32 v39, v27
	v_add_co_u32_e32 v34, vcc, 64, v34
	v_addc_co_u32_e32 v35, vcc, 0, v35, vcc
	s_waitcnt lgkmcnt(1)
	v_max_f32_e32 v31, v31, v31
	v_cmp_ge_i64_e32 vcc, v[34:35], v[32:33]
	s_waitcnt lgkmcnt(0)
	v_max_f32_e32 v39, v39, v39
	v_add_u32_e32 v27, 0x100, v27
	s_or_b64 s[34:35], vcc, s[34:35]
	v_max_f32_e32 v31, v31, v39
	ds_write_b32 v28, v31
	s_andn2_b64 exec, exec, s[34:35]
	s_cbranch_execnz .LBB51_33
.LBB51_34:                              ;   in Loop: Header=BB51_30 Depth=1
	s_or_b64 exec, exec, s[30:31]
	v_mad_u64_u32 v[30:31], s[30:31], v30, s2, 0
	v_add3_u32 v27, v31, v38, v29
	v_sub_co_u32_e32 v30, vcc, v32, v30
	v_subb_co_u32_e32 v31, vcc, v33, v27, vcc
	v_cmp_gt_i64_e32 vcc, 64, v[30:31]
	v_cndmask_b32_e32 v31, 0, v31, vcc
	v_cndmask_b32_e32 v30, 64, v30, vcc
	v_cmp_lt_i64_e32 vcc, v[14:15], v[30:31]
	s_and_saveexec_b64 s[30:31], vcc
	s_cbranch_execnz .LBB51_46
; %bb.35:                               ;   in Loop: Header=BB51_30 Depth=1
	s_or_b64 exec, exec, s[30:31]
	v_cmp_lt_i64_e32 vcc, v[16:17], v[30:31]
	s_and_saveexec_b64 s[30:31], vcc
	s_cbranch_execnz .LBB51_47
.LBB51_36:                              ;   in Loop: Header=BB51_30 Depth=1
	s_or_b64 exec, exec, s[30:31]
	v_cmp_lt_i64_e32 vcc, v[18:19], v[30:31]
	s_and_saveexec_b64 s[30:31], vcc
	s_cbranch_execz .LBB51_38
.LBB51_37:                              ;   in Loop: Header=BB51_30 Depth=1
	v_mov_b32_e32 v29, s27
	v_add_u32_e32 v32, 32, v28
	v_mov_b32_e32 v33, s27
	flat_load_dword v27, v[28:29] glc
	s_waitcnt vmcnt(0)
	flat_load_dword v34, v[32:33] glc
	s_waitcnt vmcnt(0) lgkmcnt(0)
	v_max_f32_e32 v27, v27, v27
	v_max_f32_e32 v32, v34, v34
	;; [unrolled: 1-line block ×3, first 2 shown]
	flat_store_dword v[28:29], v27
	s_waitcnt vmcnt(0)
.LBB51_38:                              ;   in Loop: Header=BB51_30 Depth=1
	s_or_b64 exec, exec, s[30:31]
	v_cmp_ge_i64_e32 vcc, v[20:21], v[30:31]
	s_and_saveexec_b64 s[30:31], vcc
	s_xor_b64 s[30:31], exec, s[30:31]
; %bb.39:                               ;   in Loop: Header=BB51_30 Depth=1
                                        ; implicit-def: $vgpr28
; %bb.40:                               ;   in Loop: Header=BB51_30 Depth=1
	s_andn2_saveexec_b64 s[30:31], s[30:31]
	s_cbranch_execz .LBB51_42
; %bb.41:                               ;   in Loop: Header=BB51_30 Depth=1
	v_mov_b32_e32 v29, s27
	v_add_u32_e32 v32, 16, v28
	v_mov_b32_e32 v33, s27
	flat_load_dword v27, v[28:29] glc
	s_waitcnt vmcnt(0)
	flat_load_dword v34, v[32:33] glc
	s_waitcnt vmcnt(0) lgkmcnt(0)
	v_max_f32_e32 v27, v27, v27
	v_max_f32_e32 v32, v34, v34
	;; [unrolled: 1-line block ×3, first 2 shown]
	flat_store_dword v[28:29], v27
	s_waitcnt vmcnt(0)
.LBB51_42:                              ;   in Loop: Header=BB51_30 Depth=1
	s_or_b64 exec, exec, s[30:31]
	v_cmp_lt_i64_e32 vcc, v[22:23], v[30:31]
	v_lshlrev_b32_e32 v26, 2, v26
	s_and_saveexec_b64 s[30:31], vcc
	s_cbranch_execz .LBB51_44
; %bb.43:                               ;   in Loop: Header=BB51_30 Depth=1
	v_mov_b32_e32 v27, s27
	v_add_u32_e32 v28, 8, v26
	v_mov_b32_e32 v29, s27
	flat_load_dword v32, v[26:27] glc
	s_waitcnt vmcnt(0)
	flat_load_dword v33, v[28:29] glc
	s_waitcnt vmcnt(0) lgkmcnt(0)
	v_max_f32_e32 v28, v32, v32
	v_max_f32_e32 v29, v33, v33
	;; [unrolled: 1-line block ×3, first 2 shown]
	flat_store_dword v[26:27], v28
	s_waitcnt vmcnt(0)
.LBB51_44:                              ;   in Loop: Header=BB51_30 Depth=1
	s_or_b64 exec, exec, s[30:31]
	v_cmp_lt_i64_e32 vcc, v[24:25], v[30:31]
	s_and_saveexec_b64 s[30:31], vcc
	s_cbranch_execz .LBB51_28
; %bb.45:                               ;   in Loop: Header=BB51_30 Depth=1
	v_mov_b32_e32 v27, s27
	v_add_u32_e32 v28, 4, v26
	v_mov_b32_e32 v29, s27
	flat_load_dword v30, v[26:27] glc
	s_waitcnt vmcnt(0)
	flat_load_dword v31, v[28:29] glc
	s_waitcnt vmcnt(0) lgkmcnt(0)
	v_max_f32_e32 v28, v30, v30
	v_max_f32_e32 v29, v31, v31
	v_max_f32_e32 v28, v28, v29
	flat_store_dword v[26:27], v28
	s_waitcnt vmcnt(0)
	s_branch .LBB51_28
.LBB51_46:                              ;   in Loop: Header=BB51_30 Depth=1
	v_mov_b32_e32 v29, s27
	v_add_u32_e32 v32, 0x80, v28
	v_mov_b32_e32 v33, s27
	flat_load_dword v27, v[28:29] glc
	s_waitcnt vmcnt(0)
	flat_load_dword v34, v[32:33] glc
	s_waitcnt vmcnt(0) lgkmcnt(0)
	v_max_f32_e32 v27, v27, v27
	v_max_f32_e32 v32, v34, v34
	;; [unrolled: 1-line block ×3, first 2 shown]
	flat_store_dword v[28:29], v27
	s_waitcnt vmcnt(0)
	s_or_b64 exec, exec, s[30:31]
	v_cmp_lt_i64_e32 vcc, v[16:17], v[30:31]
	s_and_saveexec_b64 s[30:31], vcc
	s_cbranch_execz .LBB51_36
.LBB51_47:                              ;   in Loop: Header=BB51_30 Depth=1
	v_mov_b32_e32 v29, s27
	v_add_u32_e32 v32, 64, v28
	v_mov_b32_e32 v33, s27
	flat_load_dword v27, v[28:29] glc
	s_waitcnt vmcnt(0)
	flat_load_dword v34, v[32:33] glc
	s_waitcnt vmcnt(0) lgkmcnt(0)
	v_max_f32_e32 v27, v27, v27
	v_max_f32_e32 v32, v34, v34
	;; [unrolled: 1-line block ×3, first 2 shown]
	flat_store_dword v[28:29], v27
	s_waitcnt vmcnt(0)
	s_or_b64 exec, exec, s[30:31]
	v_cmp_lt_i64_e32 vcc, v[18:19], v[30:31]
	s_and_saveexec_b64 s[30:31], vcc
	s_cbranch_execnz .LBB51_37
	s_branch .LBB51_38
.LBB51_48:
	v_cmp_eq_u32_e32 vcc, 0, v4
	v_cmp_lt_i64_e64 s[2:3], v[6:7], v[8:9]
	s_and_b64 s[22:23], vcc, s[2:3]
	s_mul_i32 s7, s19, s6
	s_mul_hi_u32 s16, s18, s6
	s_mul_i32 s2, s18, s6
	s_waitcnt lgkmcnt(0)
	s_barrier
	s_and_saveexec_b64 s[18:19], s[22:23]
	s_cbranch_execz .LBB51_52
; %bb.49:
	s_load_dwordx2 s[4:5], s[4:5], 0x20
	ds_read_b32 v1, v1
	s_waitcnt lgkmcnt(0)
	s_cmp_eq_u64 s[4:5], 0
	s_cbranch_scc1 .LBB51_51
; %bb.50:
	s_load_dword s3, s[4:5], 0x0
	v_max_f32_e32 v1, v1, v1
	s_waitcnt lgkmcnt(0)
	v_max_f32_e64 v4, s3, s3
	v_min_f32_e32 v1, v1, v4
.LBB51_51:
	s_mov_b32 s3, 0x43e00000
	v_div_scale_f32 v4, s[4:5], s3, s3, v1
	v_rcp_f32_e32 v5, v4
	v_div_scale_f32 v6, vcc, v1, s3, v1
	v_lshlrev_b64 v[2:3], 2, v[2:3]
	v_fma_f32 v7, -v4, v5, 1.0
	v_fmac_f32_e32 v5, v7, v5
	v_mul_f32_e32 v7, v6, v5
	v_fma_f32 v8, -v4, v7, v6
	v_fmac_f32_e32 v7, v8, v5
	v_fma_f32 v4, -v4, v7, v6
	v_div_fmas_f32 v4, v4, v5, v7
	v_div_fixup_f32 v1, v4, s3, v1
	s_add_i32 s3, s16, s7
	s_lshl_b64 s[4:5], s[2:3], 2
	s_add_u32 s3, s10, s4
	s_addc_u32 s4, s11, s5
	v_mov_b32_e32 v4, s4
	v_add_co_u32_e32 v2, vcc, s3, v2
	v_max_f32_e32 v1, 0x36924925, v1
	v_addc_co_u32_e32 v3, vcc, v4, v3, vcc
	global_store_dword v[2:3], v1, off
.LBB51_52:
	s_or_b64 exec, exec, s[18:19]
	s_barrier
	s_and_saveexec_b64 s[4:5], s[0:1]
	s_cbranch_execz .LBB51_157
; %bb.53:
	s_mul_i32 s0, s21, s6
	s_mul_hi_u32 s1, s17, s6
	s_add_i32 s1, s1, s0
	s_mul_i32 s0, s17, s6
	s_add_u32 s13, s8, s0
	s_addc_u32 s18, s9, s1
	s_add_i32 s3, s16, s7
	s_lshl_b64 s[0:1], s[2:3], 2
	s_add_u32 s0, s10, s0
	s_addc_u32 s1, s11, s1
	s_mul_i32 s19, s45, 3
	s_lshl_b32 s20, s45, 1
	s_mov_b64 s[2:3], 0
	v_mov_b32_e32 v1, 0
	v_mov_b32_e32 v10, s44
	v_mov_b32_e32 v11, s15
	s_mov_b32 s21, 0x43f00000
	s_mov_b32 s22, 0x3c7fffff
	;; [unrolled: 1-line block ×4, first 2 shown]
	s_movk_i32 s25, 0x80
	s_movk_i32 s26, 0xff
	s_branch .LBB51_59
.LBB51_54:                              ;   in Loop: Header=BB51_59 Depth=1
	s_or_b64 exec, exec, s[16:17]
.LBB51_55:                              ;   in Loop: Header=BB51_59 Depth=1
	s_or_b64 exec, exec, s[10:11]
	v_and_b32_sdwa v7, v14, s25 dst_sel:DWORD dst_unused:UNUSED_PAD src0_sel:BYTE_3 src1_sel:DWORD
	v_lshlrev_b64 v[14:15], 2, v[0:1]
	v_mov_b32_e32 v0, s18
	v_add_co_u32_e32 v14, vcc, s13, v14
	v_and_b32_sdwa v4, v4, s25 dst_sel:DWORD dst_unused:UNUSED_PAD src0_sel:BYTE_3 src1_sel:DWORD
	v_addc_co_u32_e32 v15, vcc, v0, v15, vcc
	v_lshlrev_b32_e32 v0, 24, v6
	v_and_or_b32 v6, v13, s26, v7
	v_lshrrev_b32_e32 v9, 24, v9
	v_and_b32_e32 v5, 0x80000000, v5
	v_lshlrev_b32_e32 v6, 16, v6
	v_and_or_b32 v3, v3, s26, v4
	v_and_b32_e32 v4, 0xff, v8
	v_or3_b32 v0, v5, v0, v6
	v_lshlrev_b32_e32 v3, 8, v3
	v_and_or_b32 v4, v9, s25, v4
	s_add_i32 s10, s45, s45
	v_or3_b32 v0, v0, v3, v4
	s_add_i32 s10, s10, s45
	global_store_dword v[14:15], v0, off
	v_add_u32_e32 v0, s10, v2
	v_cmp_le_u32_e32 vcc, s12, v0
	s_orn2_b64 s[10:11], vcc, exec
.LBB51_56:                              ;   in Loop: Header=BB51_59 Depth=1
	s_or_b64 exec, exec, s[8:9]
	s_orn2_b64 s[8:9], s[10:11], exec
.LBB51_57:                              ;   in Loop: Header=BB51_59 Depth=1
	s_or_b64 exec, exec, s[6:7]
	s_orn2_b64 s[6:7], s[8:9], exec
.LBB51_58:                              ;   in Loop: Header=BB51_59 Depth=1
	s_or_b64 exec, exec, s[4:5]
	s_and_b64 s[4:5], exec, s[6:7]
	s_or_b64 s[2:3], s[4:5], s[2:3]
	s_andn2_b64 exec, exec, s[2:3]
	s_cbranch_execz .LBB51_157
.LBB51_59:                              ; =>This Inner Loop Header: Depth=1
	v_lshlrev_b64 v[4:5], 3, v[0:1]
	v_add_co_u32_e32 v2, vcc, s33, v4
	v_addc_co_u32_e32 v3, vcc, v10, v5, vcc
	v_add_co_u32_e32 v4, vcc, s14, v4
	global_load_dwordx2 v[2:3], v[2:3], off
	v_addc_co_u32_e32 v5, vcc, v11, v5, vcc
	global_load_dwordx2 v[4:5], v[4:5], off
	v_lshrrev_b32_e32 v6, 3, v0
	v_and_b32_e32 v6, 0x7fffffc, v6
	global_load_dword v9, v6, s[0:1]
	s_waitcnt vmcnt(2)
	v_fma_mixlo_f16 v6, v36, v2, 0 op_sel_hi:[0,1,0]
	s_waitcnt vmcnt(1)
	v_mul_f16_e32 v6, v4, v6
	v_cvt_f32_f16_e32 v7, v6
	v_mov_b32_e32 v6, 0x7f
	s_waitcnt vmcnt(0)
	v_div_scale_f32 v8, s[4:5], v9, v9, v7
	v_rcp_f32_e32 v12, v8
	v_div_scale_f32 v13, vcc, v7, v9, v7
	v_fma_f32 v14, -v8, v12, 1.0
	v_fmac_f32_e32 v12, v14, v12
	v_mul_f32_e32 v14, v13, v12
	v_fma_f32 v15, -v8, v14, v13
	v_fmac_f32_e32 v14, v15, v12
	v_fma_f32 v8, -v8, v14, v13
	v_div_fmas_f32 v8, v8, v12, v14
	v_div_fixup_f32 v7, v8, v9, v7
	v_min_f32_e32 v7, 0x43e00000, v7
	v_max_f32_e32 v8, 0xc3e00000, v7
	v_and_b32_e32 v12, 0x7fffffff, v8
	v_cmp_gt_u32_e32 vcc, s21, v12
	v_mov_b32_e32 v7, 0x7f
	s_and_saveexec_b64 s[4:5], vcc
	s_cbranch_execz .LBB51_65
; %bb.60:                               ;   in Loop: Header=BB51_59 Depth=1
	v_cmp_lt_u32_e32 vcc, s22, v12
                                        ; implicit-def: $vgpr7
	s_and_saveexec_b64 s[6:7], vcc
	s_xor_b64 s[6:7], exec, s[6:7]
; %bb.61:                               ;   in Loop: Header=BB51_59 Depth=1
	v_bfe_u32 v7, v8, 20, 1
	v_add3_u32 v7, v8, v7, s23
	v_lshrrev_b32_e32 v7, 20, v7
; %bb.62:                               ;   in Loop: Header=BB51_59 Depth=1
	s_andn2_saveexec_b64 s[6:7], s[6:7]
; %bb.63:                               ;   in Loop: Header=BB51_59 Depth=1
	v_add_f32_e64 v7, |v8|, s24
; %bb.64:                               ;   in Loop: Header=BB51_59 Depth=1
	s_or_b64 exec, exec, s[6:7]
.LBB51_65:                              ;   in Loop: Header=BB51_59 Depth=1
	s_or_b64 exec, exec, s[4:5]
	v_fma_mixlo_f16 v2, v36, v2, 0 op_sel:[0,1,0] op_sel_hi:[0,1,0]
	v_mul_f16_sdwa v2, v4, v2 dst_sel:DWORD dst_unused:UNUSED_PAD src0_sel:WORD_1 src1_sel:DWORD
	v_cvt_f32_f16_e32 v2, v2
	v_div_scale_f32 v4, s[4:5], v9, v9, v2
	v_rcp_f32_e32 v12, v4
	v_div_scale_f32 v13, vcc, v2, v9, v2
	v_fma_f32 v14, -v4, v12, 1.0
	v_fmac_f32_e32 v12, v14, v12
	v_mul_f32_e32 v14, v13, v12
	v_fma_f32 v15, -v4, v14, v13
	v_fmac_f32_e32 v14, v15, v12
	v_fma_f32 v4, -v4, v14, v13
	v_div_fmas_f32 v4, v4, v12, v14
	v_div_fixup_f32 v2, v4, v9, v2
	v_min_f32_e32 v2, 0x43e00000, v2
	v_max_f32_e32 v2, 0xc3e00000, v2
	v_and_b32_e32 v4, 0x7fffffff, v2
	v_cmp_gt_u32_e32 vcc, s21, v4
	s_and_saveexec_b64 s[4:5], vcc
	s_cbranch_execz .LBB51_71
; %bb.66:                               ;   in Loop: Header=BB51_59 Depth=1
	v_cmp_lt_u32_e32 vcc, s22, v4
                                        ; implicit-def: $vgpr6
	s_and_saveexec_b64 s[6:7], vcc
	s_xor_b64 s[6:7], exec, s[6:7]
; %bb.67:                               ;   in Loop: Header=BB51_59 Depth=1
	v_bfe_u32 v4, v2, 20, 1
	v_add3_u32 v4, v2, v4, s23
	v_lshrrev_b32_e32 v6, 20, v4
; %bb.68:                               ;   in Loop: Header=BB51_59 Depth=1
	s_andn2_saveexec_b64 s[6:7], s[6:7]
; %bb.69:                               ;   in Loop: Header=BB51_59 Depth=1
	v_add_f32_e64 v6, |v2|, s24
; %bb.70:                               ;   in Loop: Header=BB51_59 Depth=1
	s_or_b64 exec, exec, s[6:7]
.LBB51_71:                              ;   in Loop: Header=BB51_59 Depth=1
	s_or_b64 exec, exec, s[4:5]
	v_fma_mixlo_f16 v4, v36, v3, 0 op_sel_hi:[0,1,0]
	v_mul_f16_e32 v4, v5, v4
	v_cvt_f32_f16_e32 v12, v4
	v_mov_b32_e32 v4, 0x7f
	v_div_scale_f32 v13, s[4:5], v9, v9, v12
	v_rcp_f32_e32 v14, v13
	v_div_scale_f32 v15, vcc, v12, v9, v12
	v_fma_f32 v16, -v13, v14, 1.0
	v_fmac_f32_e32 v14, v16, v14
	v_mul_f32_e32 v16, v15, v14
	v_fma_f32 v17, -v13, v16, v15
	v_fmac_f32_e32 v16, v17, v14
	v_fma_f32 v13, -v13, v16, v15
	v_div_fmas_f32 v13, v13, v14, v16
	v_div_fixup_f32 v12, v13, v9, v12
	v_min_f32_e32 v12, 0x43e00000, v12
	v_max_f32_e32 v13, 0xc3e00000, v12
	v_and_b32_e32 v14, 0x7fffffff, v13
	v_cmp_gt_u32_e32 vcc, s21, v14
	v_mov_b32_e32 v12, 0x7f
	s_and_saveexec_b64 s[4:5], vcc
	s_cbranch_execz .LBB51_77
; %bb.72:                               ;   in Loop: Header=BB51_59 Depth=1
	v_cmp_lt_u32_e32 vcc, s22, v14
                                        ; implicit-def: $vgpr12
	s_and_saveexec_b64 s[6:7], vcc
	s_xor_b64 s[6:7], exec, s[6:7]
; %bb.73:                               ;   in Loop: Header=BB51_59 Depth=1
	v_bfe_u32 v12, v13, 20, 1
	v_add3_u32 v12, v13, v12, s23
	v_lshrrev_b32_e32 v12, 20, v12
; %bb.74:                               ;   in Loop: Header=BB51_59 Depth=1
	s_andn2_saveexec_b64 s[6:7], s[6:7]
; %bb.75:                               ;   in Loop: Header=BB51_59 Depth=1
	v_add_f32_e64 v12, |v13|, s24
; %bb.76:                               ;   in Loop: Header=BB51_59 Depth=1
	s_or_b64 exec, exec, s[6:7]
.LBB51_77:                              ;   in Loop: Header=BB51_59 Depth=1
	s_or_b64 exec, exec, s[4:5]
	v_fma_mixlo_f16 v3, v36, v3, 0 op_sel:[0,1,0] op_sel_hi:[0,1,0]
	v_mul_f16_sdwa v3, v5, v3 dst_sel:DWORD dst_unused:UNUSED_PAD src0_sel:WORD_1 src1_sel:DWORD
	v_cvt_f32_f16_e32 v3, v3
	v_div_scale_f32 v5, s[4:5], v9, v9, v3
	v_rcp_f32_e32 v14, v5
	v_div_scale_f32 v15, vcc, v3, v9, v3
	v_fma_f32 v16, -v5, v14, 1.0
	v_fmac_f32_e32 v14, v16, v14
	v_mul_f32_e32 v16, v15, v14
	v_fma_f32 v17, -v5, v16, v15
	v_fmac_f32_e32 v16, v17, v14
	v_fma_f32 v5, -v5, v16, v15
	v_div_fmas_f32 v5, v5, v14, v16
	v_div_fixup_f32 v3, v5, v9, v3
	v_min_f32_e32 v3, 0x43e00000, v3
	v_max_f32_e32 v3, 0xc3e00000, v3
	v_and_b32_e32 v5, 0x7fffffff, v3
	v_cmp_gt_u32_e32 vcc, s21, v5
	s_and_saveexec_b64 s[4:5], vcc
	s_cbranch_execz .LBB51_83
; %bb.78:                               ;   in Loop: Header=BB51_59 Depth=1
	v_cmp_lt_u32_e32 vcc, s22, v5
                                        ; implicit-def: $vgpr4
	s_and_saveexec_b64 s[6:7], vcc
	s_xor_b64 s[6:7], exec, s[6:7]
; %bb.79:                               ;   in Loop: Header=BB51_59 Depth=1
	v_bfe_u32 v4, v3, 20, 1
	v_add3_u32 v4, v3, v4, s23
	v_lshrrev_b32_e32 v4, 20, v4
; %bb.80:                               ;   in Loop: Header=BB51_59 Depth=1
	s_andn2_saveexec_b64 s[6:7], s[6:7]
; %bb.81:                               ;   in Loop: Header=BB51_59 Depth=1
	v_add_f32_e64 v4, |v3|, s24
; %bb.82:                               ;   in Loop: Header=BB51_59 Depth=1
	s_or_b64 exec, exec, s[6:7]
.LBB51_83:                              ;   in Loop: Header=BB51_59 Depth=1
	s_or_b64 exec, exec, s[4:5]
	v_and_b32_sdwa v5, v13, s25 dst_sel:DWORD dst_unused:UNUSED_PAD src0_sel:BYTE_3 src1_sel:DWORD
	v_and_or_b32 v5, v12, s26, v5
	v_and_b32_sdwa v2, v2, s25 dst_sel:DWORD dst_unused:UNUSED_PAD src0_sel:BYTE_3 src1_sel:DWORD
	v_lshlrev_b32_e32 v4, 24, v4
	v_and_b32_e32 v3, 0x80000000, v3
	v_lshlrev_b32_e32 v5, 16, v5
	v_lshrrev_b32_e32 v13, 24, v8
	v_lshlrev_b64 v[8:9], 2, v[0:1]
	v_or3_b32 v3, v3, v4, v5
	v_and_or_b32 v2, v6, s26, v2
	v_and_b32_e32 v4, 0xff, v7
	v_mov_b32_e32 v14, s18
	v_add_co_u32_e32 v8, vcc, s13, v8
	v_lshlrev_b32_e32 v2, 8, v2
	v_and_or_b32 v4, v13, s25, v4
	v_addc_co_u32_e32 v9, vcc, v14, v9, vcc
	v_or3_b32 v2, v3, v2, v4
	global_store_dword v[8:9], v2, off
	v_add_u32_e32 v2, s45, v0
	v_cmp_gt_u32_e32 vcc, s12, v2
	s_mov_b64 s[6:7], -1
	s_and_saveexec_b64 s[4:5], vcc
	s_cbranch_execz .LBB51_58
; %bb.84:                               ;   in Loop: Header=BB51_59 Depth=1
	v_mov_b32_e32 v3, v1
	v_lshlrev_b64 v[6:7], 3, v[2:3]
	v_mov_b32_e32 v5, s44
	v_add_co_u32_e32 v4, vcc, s33, v6
	v_addc_co_u32_e32 v5, vcc, v5, v7, vcc
	v_mov_b32_e32 v8, s15
	v_add_co_u32_e32 v6, vcc, s14, v6
	global_load_dwordx2 v[4:5], v[4:5], off
	v_addc_co_u32_e32 v7, vcc, v8, v7, vcc
	global_load_dwordx2 v[6:7], v[6:7], off
	v_lshrrev_b32_e32 v8, 3, v2
	v_and_b32_e32 v8, 0x7fffffc, v8
	global_load_dword v13, v8, s[0:1]
	s_waitcnt vmcnt(2)
	v_fma_mixlo_f16 v8, v36, v4, 0 op_sel_hi:[0,1,0]
	s_waitcnt vmcnt(1)
	v_mul_f16_e32 v8, v6, v8
	v_cvt_f32_f16_e32 v9, v8
	v_mov_b32_e32 v8, 0x7f
	s_waitcnt vmcnt(0)
	v_div_scale_f32 v12, s[6:7], v13, v13, v9
	v_rcp_f32_e32 v14, v12
	v_div_scale_f32 v15, vcc, v9, v13, v9
	v_fma_f32 v16, -v12, v14, 1.0
	v_fmac_f32_e32 v14, v16, v14
	v_mul_f32_e32 v16, v15, v14
	v_fma_f32 v17, -v12, v16, v15
	v_fmac_f32_e32 v16, v17, v14
	v_fma_f32 v12, -v12, v16, v15
	v_div_fmas_f32 v12, v12, v14, v16
	v_div_fixup_f32 v9, v12, v13, v9
	v_min_f32_e32 v9, 0x43e00000, v9
	v_max_f32_e32 v12, 0xc3e00000, v9
	v_and_b32_e32 v14, 0x7fffffff, v12
	v_cmp_gt_u32_e32 vcc, s21, v14
	v_mov_b32_e32 v9, 0x7f
	s_and_saveexec_b64 s[6:7], vcc
	s_cbranch_execz .LBB51_90
; %bb.85:                               ;   in Loop: Header=BB51_59 Depth=1
	v_cmp_lt_u32_e32 vcc, s22, v14
                                        ; implicit-def: $vgpr9
	s_and_saveexec_b64 s[8:9], vcc
	s_xor_b64 s[8:9], exec, s[8:9]
; %bb.86:                               ;   in Loop: Header=BB51_59 Depth=1
	v_bfe_u32 v9, v12, 20, 1
	v_add3_u32 v9, v12, v9, s23
	v_lshrrev_b32_e32 v9, 20, v9
; %bb.87:                               ;   in Loop: Header=BB51_59 Depth=1
	s_andn2_saveexec_b64 s[8:9], s[8:9]
; %bb.88:                               ;   in Loop: Header=BB51_59 Depth=1
	v_add_f32_e64 v9, |v12|, s24
; %bb.89:                               ;   in Loop: Header=BB51_59 Depth=1
	s_or_b64 exec, exec, s[8:9]
.LBB51_90:                              ;   in Loop: Header=BB51_59 Depth=1
	s_or_b64 exec, exec, s[6:7]
	v_fma_mixlo_f16 v4, v36, v4, 0 op_sel:[0,1,0] op_sel_hi:[0,1,0]
	v_mul_f16_sdwa v4, v6, v4 dst_sel:DWORD dst_unused:UNUSED_PAD src0_sel:WORD_1 src1_sel:DWORD
	v_cvt_f32_f16_e32 v4, v4
	v_div_scale_f32 v6, s[6:7], v13, v13, v4
	v_rcp_f32_e32 v14, v6
	v_div_scale_f32 v15, vcc, v4, v13, v4
	v_fma_f32 v16, -v6, v14, 1.0
	v_fmac_f32_e32 v14, v16, v14
	v_mul_f32_e32 v16, v15, v14
	v_fma_f32 v17, -v6, v16, v15
	v_fmac_f32_e32 v16, v17, v14
	v_fma_f32 v6, -v6, v16, v15
	v_div_fmas_f32 v6, v6, v14, v16
	v_div_fixup_f32 v4, v6, v13, v4
	v_min_f32_e32 v4, 0x43e00000, v4
	v_max_f32_e32 v4, 0xc3e00000, v4
	v_and_b32_e32 v6, 0x7fffffff, v4
	v_cmp_gt_u32_e32 vcc, s21, v6
	s_and_saveexec_b64 s[6:7], vcc
	s_cbranch_execz .LBB51_96
; %bb.91:                               ;   in Loop: Header=BB51_59 Depth=1
	v_cmp_lt_u32_e32 vcc, s22, v6
                                        ; implicit-def: $vgpr8
	s_and_saveexec_b64 s[8:9], vcc
	s_xor_b64 s[8:9], exec, s[8:9]
; %bb.92:                               ;   in Loop: Header=BB51_59 Depth=1
	v_bfe_u32 v6, v4, 20, 1
	v_add3_u32 v6, v4, v6, s23
	v_lshrrev_b32_e32 v8, 20, v6
; %bb.93:                               ;   in Loop: Header=BB51_59 Depth=1
	s_andn2_saveexec_b64 s[8:9], s[8:9]
; %bb.94:                               ;   in Loop: Header=BB51_59 Depth=1
	v_add_f32_e64 v8, |v4|, s24
; %bb.95:                               ;   in Loop: Header=BB51_59 Depth=1
	s_or_b64 exec, exec, s[8:9]
.LBB51_96:                              ;   in Loop: Header=BB51_59 Depth=1
	s_or_b64 exec, exec, s[6:7]
	v_fma_mixlo_f16 v6, v36, v5, 0 op_sel_hi:[0,1,0]
	v_mul_f16_e32 v6, v7, v6
	v_cvt_f32_f16_e32 v14, v6
	v_mov_b32_e32 v6, 0x7f
	v_div_scale_f32 v15, s[6:7], v13, v13, v14
	v_rcp_f32_e32 v16, v15
	v_div_scale_f32 v17, vcc, v14, v13, v14
	v_fma_f32 v18, -v15, v16, 1.0
	v_fmac_f32_e32 v16, v18, v16
	v_mul_f32_e32 v18, v17, v16
	v_fma_f32 v19, -v15, v18, v17
	v_fmac_f32_e32 v18, v19, v16
	v_fma_f32 v15, -v15, v18, v17
	v_div_fmas_f32 v15, v15, v16, v18
	v_div_fixup_f32 v14, v15, v13, v14
	v_min_f32_e32 v14, 0x43e00000, v14
	v_max_f32_e32 v15, 0xc3e00000, v14
	v_and_b32_e32 v16, 0x7fffffff, v15
	v_cmp_gt_u32_e32 vcc, s21, v16
	v_mov_b32_e32 v14, 0x7f
	s_and_saveexec_b64 s[6:7], vcc
	s_cbranch_execz .LBB51_102
; %bb.97:                               ;   in Loop: Header=BB51_59 Depth=1
	v_cmp_lt_u32_e32 vcc, s22, v16
                                        ; implicit-def: $vgpr14
	s_and_saveexec_b64 s[8:9], vcc
	s_xor_b64 s[8:9], exec, s[8:9]
; %bb.98:                               ;   in Loop: Header=BB51_59 Depth=1
	v_bfe_u32 v14, v15, 20, 1
	v_add3_u32 v14, v15, v14, s23
	v_lshrrev_b32_e32 v14, 20, v14
; %bb.99:                               ;   in Loop: Header=BB51_59 Depth=1
	s_andn2_saveexec_b64 s[8:9], s[8:9]
; %bb.100:                              ;   in Loop: Header=BB51_59 Depth=1
	v_add_f32_e64 v14, |v15|, s24
; %bb.101:                              ;   in Loop: Header=BB51_59 Depth=1
	s_or_b64 exec, exec, s[8:9]
.LBB51_102:                             ;   in Loop: Header=BB51_59 Depth=1
	s_or_b64 exec, exec, s[6:7]
	v_fma_mixlo_f16 v5, v36, v5, 0 op_sel:[0,1,0] op_sel_hi:[0,1,0]
	v_mul_f16_sdwa v5, v7, v5 dst_sel:DWORD dst_unused:UNUSED_PAD src0_sel:WORD_1 src1_sel:DWORD
	v_cvt_f32_f16_e32 v5, v5
	v_div_scale_f32 v7, s[6:7], v13, v13, v5
	v_rcp_f32_e32 v16, v7
	v_div_scale_f32 v17, vcc, v5, v13, v5
	v_fma_f32 v18, -v7, v16, 1.0
	v_fmac_f32_e32 v16, v18, v16
	v_mul_f32_e32 v18, v17, v16
	v_fma_f32 v19, -v7, v18, v17
	v_fmac_f32_e32 v18, v19, v16
	v_fma_f32 v7, -v7, v18, v17
	v_div_fmas_f32 v7, v7, v16, v18
	v_div_fixup_f32 v5, v7, v13, v5
	v_min_f32_e32 v5, 0x43e00000, v5
	v_max_f32_e32 v5, 0xc3e00000, v5
	v_and_b32_e32 v7, 0x7fffffff, v5
	v_cmp_gt_u32_e32 vcc, s21, v7
	s_and_saveexec_b64 s[6:7], vcc
	s_cbranch_execz .LBB51_108
; %bb.103:                              ;   in Loop: Header=BB51_59 Depth=1
	v_cmp_lt_u32_e32 vcc, s22, v7
                                        ; implicit-def: $vgpr6
	s_and_saveexec_b64 s[8:9], vcc
	s_xor_b64 s[8:9], exec, s[8:9]
; %bb.104:                              ;   in Loop: Header=BB51_59 Depth=1
	v_bfe_u32 v6, v5, 20, 1
	v_add3_u32 v6, v5, v6, s23
	v_lshrrev_b32_e32 v6, 20, v6
; %bb.105:                              ;   in Loop: Header=BB51_59 Depth=1
	s_andn2_saveexec_b64 s[8:9], s[8:9]
; %bb.106:                              ;   in Loop: Header=BB51_59 Depth=1
	v_add_f32_e64 v6, |v5|, s24
; %bb.107:                              ;   in Loop: Header=BB51_59 Depth=1
	s_or_b64 exec, exec, s[8:9]
.LBB51_108:                             ;   in Loop: Header=BB51_59 Depth=1
	s_or_b64 exec, exec, s[6:7]
	v_and_b32_sdwa v7, v15, s25 dst_sel:DWORD dst_unused:UNUSED_PAD src0_sel:BYTE_3 src1_sel:DWORD
	v_lshrrev_b32_e32 v15, 24, v12
	v_lshlrev_b64 v[12:13], 2, v[2:3]
	v_mov_b32_e32 v3, s18
	v_add_co_u32_e32 v12, vcc, s13, v12
	v_addc_co_u32_e32 v13, vcc, v3, v13, vcc
	v_lshlrev_b32_e32 v3, 24, v6
	v_and_or_b32 v6, v14, s26, v7
	v_and_b32_sdwa v4, v4, s25 dst_sel:DWORD dst_unused:UNUSED_PAD src0_sel:BYTE_3 src1_sel:DWORD
	v_and_b32_e32 v5, 0x80000000, v5
	v_lshlrev_b32_e32 v6, 16, v6
	v_or3_b32 v3, v5, v3, v6
	v_and_or_b32 v4, v8, s26, v4
	v_and_b32_e32 v5, 0xff, v9
	v_lshlrev_b32_e32 v4, 8, v4
	v_and_or_b32 v5, v15, s25, v5
	v_or3_b32 v3, v3, v4, v5
	v_add_u32_e32 v4, s20, v0
	v_cmp_gt_u32_e32 vcc, s12, v4
	s_mov_b64 s[8:9], -1
	global_store_dword v[12:13], v3, off
	s_and_saveexec_b64 s[6:7], vcc
	s_cbranch_execz .LBB51_57
; %bb.109:                              ;   in Loop: Header=BB51_59 Depth=1
	v_mov_b32_e32 v5, v1
	v_lshlrev_b64 v[8:9], 3, v[4:5]
	v_mov_b32_e32 v3, s44
	v_add_co_u32_e32 v6, vcc, s33, v8
	v_addc_co_u32_e32 v7, vcc, v3, v9, vcc
	v_mov_b32_e32 v3, s15
	v_add_co_u32_e32 v8, vcc, s14, v8
	global_load_dwordx2 v[6:7], v[6:7], off
	v_addc_co_u32_e32 v9, vcc, v3, v9, vcc
	global_load_dwordx2 v[8:9], v[8:9], off
	v_lshrrev_b32_e32 v3, 3, v4
	v_and_b32_e32 v3, 0x7fffffc, v3
	global_load_dword v14, v3, s[0:1]
	s_waitcnt vmcnt(2)
	v_fma_mixlo_f16 v3, v36, v6, 0 op_sel_hi:[0,1,0]
	s_waitcnt vmcnt(1)
	v_mul_f16_e32 v3, v8, v3
	v_cvt_f32_f16_e32 v12, v3
	v_mov_b32_e32 v3, 0x7f
	s_waitcnt vmcnt(0)
	v_div_scale_f32 v13, s[8:9], v14, v14, v12
	v_rcp_f32_e32 v15, v13
	v_div_scale_f32 v16, vcc, v12, v14, v12
	v_fma_f32 v17, -v13, v15, 1.0
	v_fmac_f32_e32 v15, v17, v15
	v_mul_f32_e32 v17, v16, v15
	v_fma_f32 v18, -v13, v17, v16
	v_fmac_f32_e32 v17, v18, v15
	v_fma_f32 v13, -v13, v17, v16
	v_div_fmas_f32 v13, v13, v15, v17
	v_div_fixup_f32 v12, v13, v14, v12
	v_min_f32_e32 v12, 0x43e00000, v12
	v_max_f32_e32 v13, 0xc3e00000, v12
	v_and_b32_e32 v15, 0x7fffffff, v13
	v_cmp_gt_u32_e32 vcc, s21, v15
	v_mov_b32_e32 v12, 0x7f
	s_and_saveexec_b64 s[8:9], vcc
	s_cbranch_execz .LBB51_115
; %bb.110:                              ;   in Loop: Header=BB51_59 Depth=1
	v_cmp_lt_u32_e32 vcc, s22, v15
                                        ; implicit-def: $vgpr12
	s_and_saveexec_b64 s[10:11], vcc
	s_xor_b64 s[10:11], exec, s[10:11]
; %bb.111:                              ;   in Loop: Header=BB51_59 Depth=1
	v_bfe_u32 v12, v13, 20, 1
	v_add3_u32 v12, v13, v12, s23
	v_lshrrev_b32_e32 v12, 20, v12
; %bb.112:                              ;   in Loop: Header=BB51_59 Depth=1
	s_andn2_saveexec_b64 s[10:11], s[10:11]
; %bb.113:                              ;   in Loop: Header=BB51_59 Depth=1
	v_add_f32_e64 v12, |v13|, s24
; %bb.114:                              ;   in Loop: Header=BB51_59 Depth=1
	s_or_b64 exec, exec, s[10:11]
.LBB51_115:                             ;   in Loop: Header=BB51_59 Depth=1
	s_or_b64 exec, exec, s[8:9]
	v_fma_mixlo_f16 v6, v36, v6, 0 op_sel:[0,1,0] op_sel_hi:[0,1,0]
	v_mul_f16_sdwa v6, v8, v6 dst_sel:DWORD dst_unused:UNUSED_PAD src0_sel:WORD_1 src1_sel:DWORD
	v_cvt_f32_f16_e32 v6, v6
	v_div_scale_f32 v8, s[8:9], v14, v14, v6
	v_rcp_f32_e32 v15, v8
	v_div_scale_f32 v16, vcc, v6, v14, v6
	v_fma_f32 v17, -v8, v15, 1.0
	v_fmac_f32_e32 v15, v17, v15
	v_mul_f32_e32 v17, v16, v15
	v_fma_f32 v18, -v8, v17, v16
	v_fmac_f32_e32 v17, v18, v15
	v_fma_f32 v8, -v8, v17, v16
	v_div_fmas_f32 v8, v8, v15, v17
	v_div_fixup_f32 v6, v8, v14, v6
	v_min_f32_e32 v6, 0x43e00000, v6
	v_max_f32_e32 v6, 0xc3e00000, v6
	v_and_b32_e32 v8, 0x7fffffff, v6
	v_cmp_gt_u32_e32 vcc, s21, v8
	s_and_saveexec_b64 s[8:9], vcc
	s_cbranch_execz .LBB51_121
; %bb.116:                              ;   in Loop: Header=BB51_59 Depth=1
	v_cmp_lt_u32_e32 vcc, s22, v8
                                        ; implicit-def: $vgpr3
	s_and_saveexec_b64 s[10:11], vcc
	s_xor_b64 s[10:11], exec, s[10:11]
; %bb.117:                              ;   in Loop: Header=BB51_59 Depth=1
	v_bfe_u32 v3, v6, 20, 1
	v_add3_u32 v3, v6, v3, s23
	v_lshrrev_b32_e32 v3, 20, v3
; %bb.118:                              ;   in Loop: Header=BB51_59 Depth=1
	s_andn2_saveexec_b64 s[10:11], s[10:11]
; %bb.119:                              ;   in Loop: Header=BB51_59 Depth=1
	v_add_f32_e64 v3, |v6|, s24
; %bb.120:                              ;   in Loop: Header=BB51_59 Depth=1
	s_or_b64 exec, exec, s[10:11]
.LBB51_121:                             ;   in Loop: Header=BB51_59 Depth=1
	s_or_b64 exec, exec, s[8:9]
	v_fma_mixlo_f16 v8, v36, v7, 0 op_sel_hi:[0,1,0]
	v_mul_f16_e32 v8, v9, v8
	v_cvt_f32_f16_e32 v15, v8
	v_mov_b32_e32 v8, 0x7f
	v_div_scale_f32 v16, s[8:9], v14, v14, v15
	v_rcp_f32_e32 v17, v16
	v_div_scale_f32 v18, vcc, v15, v14, v15
	v_fma_f32 v19, -v16, v17, 1.0
	v_fmac_f32_e32 v17, v19, v17
	v_mul_f32_e32 v19, v18, v17
	v_fma_f32 v20, -v16, v19, v18
	v_fmac_f32_e32 v19, v20, v17
	v_fma_f32 v16, -v16, v19, v18
	v_div_fmas_f32 v16, v16, v17, v19
	v_div_fixup_f32 v15, v16, v14, v15
	v_min_f32_e32 v15, 0x43e00000, v15
	v_max_f32_e32 v16, 0xc3e00000, v15
	v_and_b32_e32 v17, 0x7fffffff, v16
	v_cmp_gt_u32_e32 vcc, s21, v17
	v_mov_b32_e32 v15, 0x7f
	s_and_saveexec_b64 s[8:9], vcc
	s_cbranch_execz .LBB51_127
; %bb.122:                              ;   in Loop: Header=BB51_59 Depth=1
	v_cmp_lt_u32_e32 vcc, s22, v17
                                        ; implicit-def: $vgpr15
	s_and_saveexec_b64 s[10:11], vcc
	s_xor_b64 s[10:11], exec, s[10:11]
; %bb.123:                              ;   in Loop: Header=BB51_59 Depth=1
	v_bfe_u32 v15, v16, 20, 1
	v_add3_u32 v15, v16, v15, s23
	v_lshrrev_b32_e32 v15, 20, v15
; %bb.124:                              ;   in Loop: Header=BB51_59 Depth=1
	s_andn2_saveexec_b64 s[10:11], s[10:11]
; %bb.125:                              ;   in Loop: Header=BB51_59 Depth=1
	v_add_f32_e64 v15, |v16|, s24
; %bb.126:                              ;   in Loop: Header=BB51_59 Depth=1
	s_or_b64 exec, exec, s[10:11]
.LBB51_127:                             ;   in Loop: Header=BB51_59 Depth=1
	s_or_b64 exec, exec, s[8:9]
	v_fma_mixlo_f16 v7, v36, v7, 0 op_sel:[0,1,0] op_sel_hi:[0,1,0]
	v_mul_f16_sdwa v7, v9, v7 dst_sel:DWORD dst_unused:UNUSED_PAD src0_sel:WORD_1 src1_sel:DWORD
	v_cvt_f32_f16_e32 v7, v7
	v_div_scale_f32 v9, s[8:9], v14, v14, v7
	v_rcp_f32_e32 v17, v9
	v_div_scale_f32 v18, vcc, v7, v14, v7
	v_fma_f32 v19, -v9, v17, 1.0
	v_fmac_f32_e32 v17, v19, v17
	v_mul_f32_e32 v19, v18, v17
	v_fma_f32 v20, -v9, v19, v18
	v_fmac_f32_e32 v19, v20, v17
	v_fma_f32 v9, -v9, v19, v18
	v_div_fmas_f32 v9, v9, v17, v19
	v_div_fixup_f32 v7, v9, v14, v7
	v_min_f32_e32 v7, 0x43e00000, v7
	v_max_f32_e32 v7, 0xc3e00000, v7
	v_and_b32_e32 v9, 0x7fffffff, v7
	v_cmp_gt_u32_e32 vcc, s21, v9
	s_and_saveexec_b64 s[8:9], vcc
	s_cbranch_execz .LBB51_133
; %bb.128:                              ;   in Loop: Header=BB51_59 Depth=1
	v_cmp_lt_u32_e32 vcc, s22, v9
                                        ; implicit-def: $vgpr8
	s_and_saveexec_b64 s[10:11], vcc
	s_xor_b64 s[10:11], exec, s[10:11]
; %bb.129:                              ;   in Loop: Header=BB51_59 Depth=1
	v_bfe_u32 v8, v7, 20, 1
	v_add3_u32 v8, v7, v8, s23
	v_lshrrev_b32_e32 v8, 20, v8
; %bb.130:                              ;   in Loop: Header=BB51_59 Depth=1
	s_andn2_saveexec_b64 s[10:11], s[10:11]
; %bb.131:                              ;   in Loop: Header=BB51_59 Depth=1
	v_add_f32_e64 v8, |v7|, s24
; %bb.132:                              ;   in Loop: Header=BB51_59 Depth=1
	s_or_b64 exec, exec, s[10:11]
.LBB51_133:                             ;   in Loop: Header=BB51_59 Depth=1
	s_or_b64 exec, exec, s[8:9]
	v_and_b32_sdwa v9, v16, s25 dst_sel:DWORD dst_unused:UNUSED_PAD src0_sel:BYTE_3 src1_sel:DWORD
	v_and_b32_sdwa v6, v6, s25 dst_sel:DWORD dst_unused:UNUSED_PAD src0_sel:BYTE_3 src1_sel:DWORD
	v_lshlrev_b64 v[4:5], 2, v[4:5]
	v_and_or_b32 v9, v15, s26, v9
	v_lshrrev_b32_e32 v13, 24, v13
	v_mov_b32_e32 v14, s18
	v_add_co_u32_e32 v4, vcc, s13, v4
	v_lshlrev_b32_e32 v8, 24, v8
	v_and_b32_e32 v7, 0x80000000, v7
	v_lshlrev_b32_e32 v9, 16, v9
	v_and_or_b32 v3, v3, s26, v6
	v_and_b32_e32 v6, 0xff, v12
	v_addc_co_u32_e32 v5, vcc, v14, v5, vcc
	v_or3_b32 v7, v7, v8, v9
	v_lshlrev_b32_e32 v3, 8, v3
	v_and_or_b32 v6, v13, s25, v6
	v_add_u32_e32 v0, s19, v0
	v_or3_b32 v3, v7, v3, v6
	v_cmp_gt_u32_e32 vcc, s12, v0
	s_mov_b64 s[10:11], -1
	global_store_dword v[4:5], v3, off
	s_and_saveexec_b64 s[8:9], vcc
	s_cbranch_execz .LBB51_56
; %bb.134:                              ;   in Loop: Header=BB51_59 Depth=1
	v_lshlrev_b64 v[6:7], 3, v[0:1]
	v_mov_b32_e32 v3, s44
	v_add_co_u32_e32 v4, vcc, s33, v6
	v_addc_co_u32_e32 v5, vcc, v3, v7, vcc
	v_mov_b32_e32 v3, s15
	v_add_co_u32_e32 v6, vcc, s14, v6
	global_load_dwordx2 v[4:5], v[4:5], off
	v_addc_co_u32_e32 v7, vcc, v3, v7, vcc
	global_load_dwordx2 v[6:7], v[6:7], off
	v_lshrrev_b32_e32 v3, 3, v0
	v_and_b32_e32 v3, 0x7fffffc, v3
	global_load_dword v12, v3, s[0:1]
	s_waitcnt vmcnt(2)
	v_fma_mixlo_f16 v3, v36, v4, 0 op_sel_hi:[0,1,0]
	s_waitcnt vmcnt(1)
	v_mul_f16_e32 v3, v6, v3
	v_cvt_f32_f16_e32 v8, v3
	v_mov_b32_e32 v3, 0x7f
	s_waitcnt vmcnt(0)
	v_div_scale_f32 v9, s[10:11], v12, v12, v8
	v_rcp_f32_e32 v13, v9
	v_div_scale_f32 v14, vcc, v8, v12, v8
	v_fma_f32 v15, -v9, v13, 1.0
	v_fmac_f32_e32 v13, v15, v13
	v_mul_f32_e32 v15, v14, v13
	v_fma_f32 v16, -v9, v15, v14
	v_fmac_f32_e32 v15, v16, v13
	v_fma_f32 v9, -v9, v15, v14
	v_div_fmas_f32 v9, v9, v13, v15
	v_div_fixup_f32 v8, v9, v12, v8
	v_min_f32_e32 v8, 0x43e00000, v8
	v_max_f32_e32 v9, 0xc3e00000, v8
	v_and_b32_e32 v13, 0x7fffffff, v9
	v_cmp_gt_u32_e32 vcc, s21, v13
	v_mov_b32_e32 v8, 0x7f
	s_and_saveexec_b64 s[10:11], vcc
	s_cbranch_execz .LBB51_140
; %bb.135:                              ;   in Loop: Header=BB51_59 Depth=1
	v_cmp_lt_u32_e32 vcc, s22, v13
                                        ; implicit-def: $vgpr8
	s_and_saveexec_b64 s[16:17], vcc
	s_xor_b64 s[16:17], exec, s[16:17]
; %bb.136:                              ;   in Loop: Header=BB51_59 Depth=1
	v_bfe_u32 v8, v9, 20, 1
	v_add3_u32 v8, v9, v8, s23
	v_lshrrev_b32_e32 v8, 20, v8
; %bb.137:                              ;   in Loop: Header=BB51_59 Depth=1
	s_andn2_saveexec_b64 s[16:17], s[16:17]
; %bb.138:                              ;   in Loop: Header=BB51_59 Depth=1
	v_add_f32_e64 v8, |v9|, s24
; %bb.139:                              ;   in Loop: Header=BB51_59 Depth=1
	s_or_b64 exec, exec, s[16:17]
.LBB51_140:                             ;   in Loop: Header=BB51_59 Depth=1
	s_or_b64 exec, exec, s[10:11]
	v_fma_mixlo_f16 v4, v36, v4, 0 op_sel:[0,1,0] op_sel_hi:[0,1,0]
	v_mul_f16_sdwa v4, v6, v4 dst_sel:DWORD dst_unused:UNUSED_PAD src0_sel:WORD_1 src1_sel:DWORD
	v_cvt_f32_f16_e32 v4, v4
	v_div_scale_f32 v6, s[10:11], v12, v12, v4
	v_rcp_f32_e32 v13, v6
	v_div_scale_f32 v14, vcc, v4, v12, v4
	v_fma_f32 v15, -v6, v13, 1.0
	v_fmac_f32_e32 v13, v15, v13
	v_mul_f32_e32 v15, v14, v13
	v_fma_f32 v16, -v6, v15, v14
	v_fmac_f32_e32 v15, v16, v13
	v_fma_f32 v6, -v6, v15, v14
	v_div_fmas_f32 v6, v6, v13, v15
	v_div_fixup_f32 v4, v6, v12, v4
	v_min_f32_e32 v4, 0x43e00000, v4
	v_max_f32_e32 v4, 0xc3e00000, v4
	v_and_b32_e32 v6, 0x7fffffff, v4
	v_cmp_gt_u32_e32 vcc, s21, v6
	s_and_saveexec_b64 s[10:11], vcc
	s_cbranch_execz .LBB51_146
; %bb.141:                              ;   in Loop: Header=BB51_59 Depth=1
	v_cmp_lt_u32_e32 vcc, s22, v6
                                        ; implicit-def: $vgpr3
	s_and_saveexec_b64 s[16:17], vcc
	s_xor_b64 s[16:17], exec, s[16:17]
; %bb.142:                              ;   in Loop: Header=BB51_59 Depth=1
	v_bfe_u32 v3, v4, 20, 1
	v_add3_u32 v3, v4, v3, s23
	v_lshrrev_b32_e32 v3, 20, v3
; %bb.143:                              ;   in Loop: Header=BB51_59 Depth=1
	s_andn2_saveexec_b64 s[16:17], s[16:17]
; %bb.144:                              ;   in Loop: Header=BB51_59 Depth=1
	v_add_f32_e64 v3, |v4|, s24
; %bb.145:                              ;   in Loop: Header=BB51_59 Depth=1
	s_or_b64 exec, exec, s[16:17]
.LBB51_146:                             ;   in Loop: Header=BB51_59 Depth=1
	s_or_b64 exec, exec, s[10:11]
	v_fma_mixlo_f16 v6, v36, v5, 0 op_sel_hi:[0,1,0]
	v_mul_f16_e32 v6, v7, v6
	v_cvt_f32_f16_e32 v13, v6
	v_mov_b32_e32 v6, 0x7f
	v_div_scale_f32 v14, s[10:11], v12, v12, v13
	v_rcp_f32_e32 v15, v14
	v_div_scale_f32 v16, vcc, v13, v12, v13
	v_fma_f32 v17, -v14, v15, 1.0
	v_fmac_f32_e32 v15, v17, v15
	v_mul_f32_e32 v17, v16, v15
	v_fma_f32 v18, -v14, v17, v16
	v_fmac_f32_e32 v17, v18, v15
	v_fma_f32 v14, -v14, v17, v16
	v_div_fmas_f32 v14, v14, v15, v17
	v_div_fixup_f32 v13, v14, v12, v13
	v_min_f32_e32 v13, 0x43e00000, v13
	v_max_f32_e32 v14, 0xc3e00000, v13
	v_and_b32_e32 v15, 0x7fffffff, v14
	v_cmp_gt_u32_e32 vcc, s21, v15
	v_mov_b32_e32 v13, 0x7f
	s_and_saveexec_b64 s[10:11], vcc
	s_cbranch_execz .LBB51_152
; %bb.147:                              ;   in Loop: Header=BB51_59 Depth=1
	v_cmp_lt_u32_e32 vcc, s22, v15
                                        ; implicit-def: $vgpr13
	s_and_saveexec_b64 s[16:17], vcc
	s_xor_b64 s[16:17], exec, s[16:17]
; %bb.148:                              ;   in Loop: Header=BB51_59 Depth=1
	v_bfe_u32 v13, v14, 20, 1
	v_add3_u32 v13, v14, v13, s23
	v_lshrrev_b32_e32 v13, 20, v13
; %bb.149:                              ;   in Loop: Header=BB51_59 Depth=1
	s_andn2_saveexec_b64 s[16:17], s[16:17]
; %bb.150:                              ;   in Loop: Header=BB51_59 Depth=1
	v_add_f32_e64 v13, |v14|, s24
; %bb.151:                              ;   in Loop: Header=BB51_59 Depth=1
	s_or_b64 exec, exec, s[16:17]
.LBB51_152:                             ;   in Loop: Header=BB51_59 Depth=1
	s_or_b64 exec, exec, s[10:11]
	v_fma_mixlo_f16 v5, v36, v5, 0 op_sel:[0,1,0] op_sel_hi:[0,1,0]
	v_mul_f16_sdwa v5, v7, v5 dst_sel:DWORD dst_unused:UNUSED_PAD src0_sel:WORD_1 src1_sel:DWORD
	v_cvt_f32_f16_e32 v5, v5
	v_div_scale_f32 v7, s[10:11], v12, v12, v5
	v_rcp_f32_e32 v15, v7
	v_div_scale_f32 v16, vcc, v5, v12, v5
	v_fma_f32 v17, -v7, v15, 1.0
	v_fmac_f32_e32 v15, v17, v15
	v_mul_f32_e32 v17, v16, v15
	v_fma_f32 v18, -v7, v17, v16
	v_fmac_f32_e32 v17, v18, v15
	v_fma_f32 v7, -v7, v17, v16
	v_div_fmas_f32 v7, v7, v15, v17
	v_div_fixup_f32 v5, v7, v12, v5
	v_min_f32_e32 v5, 0x43e00000, v5
	v_max_f32_e32 v5, 0xc3e00000, v5
	v_and_b32_e32 v7, 0x7fffffff, v5
	v_cmp_gt_u32_e32 vcc, s21, v7
	s_and_saveexec_b64 s[10:11], vcc
	s_cbranch_execz .LBB51_55
; %bb.153:                              ;   in Loop: Header=BB51_59 Depth=1
	v_cmp_lt_u32_e32 vcc, s22, v7
                                        ; implicit-def: $vgpr6
	s_and_saveexec_b64 s[16:17], vcc
	s_xor_b64 s[16:17], exec, s[16:17]
; %bb.154:                              ;   in Loop: Header=BB51_59 Depth=1
	v_bfe_u32 v6, v5, 20, 1
	v_add3_u32 v6, v5, v6, s23
	v_lshrrev_b32_e32 v6, 20, v6
; %bb.155:                              ;   in Loop: Header=BB51_59 Depth=1
	s_andn2_saveexec_b64 s[16:17], s[16:17]
	s_cbranch_execz .LBB51_54
; %bb.156:                              ;   in Loop: Header=BB51_59 Depth=1
	v_add_f32_e64 v6, |v5|, s24
	s_branch .LBB51_54
.LBB51_157:
	s_endpgm
	.section	.rodata,"a",@progbits
	.p2align	6, 0x0
	.amdhsa_kernel _ZN4vllm31rms_norm_per_block_quant_kernelIN3c104HalfENS1_13Float8_e4m3fnELb0ELb0ELi128EEEvPT0_PfPKT_S9_PKffiiPS7_l
		.amdhsa_group_segment_fixed_size 4164
		.amdhsa_private_segment_fixed_size 0
		.amdhsa_kernarg_size 328
		.amdhsa_user_sgpr_count 6
		.amdhsa_user_sgpr_private_segment_buffer 1
		.amdhsa_user_sgpr_dispatch_ptr 0
		.amdhsa_user_sgpr_queue_ptr 0
		.amdhsa_user_sgpr_kernarg_segment_ptr 1
		.amdhsa_user_sgpr_dispatch_id 0
		.amdhsa_user_sgpr_flat_scratch_init 0
		.amdhsa_user_sgpr_kernarg_preload_length 0
		.amdhsa_user_sgpr_kernarg_preload_offset 0
		.amdhsa_user_sgpr_private_segment_size 0
		.amdhsa_uses_dynamic_stack 0
		.amdhsa_system_sgpr_private_segment_wavefront_offset 0
		.amdhsa_system_sgpr_workgroup_id_x 1
		.amdhsa_system_sgpr_workgroup_id_y 0
		.amdhsa_system_sgpr_workgroup_id_z 0
		.amdhsa_system_sgpr_workgroup_info 0
		.amdhsa_system_vgpr_workitem_id 0
		.amdhsa_next_free_vgpr 40
		.amdhsa_next_free_sgpr 46
		.amdhsa_accum_offset 40
		.amdhsa_reserve_vcc 1
		.amdhsa_reserve_flat_scratch 0
		.amdhsa_float_round_mode_32 0
		.amdhsa_float_round_mode_16_64 0
		.amdhsa_float_denorm_mode_32 3
		.amdhsa_float_denorm_mode_16_64 3
		.amdhsa_dx10_clamp 1
		.amdhsa_ieee_mode 1
		.amdhsa_fp16_overflow 0
		.amdhsa_tg_split 0
		.amdhsa_exception_fp_ieee_invalid_op 0
		.amdhsa_exception_fp_denorm_src 0
		.amdhsa_exception_fp_ieee_div_zero 0
		.amdhsa_exception_fp_ieee_overflow 0
		.amdhsa_exception_fp_ieee_underflow 0
		.amdhsa_exception_fp_ieee_inexact 0
		.amdhsa_exception_int_div_zero 0
	.end_amdhsa_kernel
	.section	.text._ZN4vllm31rms_norm_per_block_quant_kernelIN3c104HalfENS1_13Float8_e4m3fnELb0ELb0ELi128EEEvPT0_PfPKT_S9_PKffiiPS7_l,"axG",@progbits,_ZN4vllm31rms_norm_per_block_quant_kernelIN3c104HalfENS1_13Float8_e4m3fnELb0ELb0ELi128EEEvPT0_PfPKT_S9_PKffiiPS7_l,comdat
.Lfunc_end51:
	.size	_ZN4vllm31rms_norm_per_block_quant_kernelIN3c104HalfENS1_13Float8_e4m3fnELb0ELb0ELi128EEEvPT0_PfPKT_S9_PKffiiPS7_l, .Lfunc_end51-_ZN4vllm31rms_norm_per_block_quant_kernelIN3c104HalfENS1_13Float8_e4m3fnELb0ELb0ELi128EEEvPT0_PfPKT_S9_PKffiiPS7_l
                                        ; -- End function
	.section	.AMDGPU.csdata,"",@progbits
; Kernel info:
; codeLenInByte = 7908
; NumSgprs: 50
; NumVgprs: 40
; NumAgprs: 0
; TotalNumVgprs: 40
; ScratchSize: 0
; MemoryBound: 0
; FloatMode: 240
; IeeeMode: 1
; LDSByteSize: 4164 bytes/workgroup (compile time only)
; SGPRBlocks: 6
; VGPRBlocks: 4
; NumSGPRsForWavesPerEU: 50
; NumVGPRsForWavesPerEU: 40
; AccumOffset: 40
; Occupancy: 8
; WaveLimiterHint : 0
; COMPUTE_PGM_RSRC2:SCRATCH_EN: 0
; COMPUTE_PGM_RSRC2:USER_SGPR: 6
; COMPUTE_PGM_RSRC2:TRAP_HANDLER: 0
; COMPUTE_PGM_RSRC2:TGID_X_EN: 1
; COMPUTE_PGM_RSRC2:TGID_Y_EN: 0
; COMPUTE_PGM_RSRC2:TGID_Z_EN: 0
; COMPUTE_PGM_RSRC2:TIDIG_COMP_CNT: 0
; COMPUTE_PGM_RSRC3_GFX90A:ACCUM_OFFSET: 9
; COMPUTE_PGM_RSRC3_GFX90A:TG_SPLIT: 0
	.section	.text._ZN4vllm31rms_norm_per_block_quant_kernelIN3c104HalfENS1_15Float8_e4m3fnuzELb0ELb0ELi128EEEvPT0_PfPKT_S9_PKffiiPS7_l,"axG",@progbits,_ZN4vllm31rms_norm_per_block_quant_kernelIN3c104HalfENS1_15Float8_e4m3fnuzELb0ELb0ELi128EEEvPT0_PfPKT_S9_PKffiiPS7_l,comdat
	.protected	_ZN4vllm31rms_norm_per_block_quant_kernelIN3c104HalfENS1_15Float8_e4m3fnuzELb0ELb0ELi128EEEvPT0_PfPKT_S9_PKffiiPS7_l ; -- Begin function _ZN4vllm31rms_norm_per_block_quant_kernelIN3c104HalfENS1_15Float8_e4m3fnuzELb0ELb0ELi128EEEvPT0_PfPKT_S9_PKffiiPS7_l
	.globl	_ZN4vllm31rms_norm_per_block_quant_kernelIN3c104HalfENS1_15Float8_e4m3fnuzELb0ELb0ELi128EEEvPT0_PfPKT_S9_PKffiiPS7_l
	.p2align	8
	.type	_ZN4vllm31rms_norm_per_block_quant_kernelIN3c104HalfENS1_15Float8_e4m3fnuzELb0ELb0ELi128EEEvPT0_PfPKT_S9_PKffiiPS7_l,@function
_ZN4vllm31rms_norm_per_block_quant_kernelIN3c104HalfENS1_15Float8_e4m3fnuzELb0ELb0ELi128EEEvPT0_PfPKT_S9_PKffiiPS7_l: ; @_ZN4vllm31rms_norm_per_block_quant_kernelIN3c104HalfENS1_15Float8_e4m3fnuzELb0ELb0ELi128EEEvPT0_PfPKT_S9_PKffiiPS7_l
; %bb.0:
	s_load_dwordx4 s[16:19], s[4:5], 0x28
	s_load_dwordx8 s[8:15], s[4:5], 0x0
	v_mov_b32_e32 v1, 0
	s_waitcnt lgkmcnt(0)
	s_ashr_i32 s0, s18, 31
	s_mul_hi_u32 s1, s18, s6
	s_mul_i32 s0, s0, s6
	s_add_i32 s1, s1, s0
	s_mul_i32 s0, s18, s6
	s_lshl_b64 s[0:1], s[0:1], 1
	s_add_u32 s33, s12, s0
	s_addc_u32 s44, s13, s1
	s_ashr_i32 s12, s17, 2
	s_add_u32 s2, s4, 0x48
	s_mov_b32 s20, s17
	v_cmp_gt_u32_e64 s[0:1], s12, v0
	s_addc_u32 s3, s5, 0
	s_and_saveexec_b64 s[18:19], s[0:1]
	s_cbranch_execz .LBB52_10
; %bb.1:
	s_load_dword s7, s[2:3], 0x0
	v_mov_b32_e32 v3, 0
	v_mov_b32_e32 v9, s44
	v_mov_b32_e32 v2, v0
                                        ; implicit-def: $sgpr24_sgpr25
	s_waitcnt lgkmcnt(0)
	s_cmp_lt_u32 s6, s7
	s_cselect_b32 s7, 12, 18
	s_add_u32 s22, s2, s7
	s_addc_u32 s23, s3, 0
	global_load_ushort v8, v3, s[22:23]
	s_mov_b64 s[22:23], 0
	s_waitcnt vmcnt(0)
	v_add_u32_e32 v1, v8, v8
	v_mul_lo_u32 v10, v8, 3
	v_lshlrev_b32_e32 v11, 1, v8
	v_add_u32_e32 v12, v1, v8
	v_mov_b32_e32 v1, v3
	s_branch .LBB52_5
.LBB52_2:                               ;   in Loop: Header=BB52_5 Depth=1
	s_or_b64 exec, exec, s[30:31]
	s_orn2_b64 s[30:31], s[34:35], exec
.LBB52_3:                               ;   in Loop: Header=BB52_5 Depth=1
	s_or_b64 exec, exec, s[28:29]
	s_andn2_b64 s[24:25], s[24:25], exec
	s_and_b64 s[28:29], s[30:31], exec
	s_or_b64 s[24:25], s[24:25], s[28:29]
.LBB52_4:                               ;   in Loop: Header=BB52_5 Depth=1
	s_or_b64 exec, exec, s[26:27]
	s_and_b64 s[26:27], exec, s[24:25]
	s_or_b64 s[22:23], s[26:27], s[22:23]
	s_andn2_b64 exec, exec, s[22:23]
	s_cbranch_execz .LBB52_9
.LBB52_5:                               ; =>This Inner Loop Header: Depth=1
	v_lshlrev_b64 v[4:5], 3, v[2:3]
	v_add_co_u32_e32 v4, vcc, s33, v4
	v_addc_co_u32_e32 v5, vcc, v9, v5, vcc
	global_load_dwordx2 v[6:7], v[4:5], off
	v_add_u32_e32 v4, v2, v8
	v_cmp_gt_u32_e32 vcc, s12, v4
	s_or_b64 s[24:25], s[24:25], exec
	s_waitcnt vmcnt(0)
	v_fma_mix_f32 v1, v6, v6, v1 op_sel_hi:[1,1,0]
	v_fma_mix_f32 v1, v6, v6, v1 op_sel:[1,1,0] op_sel_hi:[1,1,0]
	v_fma_mix_f32 v1, v7, v7, v1 op_sel_hi:[1,1,0]
	v_fma_mix_f32 v1, v7, v7, v1 op_sel:[1,1,0] op_sel_hi:[1,1,0]
	s_and_saveexec_b64 s[26:27], vcc
	s_cbranch_execz .LBB52_4
; %bb.6:                                ;   in Loop: Header=BB52_5 Depth=1
	v_mov_b32_e32 v5, v3
	v_lshlrev_b64 v[6:7], 3, v[4:5]
	v_add_co_u32_e32 v6, vcc, s33, v6
	v_addc_co_u32_e32 v7, vcc, v9, v7, vcc
	global_load_dwordx2 v[14:15], v[6:7], off
	v_add_u32_e32 v6, v11, v2
	v_cmp_gt_u32_e32 vcc, s12, v6
	s_mov_b64 s[30:31], -1
	s_waitcnt vmcnt(0)
	v_fma_mix_f32 v1, v14, v14, v1 op_sel_hi:[1,1,0]
	v_fma_mix_f32 v1, v14, v14, v1 op_sel:[1,1,0] op_sel_hi:[1,1,0]
	v_fma_mix_f32 v1, v15, v15, v1 op_sel_hi:[1,1,0]
	v_fma_mix_f32 v1, v15, v15, v1 op_sel:[1,1,0] op_sel_hi:[1,1,0]
	s_and_saveexec_b64 s[28:29], vcc
	s_cbranch_execz .LBB52_3
; %bb.7:                                ;   in Loop: Header=BB52_5 Depth=1
	v_mov_b32_e32 v7, v3
	v_lshlrev_b64 v[6:7], 3, v[6:7]
	v_add_co_u32_e32 v6, vcc, s33, v6
	v_addc_co_u32_e32 v7, vcc, v9, v7, vcc
	global_load_dwordx2 v[6:7], v[6:7], off
	v_add_u32_e32 v2, v10, v2
	v_cmp_gt_u32_e32 vcc, s12, v2
	s_mov_b64 s[34:35], -1
	s_waitcnt vmcnt(0)
	v_fma_mix_f32 v1, v6, v6, v1 op_sel_hi:[1,1,0]
	v_fma_mix_f32 v1, v6, v6, v1 op_sel:[1,1,0] op_sel_hi:[1,1,0]
	v_fma_mix_f32 v1, v7, v7, v1 op_sel_hi:[1,1,0]
	v_fma_mix_f32 v1, v7, v7, v1 op_sel:[1,1,0] op_sel_hi:[1,1,0]
	s_and_saveexec_b64 s[30:31], vcc
	s_xor_b64 s[30:31], exec, s[30:31]
	s_cbranch_execz .LBB52_2
; %bb.8:                                ;   in Loop: Header=BB52_5 Depth=1
	v_lshlrev_b64 v[6:7], 3, v[2:3]
	v_add_co_u32_e32 v6, vcc, s33, v6
	v_addc_co_u32_e32 v7, vcc, v9, v7, vcc
	global_load_dwordx2 v[6:7], v[6:7], off
	v_add_u32_e32 v2, v12, v4
	v_cmp_le_u32_e32 vcc, s12, v2
	s_orn2_b64 s[34:35], vcc, exec
	s_waitcnt vmcnt(0)
	v_fma_mix_f32 v1, v6, v6, v1 op_sel_hi:[1,1,0]
	v_fma_mix_f32 v1, v6, v6, v1 op_sel:[1,1,0] op_sel_hi:[1,1,0]
	v_fma_mix_f32 v1, v7, v7, v1 op_sel_hi:[1,1,0]
	v_fma_mix_f32 v1, v7, v7, v1 op_sel:[1,1,0] op_sel_hi:[1,1,0]
	s_branch .LBB52_2
.LBB52_9:
	s_or_b64 exec, exec, s[22:23]
.LBB52_10:
	s_or_b64 exec, exec, s[18:19]
	v_mbcnt_lo_u32_b32 v2, -1, 0
	v_mbcnt_hi_u32_b32 v2, -1, v2
	v_and_b32_e32 v3, 63, v2
	v_cmp_ne_u32_e32 vcc, 63, v3
	s_load_dword s2, s[2:3], 0xc
	v_addc_co_u32_e32 v4, vcc, 0, v2, vcc
	v_lshlrev_b32_e32 v4, 2, v4
	ds_bpermute_b32 v4, v4, v1
	s_waitcnt lgkmcnt(0)
	s_and_b32 s45, s2, 0xffff
	v_and_b32_e32 v5, 0x3c0, v0
	v_sub_u32_e64 v5, s45, v5 clamp
	v_add_u32_e32 v6, 1, v2
	v_add_f32_e32 v4, v1, v4
	v_cmp_lt_u32_e32 vcc, v6, v5
	v_cndmask_b32_e32 v1, v1, v4, vcc
	v_cmp_gt_u32_e32 vcc, 62, v3
	v_cndmask_b32_e64 v4, 0, 1, vcc
	v_lshlrev_b32_e32 v4, 1, v4
	v_add_lshl_u32 v4, v4, v2, 2
	ds_bpermute_b32 v4, v4, v1
	v_add_u32_e32 v6, 2, v2
	v_cmp_lt_u32_e32 vcc, v6, v5
	v_add_u32_e32 v6, 4, v2
	s_waitcnt lgkmcnt(0)
	v_add_f32_e32 v4, v1, v4
	v_cndmask_b32_e32 v1, v1, v4, vcc
	v_cmp_gt_u32_e32 vcc, 60, v3
	v_cndmask_b32_e64 v4, 0, 1, vcc
	v_lshlrev_b32_e32 v4, 2, v4
	v_add_lshl_u32 v4, v4, v2, 2
	ds_bpermute_b32 v4, v4, v1
	v_cmp_lt_u32_e32 vcc, v6, v5
	v_add_u32_e32 v6, 8, v2
	s_waitcnt lgkmcnt(0)
	v_add_f32_e32 v4, v1, v4
	v_cndmask_b32_e32 v1, v1, v4, vcc
	v_cmp_gt_u32_e32 vcc, 56, v3
	v_cndmask_b32_e64 v4, 0, 1, vcc
	v_lshlrev_b32_e32 v4, 3, v4
	v_add_lshl_u32 v4, v4, v2, 2
	ds_bpermute_b32 v4, v4, v1
	;; [unrolled: 10-line block ×3, first 2 shown]
	v_cmp_lt_u32_e32 vcc, v6, v5
	s_waitcnt lgkmcnt(0)
	v_add_f32_e32 v4, v1, v4
	v_cndmask_b32_e32 v1, v1, v4, vcc
	v_cmp_gt_u32_e32 vcc, 32, v3
	v_cndmask_b32_e64 v3, 0, 1, vcc
	v_lshlrev_b32_e32 v3, 5, v3
	v_add_lshl_u32 v3, v3, v2, 2
	ds_bpermute_b32 v3, v3, v1
	v_add_u32_e32 v4, 32, v2
	v_cmp_lt_u32_e32 vcc, v4, v5
	s_waitcnt lgkmcnt(0)
	v_add_f32_e32 v3, v1, v3
	v_cndmask_b32_e32 v1, v1, v3, vcc
	v_cmp_eq_u32_e32 vcc, 0, v2
	s_and_saveexec_b64 s[2:3], vcc
	s_cbranch_execz .LBB52_12
; %bb.11:
	v_lshrrev_b32_e32 v3, 4, v0
	v_and_b32_e32 v3, 60, v3
	ds_write_b32 v3, v1 offset:4096
.LBB52_12:
	s_or_b64 exec, exec, s[2:3]
	v_cmp_gt_u32_e32 vcc, 16, v0
	s_waitcnt lgkmcnt(0)
	s_barrier
	s_and_saveexec_b64 s[18:19], vcc
	s_cbranch_execz .LBB52_14
; %bb.13:
	v_lshlrev_b32_e32 v1, 2, v2
	ds_read_b32 v1, v1 offset:4096
	v_and_b32_e32 v3, 15, v2
	v_cmp_ne_u32_e32 vcc, 15, v3
	v_addc_co_u32_e32 v4, vcc, 0, v2, vcc
	v_lshlrev_b32_e32 v4, 2, v4
	s_waitcnt lgkmcnt(0)
	ds_bpermute_b32 v4, v4, v1
	s_add_i32 s2, s45, 63
	s_lshr_b32 s7, s2, 6
	v_add_u32_e32 v5, 1, v3
	v_cmp_gt_u32_e64 s[2:3], 14, v3
	v_cmp_gt_u32_e32 vcc, s7, v5
	v_cndmask_b32_e64 v5, 0, 1, s[2:3]
	s_waitcnt lgkmcnt(0)
	v_add_f32_e32 v4, v1, v4
	v_lshlrev_b32_e32 v5, 1, v5
	v_cndmask_b32_e32 v4, v1, v4, vcc
	v_add_lshl_u32 v5, v5, v2, 2
	ds_bpermute_b32 v5, v5, v4
	v_add_u32_e32 v6, 2, v3
	v_cmp_gt_u32_e64 s[2:3], s7, v6
	v_add_u32_e32 v6, 4, v3
	s_waitcnt lgkmcnt(0)
	v_add_f32_e32 v5, v4, v5
	v_cndmask_b32_e64 v4, v4, v5, s[2:3]
	v_cmp_gt_u32_e64 s[2:3], 12, v3
	v_cndmask_b32_e64 v5, 0, 1, s[2:3]
	v_lshlrev_b32_e32 v5, 2, v5
	v_add_lshl_u32 v5, v5, v2, 2
	ds_bpermute_b32 v5, v5, v4
	v_cmp_gt_u32_e64 s[2:3], s7, v6
	s_waitcnt lgkmcnt(0)
	v_add_f32_e32 v5, v4, v5
	v_cndmask_b32_e64 v4, v4, v5, s[2:3]
	v_cmp_gt_u32_e64 s[2:3], 8, v3
	v_cndmask_b32_e64 v5, 0, 1, s[2:3]
	v_lshlrev_b32_e32 v5, 3, v5
	v_add_lshl_u32 v2, v5, v2, 2
	ds_bpermute_b32 v2, v2, v4
	v_add_u32_e32 v3, 8, v3
	v_cmp_gt_u32_e64 s[2:3], s7, v3
	s_waitcnt lgkmcnt(0)
	v_add_f32_e32 v2, v4, v2
	v_cndmask_b32_e64 v2, v4, v2, s[2:3]
	v_cndmask_b32_e32 v1, v1, v2, vcc
.LBB52_14:
	s_or_b64 exec, exec, s[18:19]
	v_cmp_eq_u32_e32 vcc, 0, v0
	s_and_saveexec_b64 s[2:3], vcc
	s_cbranch_execz .LBB52_16
; %bb.15:
	v_cvt_f32_i32_e32 v2, s17
	s_mov_b32 s7, 0x800000
	v_div_scale_f32 v3, s[18:19], v2, v2, v1
	v_rcp_f32_e32 v4, v3
	v_div_scale_f32 v5, vcc, v1, v2, v1
	v_fma_f32 v6, -v3, v4, 1.0
	v_fmac_f32_e32 v4, v6, v4
	v_mul_f32_e32 v6, v5, v4
	v_fma_f32 v7, -v3, v6, v5
	v_fmac_f32_e32 v6, v7, v4
	v_fma_f32 v3, -v3, v6, v5
	v_div_fmas_f32 v3, v3, v4, v6
	v_div_fixup_f32 v1, v3, v2, v1
	v_add_f32_e32 v1, s16, v1
	v_mul_f32_e32 v2, 0x4b800000, v1
	v_cmp_gt_f32_e32 vcc, s7, v1
	v_cndmask_b32_e32 v1, v1, v2, vcc
	v_rsq_f32_e32 v1, v1
	v_mul_f32_e32 v2, 0x45800000, v1
	v_cndmask_b32_e32 v1, v1, v2, vcc
	v_mov_b32_e32 v2, 0
	ds_write_b32 v2, v1 offset:4160
.LBB52_16:
	s_or_b64 exec, exec, s[2:3]
	s_ashr_i32 s21, s17, 31
	s_lshr_b32 s2, s21, 25
	s_add_i32 s2, s17, s2
	s_ashr_i32 s18, s2, 7
	s_abs_i32 s3, s18
	v_cvt_f32_u32_e32 v1, s3
	s_sub_i32 s7, 0, s3
	s_ashr_i32 s2, s2, 31
	v_mov_b32_e32 v5, 0
	v_rcp_iflag_f32_e32 v1, v1
	s_waitcnt lgkmcnt(0)
	s_barrier
	v_mul_f32_e32 v1, 0x4f7ffffe, v1
	v_cvt_u32_f32_e32 v1, v1
	ds_read_b32 v36, v5 offset:4160
	v_readfirstlane_b32 s13, v1
	s_mul_i32 s7, s7, s13
	s_mul_hi_u32 s7, s13, s7
	s_add_i32 s13, s13, s7
	s_mul_hi_u32 s7, s45, s13
	s_mul_i32 s13, s7, s3
	s_sub_i32 s13, s45, s13
	s_add_i32 s16, s7, 1
	s_sub_i32 s19, s13, s3
	s_cmp_ge_u32 s13, s3
	s_cselect_b32 s7, s16, s7
	s_cselect_b32 s13, s19, s13
	s_add_i32 s16, s7, 1
	s_cmp_ge_u32 s13, s3
	s_cselect_b32 s3, s16, s7
	s_xor_b32 s3, s3, s2
	s_sub_i32 s2, s3, s2
	s_abs_i32 s7, s2
	v_cvt_f32_u32_e32 v1, s7
	s_sub_i32 s13, 0, s7
	s_ashr_i32 s3, s2, 31
	v_rcp_iflag_f32_e32 v1, v1
	v_mul_f32_e32 v1, 0x4f7ffffe, v1
	v_cvt_u32_f32_e32 v1, v1
	v_mul_lo_u32 v2, s13, v1
	v_mul_hi_u32 v2, v1, v2
	v_add_u32_e32 v1, v1, v2
	v_mul_hi_u32 v1, v0, v1
	v_mul_lo_u32 v2, v1, s7
	v_sub_u32_e32 v2, v0, v2
	v_add_u32_e32 v3, 1, v1
	v_cmp_le_u32_e32 vcc, s7, v2
	v_cndmask_b32_e32 v1, v1, v3, vcc
	v_subrev_u32_e32 v3, s7, v2
	v_cndmask_b32_e32 v2, v2, v3, vcc
	v_add_u32_e32 v3, 1, v1
	v_cmp_le_u32_e32 vcc, s7, v2
	v_cndmask_b32_e32 v1, v1, v3, vcc
	v_xor_b32_e32 v1, s3, v1
	v_subrev_u32_e32 v2, s3, v1
	v_mul_lo_u32 v1, v2, s2
	v_ashrrev_i32_e32 v3, 31, v2
	v_sub_u32_e32 v4, v0, v1
	v_lshlrev_b64 v[8:9], 5, v[2:3]
	v_add_co_u32_e32 v6, vcc, v8, v4
	v_addc_co_u32_e32 v7, vcc, 0, v9, vcc
	v_add_co_u32_e32 v8, vcc, 32, v8
	v_addc_co_u32_e32 v9, vcc, 0, v9, vcc
	s_ashr_i32 s13, s12, 31
	v_mov_b32_e32 v1, s13
	v_cmp_gt_i64_e32 vcc, s[12:13], v[8:9]
	v_cndmask_b32_e32 v9, v1, v9, vcc
	v_mov_b32_e32 v1, s12
	v_cndmask_b32_e32 v8, v1, v8, vcc
	v_ashrrev_i32_e32 v11, 31, v8
	v_mov_b32_e32 v10, v8
	v_cmp_lt_i64_e32 vcc, v[6:7], v[10:11]
	s_and_saveexec_b64 s[22:23], vcc
	s_cbranch_execz .LBB52_26
; %bb.17:
	v_lshlrev_b64 v[12:13], 8, v[2:3]
	v_lshlrev_b64 v[14:15], 3, v[4:5]
	v_add_co_u32_e32 v12, vcc, v12, v14
	v_addc_co_u32_e32 v1, vcc, v13, v15, vcc
	s_lshl_b64 s[24:25], s[2:3], 5
	s_mul_hi_i32 s7, s2, 3
	s_mul_i32 s13, s2, 3
	s_lshl_b64 s[26:27], s[2:3], 1
	s_lshl_b64 s[30:31], s[2:3], 3
	s_mov_b64 s[28:29], 0
	v_mov_b32_e32 v5, 0
	v_mov_b32_e32 v13, s44
	;; [unrolled: 1-line block ×4, first 2 shown]
	v_pk_mov_b32 v[14:15], v[6:7], v[6:7] op_sel:[0,1]
                                        ; implicit-def: $sgpr34_sgpr35
	s_branch .LBB52_21
.LBB52_18:                              ;   in Loop: Header=BB52_21 Depth=1
	s_or_b64 exec, exec, s[40:41]
	s_orn2_b64 s[40:41], s[42:43], exec
.LBB52_19:                              ;   in Loop: Header=BB52_21 Depth=1
	s_or_b64 exec, exec, s[38:39]
	s_andn2_b64 s[34:35], s[34:35], exec
	s_and_b64 s[38:39], s[40:41], exec
	s_or_b64 s[34:35], s[34:35], s[38:39]
.LBB52_20:                              ;   in Loop: Header=BB52_21 Depth=1
	s_or_b64 exec, exec, s[36:37]
	s_and_b64 s[36:37], exec, s[34:35]
	s_or_b64 s[28:29], s[36:37], s[28:29]
	s_andn2_b64 exec, exec, s[28:29]
	s_cbranch_execz .LBB52_25
.LBB52_21:                              ; =>This Inner Loop Header: Depth=1
	v_add_co_u32_e32 v18, vcc, s33, v12
	v_addc_co_u32_e32 v19, vcc, v13, v1, vcc
	v_add_co_u32_e32 v20, vcc, s14, v12
	global_load_dwordx2 v[16:17], v[18:19], off
	v_addc_co_u32_e32 v21, vcc, v22, v1, vcc
	global_load_dwordx2 v[24:25], v[20:21], off
	s_or_b64 s[34:35], s[34:35], exec
	s_waitcnt vmcnt(1) lgkmcnt(0)
	v_fma_mixlo_f16 v26, v36, v16, 0 op_sel_hi:[0,1,0]
	v_fma_mixlo_f16 v16, v36, v16, 0 op_sel:[0,1,0] op_sel_hi:[0,1,0]
	v_fma_mixlo_f16 v27, v36, v17, 0 op_sel_hi:[0,1,0]
	v_fma_mixlo_f16 v17, v36, v17, 0 op_sel:[0,1,0] op_sel_hi:[0,1,0]
	s_waitcnt vmcnt(0)
	v_mul_f16_e32 v26, v24, v26
	v_mul_f16_sdwa v16, v24, v16 dst_sel:DWORD dst_unused:UNUSED_PAD src0_sel:WORD_1 src1_sel:DWORD
	v_mul_f16_e32 v24, v25, v27
	v_mul_f16_sdwa v17, v25, v17 dst_sel:DWORD dst_unused:UNUSED_PAD src0_sel:WORD_1 src1_sel:DWORD
	v_cvt_f32_f16_e64 v25, |v26|
	v_cvt_f32_f16_e64 v26, |v16|
	;; [unrolled: 1-line block ×4, first 2 shown]
	v_add_co_u32_e32 v16, vcc, s2, v14
	v_addc_co_u32_e32 v17, vcc, v15, v23, vcc
	v_max3_f32 v5, v5, v25, v26
	v_cmp_lt_i64_e32 vcc, v[16:17], v[10:11]
	v_max3_f32 v5, v5, v24, v27
	s_and_saveexec_b64 s[36:37], vcc
	s_cbranch_execz .LBB52_20
; %bb.22:                               ;   in Loop: Header=BB52_21 Depth=1
	v_mov_b32_e32 v26, s31
	v_add_co_u32_e32 v18, vcc, s30, v18
	v_addc_co_u32_e32 v19, vcc, v19, v26, vcc
	v_add_co_u32_e32 v20, vcc, s30, v20
	global_load_dwordx2 v[24:25], v[18:19], off
	v_addc_co_u32_e32 v21, vcc, v21, v26, vcc
	global_load_dwordx2 v[26:27], v[20:21], off
	v_mov_b32_e32 v28, s27
	s_mov_b64 s[40:41], -1
	s_waitcnt vmcnt(1)
	v_fma_mixlo_f16 v29, v36, v24, 0 op_sel_hi:[0,1,0]
	v_fma_mixlo_f16 v24, v36, v24, 0 op_sel:[0,1,0] op_sel_hi:[0,1,0]
	v_fma_mixlo_f16 v30, v36, v25, 0 op_sel_hi:[0,1,0]
	v_fma_mixlo_f16 v25, v36, v25, 0 op_sel:[0,1,0] op_sel_hi:[0,1,0]
	s_waitcnt vmcnt(0)
	v_mul_f16_e32 v29, v26, v29
	v_mul_f16_sdwa v24, v26, v24 dst_sel:DWORD dst_unused:UNUSED_PAD src0_sel:WORD_1 src1_sel:DWORD
	v_mul_f16_e32 v26, v27, v30
	v_mul_f16_sdwa v25, v27, v25 dst_sel:DWORD dst_unused:UNUSED_PAD src0_sel:WORD_1 src1_sel:DWORD
	v_cvt_f32_f16_e64 v27, |v29|
	v_cvt_f32_f16_e64 v29, |v24|
	;; [unrolled: 1-line block ×4, first 2 shown]
	v_add_co_u32_e32 v24, vcc, s26, v14
	v_addc_co_u32_e32 v25, vcc, v28, v15, vcc
	v_max3_f32 v5, v5, v27, v29
	v_cmp_lt_i64_e32 vcc, v[24:25], v[10:11]
	v_max3_f32 v5, v5, v26, v30
	s_and_saveexec_b64 s[38:39], vcc
	s_cbranch_execz .LBB52_19
; %bb.23:                               ;   in Loop: Header=BB52_21 Depth=1
	v_mov_b32_e32 v26, s31
	v_add_co_u32_e32 v18, vcc, s30, v18
	v_addc_co_u32_e32 v19, vcc, v19, v26, vcc
	v_add_co_u32_e32 v20, vcc, s30, v20
	global_load_dwordx2 v[24:25], v[18:19], off
	v_addc_co_u32_e32 v21, vcc, v21, v26, vcc
	global_load_dwordx2 v[26:27], v[20:21], off
	v_mov_b32_e32 v28, s7
	v_add_co_u32_e32 v14, vcc, s13, v14
	v_addc_co_u32_e32 v15, vcc, v28, v15, vcc
	v_cmp_lt_i64_e32 vcc, v[14:15], v[10:11]
	s_mov_b64 s[42:43], -1
                                        ; implicit-def: $vgpr14_vgpr15
	s_waitcnt vmcnt(1)
	v_fma_mixlo_f16 v29, v36, v24, 0 op_sel_hi:[0,1,0]
	v_fma_mixlo_f16 v24, v36, v24, 0 op_sel:[0,1,0] op_sel_hi:[0,1,0]
	v_fma_mixlo_f16 v30, v36, v25, 0 op_sel_hi:[0,1,0]
	v_fma_mixlo_f16 v25, v36, v25, 0 op_sel:[0,1,0] op_sel_hi:[0,1,0]
	s_waitcnt vmcnt(0)
	v_mul_f16_e32 v29, v26, v29
	v_mul_f16_sdwa v24, v26, v24 dst_sel:DWORD dst_unused:UNUSED_PAD src0_sel:WORD_1 src1_sel:DWORD
	v_mul_f16_e32 v26, v27, v30
	v_mul_f16_sdwa v25, v27, v25 dst_sel:DWORD dst_unused:UNUSED_PAD src0_sel:WORD_1 src1_sel:DWORD
	v_cvt_f32_f16_e64 v27, |v29|
	v_cvt_f32_f16_e64 v24, |v24|
	;; [unrolled: 1-line block ×4, first 2 shown]
	v_max3_f32 v5, v5, v27, v24
	v_max3_f32 v5, v5, v26, v25
	s_and_saveexec_b64 s[40:41], vcc
	s_xor_b64 s[40:41], exec, s[40:41]
	s_cbranch_execz .LBB52_18
; %bb.24:                               ;   in Loop: Header=BB52_21 Depth=1
	v_mov_b32_e32 v24, s31
	v_add_co_u32_e32 v14, vcc, s30, v18
	v_addc_co_u32_e32 v15, vcc, v19, v24, vcc
	v_add_co_u32_e32 v18, vcc, s30, v20
	global_load_dwordx2 v[14:15], v[14:15], off
	v_addc_co_u32_e32 v19, vcc, v21, v24, vcc
	global_load_dwordx2 v[18:19], v[18:19], off
	s_add_u32 s16, s2, s2
	s_addc_u32 s19, s3, s3
	v_mov_b32_e32 v20, s25
	v_add_co_u32_e32 v12, vcc, s24, v12
	s_add_u32 s16, s16, s2
	v_addc_co_u32_e32 v1, vcc, v1, v20, vcc
	s_addc_u32 s19, s19, s3
	v_mov_b32_e32 v20, s19
	s_waitcnt vmcnt(1)
	v_fma_mixlo_f16 v21, v36, v14, 0 op_sel_hi:[0,1,0]
	v_fma_mixlo_f16 v14, v36, v14, 0 op_sel:[0,1,0] op_sel_hi:[0,1,0]
	v_fma_mixlo_f16 v24, v36, v15, 0 op_sel_hi:[0,1,0]
	v_fma_mixlo_f16 v15, v36, v15, 0 op_sel:[0,1,0] op_sel_hi:[0,1,0]
	s_waitcnt vmcnt(0)
	v_mul_f16_e32 v21, v18, v21
	v_mul_f16_sdwa v14, v18, v14 dst_sel:DWORD dst_unused:UNUSED_PAD src0_sel:WORD_1 src1_sel:DWORD
	v_mul_f16_e32 v18, v19, v24
	v_mul_f16_sdwa v15, v19, v15 dst_sel:DWORD dst_unused:UNUSED_PAD src0_sel:WORD_1 src1_sel:DWORD
	v_cvt_f32_f16_e64 v19, |v21|
	v_cvt_f32_f16_e64 v21, |v14|
	;; [unrolled: 1-line block ×4, first 2 shown]
	v_add_co_u32_e32 v14, vcc, s16, v16
	v_addc_co_u32_e32 v15, vcc, v20, v17, vcc
	v_cmp_ge_i64_e32 vcc, v[14:15], v[10:11]
	v_max3_f32 v5, v5, v19, v21
	v_max3_f32 v5, v5, v18, v24
	s_orn2_b64 s[42:43], vcc, exec
	s_branch .LBB52_18
.LBB52_25:
	s_or_b64 exec, exec, s[28:29]
.LBB52_26:
	s_or_b64 exec, exec, s[22:23]
	s_lshr_b32 s7, s45, 6
	v_cvt_f32_u32_e32 v10, s7
	v_lshlrev_b32_e32 v1, 2, v0
	ds_write_b32 v1, v5
	s_sub_i32 s22, 0, s7
	v_rcp_iflag_f32_e32 v5, v10
	s_add_i32 s13, s18, s7
	s_add_i32 s13, s13, -1
	s_ashr_i32 s16, s13, 31
	v_mul_f32_e32 v5, 0x4f7ffffe, v5
	v_cvt_u32_f32_e32 v5, v5
	s_abs_i32 s13, s13
	s_ashr_i32 s19, s18, 31
	s_waitcnt lgkmcnt(0)
	v_readfirstlane_b32 s23, v5
	s_mul_i32 s22, s22, s23
	s_mul_hi_u32 s22, s23, s22
	s_add_i32 s23, s23, s22
	s_mul_hi_u32 s22, s13, s23
	s_mul_i32 s23, s22, s7
	s_sub_i32 s13, s13, s23
	s_add_i32 s23, s22, 1
	s_sub_i32 s24, s13, s7
	s_cmp_ge_u32 s13, s7
	s_cselect_b32 s22, s23, s22
	s_cselect_b32 s13, s24, s13
	s_add_i32 s23, s22, 1
	s_cmp_ge_u32 s13, s7
	s_cselect_b32 s13, s23, s22
	s_xor_b32 s13, s13, s16
	s_sub_i32 s22, s13, s16
	s_ashr_i32 s23, s22, 31
	v_cmp_lt_i64_e64 s[24:25], s[22:23], 1
	s_and_b64 vcc, exec, s[24:25]
	s_barrier
	s_cbranch_vccnz .LBB52_48
; %bb.27:
	v_and_b32_e32 v12, 63, v0
	v_add_co_u32_e32 v14, vcc, 32, v12
	v_addc_co_u32_e64 v15, s[24:25], 0, 0, vcc
	v_add_co_u32_e32 v16, vcc, 16, v12
	v_addc_co_u32_e64 v17, s[24:25], 0, 0, vcc
	v_add_co_u32_e32 v18, vcc, 8, v12
	v_lshrrev_b32_e32 v10, 6, v0
	v_addc_co_u32_e64 v19, s[24:25], 0, 0, vcc
	v_add_co_u32_e32 v20, vcc, 4, v12
	v_addc_co_u32_e64 v21, s[24:25], 0, 0, vcc
	v_add_co_u32_e32 v22, vcc, 2, v12
	v_mul_lo_u32 v5, s2, v10
	v_addc_co_u32_e64 v23, s[24:25], 0, 0, vcc
	v_add_co_u32_e32 v24, vcc, 1, v12
	v_lshlrev_b32_e32 v5, 2, v5
	v_lshlrev_b32_e32 v26, 2, v12
	s_movk_i32 s13, 0x100
	v_mov_b32_e32 v11, 0
	v_addc_co_u32_e64 v25, s[24:25], 0, 0, vcc
	v_add3_u32 v5, v5, v26, s13
	s_mul_i32 s13, s2, s7
	v_mov_b32_e32 v13, v11
	s_lshl_b32 s13, s13, 2
	s_mov_b64 s[24:25], 0
	v_mov_b32_e32 v37, s7
	s_mov_b64 s[26:27], src_shared_base
	s_branch .LBB52_30
.LBB52_28:                              ;   in Loop: Header=BB52_30 Depth=1
	s_or_b64 exec, exec, s[30:31]
	v_mov_b32_e32 v27, s27
	flat_load_dword v26, v[26:27] glc
	s_waitcnt vmcnt(0)
.LBB52_29:                              ;   in Loop: Header=BB52_30 Depth=1
	s_or_b64 exec, exec, s[28:29]
	s_add_u32 s24, s24, 1
	s_addc_u32 s25, s25, 0
	s_cmp_eq_u64 s[24:25], s[22:23]
	v_add_u32_e32 v5, s13, v5
	s_cbranch_scc1 .LBB52_48
.LBB52_30:                              ; =>This Loop Header: Depth=1
                                        ;     Child Loop BB52_33 Depth 2
	v_mad_u64_u32 v[30:31], s[28:29], s24, v37, v[10:11]
	s_mul_i32 s16, s25, s7
	v_add_u32_e32 v31, s16, v31
	v_cmp_gt_i64_e32 vcc, s[18:19], v[30:31]
	s_and_saveexec_b64 s[28:29], vcc
	s_cbranch_execz .LBB52_29
; %bb.31:                               ;   in Loop: Header=BB52_30 Depth=1
	v_pk_mov_b32 v[32:33], s[2:3], s[2:3] op_sel:[0,1]
	v_mul_lo_u32 v29, v31, s2
	v_mul_lo_u32 v38, v30, s3
	v_mad_u64_u32 v[32:33], s[30:31], v30, s2, v[32:33]
	v_add3_u32 v33, v29, v33, v38
	v_mov_b32_e32 v28, s21
	v_cmp_gt_i64_e32 vcc, s[20:21], v[32:33]
	s_waitcnt lgkmcnt(0)
	v_mad_u64_u32 v[26:27], s[30:31], v30, s2, v[12:13]
	v_cndmask_b32_e32 v33, v28, v33, vcc
	v_mov_b32_e32 v28, s17
	v_add3_u32 v27, v29, v27, v38
	v_cndmask_b32_e32 v32, v28, v32, vcc
	v_add_co_u32_e32 v34, vcc, 64, v26
	v_addc_co_u32_e32 v35, vcc, 0, v27, vcc
	v_cmp_lt_i64_e32 vcc, v[34:35], v[32:33]
	v_lshlrev_b32_e32 v28, 2, v26
	s_and_saveexec_b64 s[30:31], vcc
	s_cbranch_execz .LBB52_34
; %bb.32:                               ;   in Loop: Header=BB52_30 Depth=1
	ds_read_b32 v31, v28
	s_mov_b64 s[34:35], 0
	v_mov_b32_e32 v27, v5
.LBB52_33:                              ;   Parent Loop BB52_30 Depth=1
                                        ; =>  This Inner Loop Header: Depth=2
	ds_read_b32 v39, v27
	v_add_co_u32_e32 v34, vcc, 64, v34
	v_addc_co_u32_e32 v35, vcc, 0, v35, vcc
	s_waitcnt lgkmcnt(1)
	v_max_f32_e32 v31, v31, v31
	v_cmp_ge_i64_e32 vcc, v[34:35], v[32:33]
	s_waitcnt lgkmcnt(0)
	v_max_f32_e32 v39, v39, v39
	v_add_u32_e32 v27, 0x100, v27
	s_or_b64 s[34:35], vcc, s[34:35]
	v_max_f32_e32 v31, v31, v39
	ds_write_b32 v28, v31
	s_andn2_b64 exec, exec, s[34:35]
	s_cbranch_execnz .LBB52_33
.LBB52_34:                              ;   in Loop: Header=BB52_30 Depth=1
	s_or_b64 exec, exec, s[30:31]
	v_mad_u64_u32 v[30:31], s[30:31], v30, s2, 0
	v_add3_u32 v27, v31, v38, v29
	v_sub_co_u32_e32 v30, vcc, v32, v30
	v_subb_co_u32_e32 v31, vcc, v33, v27, vcc
	v_cmp_gt_i64_e32 vcc, 64, v[30:31]
	v_cndmask_b32_e32 v31, 0, v31, vcc
	v_cndmask_b32_e32 v30, 64, v30, vcc
	v_cmp_lt_i64_e32 vcc, v[14:15], v[30:31]
	s_and_saveexec_b64 s[30:31], vcc
	s_cbranch_execnz .LBB52_46
; %bb.35:                               ;   in Loop: Header=BB52_30 Depth=1
	s_or_b64 exec, exec, s[30:31]
	v_cmp_lt_i64_e32 vcc, v[16:17], v[30:31]
	s_and_saveexec_b64 s[30:31], vcc
	s_cbranch_execnz .LBB52_47
.LBB52_36:                              ;   in Loop: Header=BB52_30 Depth=1
	s_or_b64 exec, exec, s[30:31]
	v_cmp_lt_i64_e32 vcc, v[18:19], v[30:31]
	s_and_saveexec_b64 s[30:31], vcc
	s_cbranch_execz .LBB52_38
.LBB52_37:                              ;   in Loop: Header=BB52_30 Depth=1
	v_mov_b32_e32 v29, s27
	v_add_u32_e32 v32, 32, v28
	v_mov_b32_e32 v33, s27
	flat_load_dword v27, v[28:29] glc
	s_waitcnt vmcnt(0)
	flat_load_dword v34, v[32:33] glc
	s_waitcnt vmcnt(0) lgkmcnt(0)
	v_max_f32_e32 v27, v27, v27
	v_max_f32_e32 v32, v34, v34
	v_max_f32_e32 v27, v27, v32
	flat_store_dword v[28:29], v27
	s_waitcnt vmcnt(0)
.LBB52_38:                              ;   in Loop: Header=BB52_30 Depth=1
	s_or_b64 exec, exec, s[30:31]
	v_cmp_ge_i64_e32 vcc, v[20:21], v[30:31]
	s_and_saveexec_b64 s[30:31], vcc
	s_xor_b64 s[30:31], exec, s[30:31]
; %bb.39:                               ;   in Loop: Header=BB52_30 Depth=1
                                        ; implicit-def: $vgpr28
; %bb.40:                               ;   in Loop: Header=BB52_30 Depth=1
	s_andn2_saveexec_b64 s[30:31], s[30:31]
	s_cbranch_execz .LBB52_42
; %bb.41:                               ;   in Loop: Header=BB52_30 Depth=1
	v_mov_b32_e32 v29, s27
	v_add_u32_e32 v32, 16, v28
	v_mov_b32_e32 v33, s27
	flat_load_dword v27, v[28:29] glc
	s_waitcnt vmcnt(0)
	flat_load_dword v34, v[32:33] glc
	s_waitcnt vmcnt(0) lgkmcnt(0)
	v_max_f32_e32 v27, v27, v27
	v_max_f32_e32 v32, v34, v34
	;; [unrolled: 1-line block ×3, first 2 shown]
	flat_store_dword v[28:29], v27
	s_waitcnt vmcnt(0)
.LBB52_42:                              ;   in Loop: Header=BB52_30 Depth=1
	s_or_b64 exec, exec, s[30:31]
	v_cmp_lt_i64_e32 vcc, v[22:23], v[30:31]
	v_lshlrev_b32_e32 v26, 2, v26
	s_and_saveexec_b64 s[30:31], vcc
	s_cbranch_execz .LBB52_44
; %bb.43:                               ;   in Loop: Header=BB52_30 Depth=1
	v_mov_b32_e32 v27, s27
	v_add_u32_e32 v28, 8, v26
	v_mov_b32_e32 v29, s27
	flat_load_dword v32, v[26:27] glc
	s_waitcnt vmcnt(0)
	flat_load_dword v33, v[28:29] glc
	s_waitcnt vmcnt(0) lgkmcnt(0)
	v_max_f32_e32 v28, v32, v32
	v_max_f32_e32 v29, v33, v33
	;; [unrolled: 1-line block ×3, first 2 shown]
	flat_store_dword v[26:27], v28
	s_waitcnt vmcnt(0)
.LBB52_44:                              ;   in Loop: Header=BB52_30 Depth=1
	s_or_b64 exec, exec, s[30:31]
	v_cmp_lt_i64_e32 vcc, v[24:25], v[30:31]
	s_and_saveexec_b64 s[30:31], vcc
	s_cbranch_execz .LBB52_28
; %bb.45:                               ;   in Loop: Header=BB52_30 Depth=1
	v_mov_b32_e32 v27, s27
	v_add_u32_e32 v28, 4, v26
	v_mov_b32_e32 v29, s27
	flat_load_dword v30, v[26:27] glc
	s_waitcnt vmcnt(0)
	flat_load_dword v31, v[28:29] glc
	s_waitcnt vmcnt(0) lgkmcnt(0)
	v_max_f32_e32 v28, v30, v30
	v_max_f32_e32 v29, v31, v31
	;; [unrolled: 1-line block ×3, first 2 shown]
	flat_store_dword v[26:27], v28
	s_waitcnt vmcnt(0)
	s_branch .LBB52_28
.LBB52_46:                              ;   in Loop: Header=BB52_30 Depth=1
	v_mov_b32_e32 v29, s27
	v_add_u32_e32 v32, 0x80, v28
	v_mov_b32_e32 v33, s27
	flat_load_dword v27, v[28:29] glc
	s_waitcnt vmcnt(0)
	flat_load_dword v34, v[32:33] glc
	s_waitcnt vmcnt(0) lgkmcnt(0)
	v_max_f32_e32 v27, v27, v27
	v_max_f32_e32 v32, v34, v34
	;; [unrolled: 1-line block ×3, first 2 shown]
	flat_store_dword v[28:29], v27
	s_waitcnt vmcnt(0)
	s_or_b64 exec, exec, s[30:31]
	v_cmp_lt_i64_e32 vcc, v[16:17], v[30:31]
	s_and_saveexec_b64 s[30:31], vcc
	s_cbranch_execz .LBB52_36
.LBB52_47:                              ;   in Loop: Header=BB52_30 Depth=1
	v_mov_b32_e32 v29, s27
	v_add_u32_e32 v32, 64, v28
	v_mov_b32_e32 v33, s27
	flat_load_dword v27, v[28:29] glc
	s_waitcnt vmcnt(0)
	flat_load_dword v34, v[32:33] glc
	s_waitcnt vmcnt(0) lgkmcnt(0)
	v_max_f32_e32 v27, v27, v27
	v_max_f32_e32 v32, v34, v34
	;; [unrolled: 1-line block ×3, first 2 shown]
	flat_store_dword v[28:29], v27
	s_waitcnt vmcnt(0)
	s_or_b64 exec, exec, s[30:31]
	v_cmp_lt_i64_e32 vcc, v[18:19], v[30:31]
	s_and_saveexec_b64 s[30:31], vcc
	s_cbranch_execnz .LBB52_37
	s_branch .LBB52_38
.LBB52_48:
	v_cmp_eq_u32_e32 vcc, 0, v4
	v_cmp_lt_i64_e64 s[2:3], v[6:7], v[8:9]
	s_and_b64 s[22:23], vcc, s[2:3]
	s_mul_i32 s7, s19, s6
	s_mul_hi_u32 s16, s18, s6
	s_mul_i32 s2, s18, s6
	s_waitcnt lgkmcnt(0)
	s_barrier
	s_and_saveexec_b64 s[18:19], s[22:23]
	s_cbranch_execz .LBB52_52
; %bb.49:
	s_load_dwordx2 s[4:5], s[4:5], 0x20
	ds_read_b32 v1, v1
	s_waitcnt lgkmcnt(0)
	s_cmp_eq_u64 s[4:5], 0
	s_cbranch_scc1 .LBB52_51
; %bb.50:
	s_load_dword s3, s[4:5], 0x0
	v_max_f32_e32 v1, v1, v1
	s_waitcnt lgkmcnt(0)
	v_max_f32_e64 v4, s3, s3
	v_min_f32_e32 v1, v1, v4
.LBB52_51:
	s_mov_b32 s3, 0x43600000
	v_div_scale_f32 v4, s[4:5], s3, s3, v1
	v_rcp_f32_e32 v5, v4
	v_div_scale_f32 v6, vcc, v1, s3, v1
	v_lshlrev_b64 v[2:3], 2, v[2:3]
	v_fma_f32 v7, -v4, v5, 1.0
	v_fmac_f32_e32 v5, v7, v5
	v_mul_f32_e32 v7, v6, v5
	v_fma_f32 v8, -v4, v7, v6
	v_fmac_f32_e32 v7, v8, v5
	v_fma_f32 v4, -v4, v7, v6
	v_div_fmas_f32 v4, v4, v5, v7
	v_div_fixup_f32 v1, v4, s3, v1
	s_add_i32 s3, s16, s7
	s_lshl_b64 s[4:5], s[2:3], 2
	s_add_u32 s3, s10, s4
	s_addc_u32 s4, s11, s5
	v_mov_b32_e32 v4, s4
	v_add_co_u32_e32 v2, vcc, s3, v2
	v_max_f32_e32 v1, 0x37124925, v1
	v_addc_co_u32_e32 v3, vcc, v4, v3, vcc
	global_store_dword v[2:3], v1, off
.LBB52_52:
	s_or_b64 exec, exec, s[18:19]
	s_barrier
	s_and_saveexec_b64 s[4:5], s[0:1]
	s_cbranch_execz .LBB52_189
; %bb.53:
	s_mul_i32 s0, s21, s6
	s_mul_hi_u32 s1, s17, s6
	s_add_i32 s1, s1, s0
	s_mul_i32 s0, s17, s6
	s_add_u32 s13, s8, s0
	s_addc_u32 s20, s9, s1
	s_add_i32 s3, s16, s7
	s_lshl_b64 s[0:1], s[2:3], 2
	s_add_u32 s0, s10, s0
	s_addc_u32 s1, s11, s1
	s_mul_i32 s21, s45, 3
	s_lshl_b32 s22, s45, 1
	s_mov_b64 s[2:3], 0
	v_mov_b32_e32 v1, 0
	v_mov_b32_e32 v10, s44
	;; [unrolled: 1-line block ×3, first 2 shown]
	s_mov_b32 s23, 0x43800000
	s_mov_b32 s24, 0x3bffffff
	;; [unrolled: 1-line block ×4, first 2 shown]
	s_movk_i32 s27, 0x80
	s_mov_b32 s28, 0x4020c0c
	s_branch .LBB52_59
.LBB52_54:                              ;   in Loop: Header=BB52_59 Depth=1
	s_or_b64 exec, exec, s[18:19]
.LBB52_55:                              ;   in Loop: Header=BB52_59 Depth=1
	s_or_b64 exec, exec, s[10:11]
	v_lshlrev_b64 v[12:13], 2, v[0:1]
	v_mov_b32_e32 v0, s20
	v_add_co_u32_e32 v12, vcc, s13, v12
	v_addc_co_u32_e32 v13, vcc, v0, v13, vcc
	v_lshlrev_b32_e32 v0, 16, v6
	v_lshlrev_b32_e32 v3, 8, v3
	v_perm_b32 v0, v4, v0, s28
	v_and_b32_e32 v3, 0xff00, v3
	v_and_b32_e32 v4, 0xff, v8
	s_add_i32 s10, s45, s45
	v_or3_b32 v0, v0, v3, v4
	s_add_i32 s10, s10, s45
	global_store_dword v[12:13], v0, off
	v_add_u32_e32 v0, s10, v2
	v_cmp_le_u32_e32 vcc, s12, v0
	s_orn2_b64 s[10:11], vcc, exec
.LBB52_56:                              ;   in Loop: Header=BB52_59 Depth=1
	s_or_b64 exec, exec, s[8:9]
	s_orn2_b64 s[8:9], s[10:11], exec
.LBB52_57:                              ;   in Loop: Header=BB52_59 Depth=1
	s_or_b64 exec, exec, s[6:7]
	s_orn2_b64 s[6:7], s[8:9], exec
.LBB52_58:                              ;   in Loop: Header=BB52_59 Depth=1
	s_or_b64 exec, exec, s[4:5]
	s_and_b64 s[4:5], exec, s[6:7]
	s_or_b64 s[2:3], s[4:5], s[2:3]
	s_andn2_b64 exec, exec, s[2:3]
	s_cbranch_execz .LBB52_189
.LBB52_59:                              ; =>This Inner Loop Header: Depth=1
	v_lshlrev_b64 v[4:5], 3, v[0:1]
	v_add_co_u32_e32 v2, vcc, s33, v4
	v_addc_co_u32_e32 v3, vcc, v10, v5, vcc
	v_add_co_u32_e32 v4, vcc, s14, v4
	global_load_dwordx2 v[2:3], v[2:3], off
	v_addc_co_u32_e32 v5, vcc, v11, v5, vcc
	global_load_dwordx2 v[4:5], v[4:5], off
	v_lshrrev_b32_e32 v6, 3, v0
	v_and_b32_e32 v6, 0x7fffffc, v6
	global_load_dword v7, v6, s[0:1]
	s_waitcnt vmcnt(2)
	v_fma_mixlo_f16 v6, v36, v2, 0 op_sel_hi:[0,1,0]
	s_waitcnt vmcnt(1)
	v_mul_f16_e32 v6, v4, v6
	v_cvt_f32_f16_e32 v8, v6
	v_mov_b32_e32 v6, 0x80
	s_waitcnt vmcnt(0)
	v_div_scale_f32 v9, s[4:5], v7, v7, v8
	v_rcp_f32_e32 v12, v9
	v_div_scale_f32 v13, vcc, v8, v7, v8
	v_fma_f32 v14, -v9, v12, 1.0
	v_fmac_f32_e32 v12, v14, v12
	v_mul_f32_e32 v14, v13, v12
	v_fma_f32 v15, -v9, v14, v13
	v_fmac_f32_e32 v14, v15, v12
	v_fma_f32 v9, -v9, v14, v13
	v_div_fmas_f32 v9, v9, v12, v14
	v_div_fixup_f32 v8, v9, v7, v8
	v_min_f32_e32 v8, 0x43600000, v8
	v_max_f32_e32 v9, 0xc3600000, v8
	v_and_b32_e32 v12, 0x7fffffff, v9
	v_cmp_gt_u32_e32 vcc, s23, v12
	v_mov_b32_e32 v8, 0x80
	s_and_saveexec_b64 s[4:5], vcc
	s_cbranch_execz .LBB52_65
; %bb.60:                               ;   in Loop: Header=BB52_59 Depth=1
	v_cmp_lt_u32_e32 vcc, s24, v12
	s_mov_b64 s[6:7], 0
                                        ; implicit-def: $vgpr12
	s_and_saveexec_b64 s[8:9], vcc
	s_xor_b64 s[8:9], exec, s[8:9]
	s_cbranch_execnz .LBB52_156
; %bb.61:                               ;   in Loop: Header=BB52_59 Depth=1
	s_or_saveexec_b64 s[8:9], s[8:9]
                                        ; implicit-def: $sgpr10
	s_xor_b64 exec, exec, s[8:9]
	s_cbranch_execnz .LBB52_157
.LBB52_62:                              ;   in Loop: Header=BB52_59 Depth=1
	s_or_b64 exec, exec, s[8:9]
	v_mov_b32_e32 v8, s10
	s_and_saveexec_b64 s[8:9], s[6:7]
.LBB52_63:                              ;   in Loop: Header=BB52_59 Depth=1
	v_lshrrev_b32_e32 v8, 24, v9
	v_and_or_b32 v8, v8, s27, v12
.LBB52_64:                              ;   in Loop: Header=BB52_59 Depth=1
	s_or_b64 exec, exec, s[8:9]
.LBB52_65:                              ;   in Loop: Header=BB52_59 Depth=1
	s_or_b64 exec, exec, s[4:5]
	v_fma_mixlo_f16 v2, v36, v2, 0 op_sel:[0,1,0] op_sel_hi:[0,1,0]
	v_mul_f16_sdwa v2, v4, v2 dst_sel:DWORD dst_unused:UNUSED_PAD src0_sel:WORD_1 src1_sel:DWORD
	v_cvt_f32_f16_e32 v2, v2
	v_div_scale_f32 v4, s[4:5], v7, v7, v2
	v_rcp_f32_e32 v9, v4
	v_div_scale_f32 v12, vcc, v2, v7, v2
	v_fma_f32 v13, -v4, v9, 1.0
	v_fmac_f32_e32 v9, v13, v9
	v_mul_f32_e32 v13, v12, v9
	v_fma_f32 v14, -v4, v13, v12
	v_fmac_f32_e32 v13, v14, v9
	v_fma_f32 v4, -v4, v13, v12
	v_div_fmas_f32 v4, v4, v9, v13
	v_div_fixup_f32 v2, v4, v7, v2
	v_min_f32_e32 v2, 0x43600000, v2
	v_max_f32_e32 v2, 0xc3600000, v2
	v_and_b32_e32 v4, 0x7fffffff, v2
	v_cmp_gt_u32_e32 vcc, s23, v4
	s_and_saveexec_b64 s[4:5], vcc
	s_cbranch_execz .LBB52_71
; %bb.66:                               ;   in Loop: Header=BB52_59 Depth=1
	v_cmp_lt_u32_e32 vcc, s24, v4
	s_mov_b64 s[6:7], 0
                                        ; implicit-def: $vgpr4
	s_and_saveexec_b64 s[8:9], vcc
	s_xor_b64 s[8:9], exec, s[8:9]
	s_cbranch_execnz .LBB52_158
; %bb.67:                               ;   in Loop: Header=BB52_59 Depth=1
	s_or_saveexec_b64 s[8:9], s[8:9]
                                        ; implicit-def: $sgpr10
	s_xor_b64 exec, exec, s[8:9]
	s_cbranch_execnz .LBB52_159
.LBB52_68:                              ;   in Loop: Header=BB52_59 Depth=1
	s_or_b64 exec, exec, s[8:9]
	v_mov_b32_e32 v6, s10
	s_and_saveexec_b64 s[8:9], s[6:7]
.LBB52_69:                              ;   in Loop: Header=BB52_59 Depth=1
	v_lshrrev_b32_e32 v2, 24, v2
	v_and_or_b32 v6, v2, s27, v4
.LBB52_70:                              ;   in Loop: Header=BB52_59 Depth=1
	s_or_b64 exec, exec, s[8:9]
.LBB52_71:                              ;   in Loop: Header=BB52_59 Depth=1
	s_or_b64 exec, exec, s[4:5]
	v_fma_mixlo_f16 v2, v36, v3, 0 op_sel_hi:[0,1,0]
	v_mul_f16_e32 v2, v5, v2
	v_cvt_f32_f16_e32 v4, v2
	v_mov_b32_e32 v2, 0x80
	v_div_scale_f32 v9, s[4:5], v7, v7, v4
	v_rcp_f32_e32 v12, v9
	v_div_scale_f32 v13, vcc, v4, v7, v4
	v_fma_f32 v14, -v9, v12, 1.0
	v_fmac_f32_e32 v12, v14, v12
	v_mul_f32_e32 v14, v13, v12
	v_fma_f32 v15, -v9, v14, v13
	v_fmac_f32_e32 v14, v15, v12
	v_fma_f32 v9, -v9, v14, v13
	v_div_fmas_f32 v9, v9, v12, v14
	v_div_fixup_f32 v4, v9, v7, v4
	v_min_f32_e32 v4, 0x43600000, v4
	v_max_f32_e32 v9, 0xc3600000, v4
	v_and_b32_e32 v12, 0x7fffffff, v9
	v_cmp_gt_u32_e32 vcc, s23, v12
	v_mov_b32_e32 v4, 0x80
	s_and_saveexec_b64 s[4:5], vcc
	s_cbranch_execz .LBB52_77
; %bb.72:                               ;   in Loop: Header=BB52_59 Depth=1
	v_cmp_lt_u32_e32 vcc, s24, v12
	s_mov_b64 s[6:7], 0
                                        ; implicit-def: $vgpr12
	s_and_saveexec_b64 s[8:9], vcc
	s_xor_b64 s[8:9], exec, s[8:9]
	s_cbranch_execnz .LBB52_160
; %bb.73:                               ;   in Loop: Header=BB52_59 Depth=1
	s_or_saveexec_b64 s[8:9], s[8:9]
                                        ; implicit-def: $sgpr10
	s_xor_b64 exec, exec, s[8:9]
	s_cbranch_execnz .LBB52_161
.LBB52_74:                              ;   in Loop: Header=BB52_59 Depth=1
	s_or_b64 exec, exec, s[8:9]
	v_mov_b32_e32 v4, s10
	s_and_saveexec_b64 s[8:9], s[6:7]
.LBB52_75:                              ;   in Loop: Header=BB52_59 Depth=1
	v_lshrrev_b32_e32 v4, 24, v9
	v_and_or_b32 v4, v4, s27, v12
.LBB52_76:                              ;   in Loop: Header=BB52_59 Depth=1
	s_or_b64 exec, exec, s[8:9]
.LBB52_77:                              ;   in Loop: Header=BB52_59 Depth=1
	s_or_b64 exec, exec, s[4:5]
	v_fma_mixlo_f16 v3, v36, v3, 0 op_sel:[0,1,0] op_sel_hi:[0,1,0]
	v_mul_f16_sdwa v3, v5, v3 dst_sel:DWORD dst_unused:UNUSED_PAD src0_sel:WORD_1 src1_sel:DWORD
	v_cvt_f32_f16_e32 v3, v3
	v_div_scale_f32 v5, s[4:5], v7, v7, v3
	v_rcp_f32_e32 v9, v5
	v_div_scale_f32 v12, vcc, v3, v7, v3
	v_fma_f32 v13, -v5, v9, 1.0
	v_fmac_f32_e32 v9, v13, v9
	v_mul_f32_e32 v13, v12, v9
	v_fma_f32 v14, -v5, v13, v12
	v_fmac_f32_e32 v13, v14, v9
	v_fma_f32 v5, -v5, v13, v12
	v_div_fmas_f32 v5, v5, v9, v13
	v_div_fixup_f32 v3, v5, v7, v3
	v_min_f32_e32 v3, 0x43600000, v3
	v_max_f32_e32 v3, 0xc3600000, v3
	v_and_b32_e32 v5, 0x7fffffff, v3
	v_cmp_gt_u32_e32 vcc, s23, v5
	s_and_saveexec_b64 s[4:5], vcc
	s_cbranch_execz .LBB52_83
; %bb.78:                               ;   in Loop: Header=BB52_59 Depth=1
	v_cmp_lt_u32_e32 vcc, s24, v5
	s_mov_b64 s[6:7], 0
                                        ; implicit-def: $vgpr5
	s_and_saveexec_b64 s[8:9], vcc
	s_xor_b64 s[8:9], exec, s[8:9]
	s_cbranch_execnz .LBB52_162
; %bb.79:                               ;   in Loop: Header=BB52_59 Depth=1
	s_or_saveexec_b64 s[8:9], s[8:9]
                                        ; implicit-def: $sgpr10
	s_xor_b64 exec, exec, s[8:9]
	s_cbranch_execnz .LBB52_163
.LBB52_80:                              ;   in Loop: Header=BB52_59 Depth=1
	s_or_b64 exec, exec, s[8:9]
	v_mov_b32_e32 v2, s10
	s_and_saveexec_b64 s[8:9], s[6:7]
.LBB52_81:                              ;   in Loop: Header=BB52_59 Depth=1
	v_lshrrev_b32_e32 v2, 24, v3
	v_and_or_b32 v2, v2, s27, v5
.LBB52_82:                              ;   in Loop: Header=BB52_59 Depth=1
	s_or_b64 exec, exec, s[8:9]
.LBB52_83:                              ;   in Loop: Header=BB52_59 Depth=1
	s_or_b64 exec, exec, s[4:5]
	v_lshlrev_b64 v[12:13], 2, v[0:1]
	v_mov_b32_e32 v3, s20
	v_add_co_u32_e32 v12, vcc, s13, v12
	v_addc_co_u32_e32 v13, vcc, v3, v13, vcc
	v_lshlrev_b32_e32 v3, 16, v4
	v_perm_b32 v2, v2, v3, s28
	v_lshlrev_b32_e32 v3, 8, v6
	v_and_b32_e32 v3, 0xff00, v3
	v_and_b32_e32 v4, 0xff, v8
	v_or3_b32 v2, v2, v3, v4
	global_store_dword v[12:13], v2, off
	v_add_u32_e32 v2, s45, v0
	v_cmp_gt_u32_e32 vcc, s12, v2
	s_mov_b64 s[6:7], -1
	s_and_saveexec_b64 s[4:5], vcc
	s_cbranch_execz .LBB52_58
; %bb.84:                               ;   in Loop: Header=BB52_59 Depth=1
	v_mov_b32_e32 v3, v1
	v_lshlrev_b64 v[6:7], 3, v[2:3]
	v_mov_b32_e32 v5, s44
	v_add_co_u32_e32 v4, vcc, s33, v6
	v_addc_co_u32_e32 v5, vcc, v5, v7, vcc
	v_mov_b32_e32 v8, s15
	v_add_co_u32_e32 v6, vcc, s14, v6
	global_load_dwordx2 v[4:5], v[4:5], off
	v_addc_co_u32_e32 v7, vcc, v8, v7, vcc
	global_load_dwordx2 v[6:7], v[6:7], off
	v_lshrrev_b32_e32 v8, 3, v2
	v_and_b32_e32 v8, 0x7fffffc, v8
	global_load_dword v12, v8, s[0:1]
	s_waitcnt vmcnt(2)
	v_fma_mixlo_f16 v8, v36, v4, 0 op_sel_hi:[0,1,0]
	s_waitcnt vmcnt(1)
	v_mul_f16_e32 v8, v6, v8
	v_cvt_f32_f16_e32 v9, v8
	v_mov_b32_e32 v8, 0x80
	s_waitcnt vmcnt(0)
	v_div_scale_f32 v13, s[6:7], v12, v12, v9
	v_rcp_f32_e32 v14, v13
	v_div_scale_f32 v15, vcc, v9, v12, v9
	v_fma_f32 v16, -v13, v14, 1.0
	v_fmac_f32_e32 v14, v16, v14
	v_mul_f32_e32 v16, v15, v14
	v_fma_f32 v17, -v13, v16, v15
	v_fmac_f32_e32 v16, v17, v14
	v_fma_f32 v13, -v13, v16, v15
	v_div_fmas_f32 v13, v13, v14, v16
	v_div_fixup_f32 v9, v13, v12, v9
	v_min_f32_e32 v9, 0x43600000, v9
	v_max_f32_e32 v13, 0xc3600000, v9
	v_and_b32_e32 v14, 0x7fffffff, v13
	v_cmp_gt_u32_e32 vcc, s23, v14
	v_mov_b32_e32 v9, 0x80
	s_and_saveexec_b64 s[6:7], vcc
	s_cbranch_execz .LBB52_90
; %bb.85:                               ;   in Loop: Header=BB52_59 Depth=1
	v_cmp_lt_u32_e32 vcc, s24, v14
	s_mov_b64 s[8:9], 0
                                        ; implicit-def: $vgpr14
	s_and_saveexec_b64 s[10:11], vcc
	s_xor_b64 s[10:11], exec, s[10:11]
	s_cbranch_execnz .LBB52_164
; %bb.86:                               ;   in Loop: Header=BB52_59 Depth=1
	s_or_saveexec_b64 s[10:11], s[10:11]
                                        ; implicit-def: $sgpr16
	s_xor_b64 exec, exec, s[10:11]
	s_cbranch_execnz .LBB52_165
.LBB52_87:                              ;   in Loop: Header=BB52_59 Depth=1
	s_or_b64 exec, exec, s[10:11]
	v_mov_b32_e32 v9, s16
	s_and_saveexec_b64 s[10:11], s[8:9]
.LBB52_88:                              ;   in Loop: Header=BB52_59 Depth=1
	v_lshrrev_b32_e32 v9, 24, v13
	v_and_or_b32 v9, v9, s27, v14
.LBB52_89:                              ;   in Loop: Header=BB52_59 Depth=1
	s_or_b64 exec, exec, s[10:11]
.LBB52_90:                              ;   in Loop: Header=BB52_59 Depth=1
	s_or_b64 exec, exec, s[6:7]
	v_fma_mixlo_f16 v4, v36, v4, 0 op_sel:[0,1,0] op_sel_hi:[0,1,0]
	v_mul_f16_sdwa v4, v6, v4 dst_sel:DWORD dst_unused:UNUSED_PAD src0_sel:WORD_1 src1_sel:DWORD
	v_cvt_f32_f16_e32 v4, v4
	v_div_scale_f32 v6, s[6:7], v12, v12, v4
	v_rcp_f32_e32 v13, v6
	v_div_scale_f32 v14, vcc, v4, v12, v4
	v_fma_f32 v15, -v6, v13, 1.0
	v_fmac_f32_e32 v13, v15, v13
	v_mul_f32_e32 v15, v14, v13
	v_fma_f32 v16, -v6, v15, v14
	v_fmac_f32_e32 v15, v16, v13
	v_fma_f32 v6, -v6, v15, v14
	v_div_fmas_f32 v6, v6, v13, v15
	v_div_fixup_f32 v4, v6, v12, v4
	v_min_f32_e32 v4, 0x43600000, v4
	v_max_f32_e32 v4, 0xc3600000, v4
	v_and_b32_e32 v6, 0x7fffffff, v4
	v_cmp_gt_u32_e32 vcc, s23, v6
	s_and_saveexec_b64 s[6:7], vcc
	s_cbranch_execz .LBB52_96
; %bb.91:                               ;   in Loop: Header=BB52_59 Depth=1
	v_cmp_lt_u32_e32 vcc, s24, v6
	s_mov_b64 s[8:9], 0
                                        ; implicit-def: $vgpr6
	s_and_saveexec_b64 s[10:11], vcc
	s_xor_b64 s[10:11], exec, s[10:11]
	s_cbranch_execnz .LBB52_166
; %bb.92:                               ;   in Loop: Header=BB52_59 Depth=1
	s_or_saveexec_b64 s[10:11], s[10:11]
                                        ; implicit-def: $sgpr16
	s_xor_b64 exec, exec, s[10:11]
	s_cbranch_execnz .LBB52_167
.LBB52_93:                              ;   in Loop: Header=BB52_59 Depth=1
	s_or_b64 exec, exec, s[10:11]
	v_mov_b32_e32 v8, s16
	s_and_saveexec_b64 s[10:11], s[8:9]
.LBB52_94:                              ;   in Loop: Header=BB52_59 Depth=1
	v_lshrrev_b32_e32 v4, 24, v4
	v_and_or_b32 v8, v4, s27, v6
.LBB52_95:                              ;   in Loop: Header=BB52_59 Depth=1
	s_or_b64 exec, exec, s[10:11]
.LBB52_96:                              ;   in Loop: Header=BB52_59 Depth=1
	s_or_b64 exec, exec, s[6:7]
	v_fma_mixlo_f16 v4, v36, v5, 0 op_sel_hi:[0,1,0]
	v_mul_f16_e32 v4, v7, v4
	v_cvt_f32_f16_e32 v6, v4
	v_mov_b32_e32 v4, 0x80
	v_div_scale_f32 v13, s[6:7], v12, v12, v6
	v_rcp_f32_e32 v14, v13
	v_div_scale_f32 v15, vcc, v6, v12, v6
	v_fma_f32 v16, -v13, v14, 1.0
	v_fmac_f32_e32 v14, v16, v14
	v_mul_f32_e32 v16, v15, v14
	v_fma_f32 v17, -v13, v16, v15
	v_fmac_f32_e32 v16, v17, v14
	v_fma_f32 v13, -v13, v16, v15
	v_div_fmas_f32 v13, v13, v14, v16
	v_div_fixup_f32 v6, v13, v12, v6
	v_min_f32_e32 v6, 0x43600000, v6
	v_max_f32_e32 v13, 0xc3600000, v6
	v_and_b32_e32 v14, 0x7fffffff, v13
	v_cmp_gt_u32_e32 vcc, s23, v14
	v_mov_b32_e32 v6, 0x80
	s_and_saveexec_b64 s[6:7], vcc
	s_cbranch_execz .LBB52_102
; %bb.97:                               ;   in Loop: Header=BB52_59 Depth=1
	v_cmp_lt_u32_e32 vcc, s24, v14
	s_mov_b64 s[8:9], 0
                                        ; implicit-def: $vgpr14
	s_and_saveexec_b64 s[10:11], vcc
	s_xor_b64 s[10:11], exec, s[10:11]
	s_cbranch_execnz .LBB52_168
; %bb.98:                               ;   in Loop: Header=BB52_59 Depth=1
	s_or_saveexec_b64 s[10:11], s[10:11]
                                        ; implicit-def: $sgpr16
	s_xor_b64 exec, exec, s[10:11]
	s_cbranch_execnz .LBB52_169
.LBB52_99:                              ;   in Loop: Header=BB52_59 Depth=1
	s_or_b64 exec, exec, s[10:11]
	v_mov_b32_e32 v6, s16
	s_and_saveexec_b64 s[10:11], s[8:9]
.LBB52_100:                             ;   in Loop: Header=BB52_59 Depth=1
	v_lshrrev_b32_e32 v6, 24, v13
	v_and_or_b32 v6, v6, s27, v14
.LBB52_101:                             ;   in Loop: Header=BB52_59 Depth=1
	s_or_b64 exec, exec, s[10:11]
.LBB52_102:                             ;   in Loop: Header=BB52_59 Depth=1
	s_or_b64 exec, exec, s[6:7]
	v_fma_mixlo_f16 v5, v36, v5, 0 op_sel:[0,1,0] op_sel_hi:[0,1,0]
	v_mul_f16_sdwa v5, v7, v5 dst_sel:DWORD dst_unused:UNUSED_PAD src0_sel:WORD_1 src1_sel:DWORD
	v_cvt_f32_f16_e32 v5, v5
	v_div_scale_f32 v7, s[6:7], v12, v12, v5
	v_rcp_f32_e32 v13, v7
	v_div_scale_f32 v14, vcc, v5, v12, v5
	v_fma_f32 v15, -v7, v13, 1.0
	v_fmac_f32_e32 v13, v15, v13
	v_mul_f32_e32 v15, v14, v13
	v_fma_f32 v16, -v7, v15, v14
	v_fmac_f32_e32 v15, v16, v13
	v_fma_f32 v7, -v7, v15, v14
	v_div_fmas_f32 v7, v7, v13, v15
	v_div_fixup_f32 v5, v7, v12, v5
	v_min_f32_e32 v5, 0x43600000, v5
	v_max_f32_e32 v5, 0xc3600000, v5
	v_and_b32_e32 v7, 0x7fffffff, v5
	v_cmp_gt_u32_e32 vcc, s23, v7
	s_and_saveexec_b64 s[6:7], vcc
	s_cbranch_execz .LBB52_108
; %bb.103:                              ;   in Loop: Header=BB52_59 Depth=1
	v_cmp_lt_u32_e32 vcc, s24, v7
	s_mov_b64 s[8:9], 0
                                        ; implicit-def: $vgpr7
	s_and_saveexec_b64 s[10:11], vcc
	s_xor_b64 s[10:11], exec, s[10:11]
	s_cbranch_execnz .LBB52_170
; %bb.104:                              ;   in Loop: Header=BB52_59 Depth=1
	s_or_saveexec_b64 s[10:11], s[10:11]
                                        ; implicit-def: $sgpr16
	s_xor_b64 exec, exec, s[10:11]
	s_cbranch_execnz .LBB52_171
.LBB52_105:                             ;   in Loop: Header=BB52_59 Depth=1
	s_or_b64 exec, exec, s[10:11]
	v_mov_b32_e32 v4, s16
	s_and_saveexec_b64 s[10:11], s[8:9]
.LBB52_106:                             ;   in Loop: Header=BB52_59 Depth=1
	v_lshrrev_b32_e32 v4, 24, v5
	v_and_or_b32 v4, v4, s27, v7
.LBB52_107:                             ;   in Loop: Header=BB52_59 Depth=1
	s_or_b64 exec, exec, s[10:11]
.LBB52_108:                             ;   in Loop: Header=BB52_59 Depth=1
	s_or_b64 exec, exec, s[6:7]
	v_lshlrev_b64 v[12:13], 2, v[2:3]
	v_mov_b32_e32 v3, s20
	v_add_co_u32_e32 v12, vcc, s13, v12
	v_addc_co_u32_e32 v13, vcc, v3, v13, vcc
	v_lshlrev_b32_e32 v3, 16, v6
	v_perm_b32 v3, v4, v3, s28
	v_lshlrev_b32_e32 v4, 8, v8
	v_and_b32_e32 v4, 0xff00, v4
	v_and_b32_e32 v5, 0xff, v9
	v_or3_b32 v3, v3, v4, v5
	v_add_u32_e32 v4, s22, v0
	v_cmp_gt_u32_e32 vcc, s12, v4
	s_mov_b64 s[8:9], -1
	global_store_dword v[12:13], v3, off
	s_and_saveexec_b64 s[6:7], vcc
	s_cbranch_execz .LBB52_57
; %bb.109:                              ;   in Loop: Header=BB52_59 Depth=1
	v_mov_b32_e32 v5, v1
	v_lshlrev_b64 v[8:9], 3, v[4:5]
	v_mov_b32_e32 v3, s44
	v_add_co_u32_e32 v6, vcc, s33, v8
	v_addc_co_u32_e32 v7, vcc, v3, v9, vcc
	v_mov_b32_e32 v3, s15
	v_add_co_u32_e32 v8, vcc, s14, v8
	global_load_dwordx2 v[6:7], v[6:7], off
	v_addc_co_u32_e32 v9, vcc, v3, v9, vcc
	global_load_dwordx2 v[8:9], v[8:9], off
	v_lshrrev_b32_e32 v3, 3, v4
	v_and_b32_e32 v3, 0x7fffffc, v3
	global_load_dword v13, v3, s[0:1]
	s_waitcnt vmcnt(2)
	v_fma_mixlo_f16 v3, v36, v6, 0 op_sel_hi:[0,1,0]
	s_waitcnt vmcnt(1)
	v_mul_f16_e32 v3, v8, v3
	v_cvt_f32_f16_e32 v12, v3
	v_mov_b32_e32 v3, 0x80
	s_waitcnt vmcnt(0)
	v_div_scale_f32 v14, s[8:9], v13, v13, v12
	v_rcp_f32_e32 v15, v14
	v_div_scale_f32 v16, vcc, v12, v13, v12
	v_fma_f32 v17, -v14, v15, 1.0
	v_fmac_f32_e32 v15, v17, v15
	v_mul_f32_e32 v17, v16, v15
	v_fma_f32 v18, -v14, v17, v16
	v_fmac_f32_e32 v17, v18, v15
	v_fma_f32 v14, -v14, v17, v16
	v_div_fmas_f32 v14, v14, v15, v17
	v_div_fixup_f32 v12, v14, v13, v12
	v_min_f32_e32 v12, 0x43600000, v12
	v_max_f32_e32 v14, 0xc3600000, v12
	v_and_b32_e32 v15, 0x7fffffff, v14
	v_cmp_gt_u32_e32 vcc, s23, v15
	v_mov_b32_e32 v12, 0x80
	s_and_saveexec_b64 s[8:9], vcc
	s_cbranch_execz .LBB52_115
; %bb.110:                              ;   in Loop: Header=BB52_59 Depth=1
	v_cmp_lt_u32_e32 vcc, s24, v15
	s_mov_b64 s[10:11], 0
                                        ; implicit-def: $vgpr15
	s_and_saveexec_b64 s[16:17], vcc
	s_xor_b64 s[16:17], exec, s[16:17]
	s_cbranch_execnz .LBB52_172
; %bb.111:                              ;   in Loop: Header=BB52_59 Depth=1
	s_or_saveexec_b64 s[16:17], s[16:17]
                                        ; implicit-def: $sgpr18
	s_xor_b64 exec, exec, s[16:17]
	s_cbranch_execnz .LBB52_173
.LBB52_112:                             ;   in Loop: Header=BB52_59 Depth=1
	s_or_b64 exec, exec, s[16:17]
	v_mov_b32_e32 v12, s18
	s_and_saveexec_b64 s[16:17], s[10:11]
.LBB52_113:                             ;   in Loop: Header=BB52_59 Depth=1
	v_lshrrev_b32_e32 v12, 24, v14
	v_and_or_b32 v12, v12, s27, v15
.LBB52_114:                             ;   in Loop: Header=BB52_59 Depth=1
	s_or_b64 exec, exec, s[16:17]
.LBB52_115:                             ;   in Loop: Header=BB52_59 Depth=1
	s_or_b64 exec, exec, s[8:9]
	v_fma_mixlo_f16 v6, v36, v6, 0 op_sel:[0,1,0] op_sel_hi:[0,1,0]
	v_mul_f16_sdwa v6, v8, v6 dst_sel:DWORD dst_unused:UNUSED_PAD src0_sel:WORD_1 src1_sel:DWORD
	v_cvt_f32_f16_e32 v6, v6
	v_div_scale_f32 v8, s[8:9], v13, v13, v6
	v_rcp_f32_e32 v14, v8
	v_div_scale_f32 v15, vcc, v6, v13, v6
	v_fma_f32 v16, -v8, v14, 1.0
	v_fmac_f32_e32 v14, v16, v14
	v_mul_f32_e32 v16, v15, v14
	v_fma_f32 v17, -v8, v16, v15
	v_fmac_f32_e32 v16, v17, v14
	v_fma_f32 v8, -v8, v16, v15
	v_div_fmas_f32 v8, v8, v14, v16
	v_div_fixup_f32 v6, v8, v13, v6
	v_min_f32_e32 v6, 0x43600000, v6
	v_max_f32_e32 v6, 0xc3600000, v6
	v_and_b32_e32 v8, 0x7fffffff, v6
	v_cmp_gt_u32_e32 vcc, s23, v8
	s_and_saveexec_b64 s[8:9], vcc
	s_cbranch_execz .LBB52_121
; %bb.116:                              ;   in Loop: Header=BB52_59 Depth=1
	v_cmp_lt_u32_e32 vcc, s24, v8
	s_mov_b64 s[10:11], 0
                                        ; implicit-def: $vgpr8
	s_and_saveexec_b64 s[16:17], vcc
	s_xor_b64 s[16:17], exec, s[16:17]
	s_cbranch_execnz .LBB52_174
; %bb.117:                              ;   in Loop: Header=BB52_59 Depth=1
	s_or_saveexec_b64 s[16:17], s[16:17]
                                        ; implicit-def: $sgpr18
	s_xor_b64 exec, exec, s[16:17]
	s_cbranch_execnz .LBB52_175
.LBB52_118:                             ;   in Loop: Header=BB52_59 Depth=1
	s_or_b64 exec, exec, s[16:17]
	v_mov_b32_e32 v3, s18
	s_and_saveexec_b64 s[16:17], s[10:11]
.LBB52_119:                             ;   in Loop: Header=BB52_59 Depth=1
	v_lshrrev_b32_e32 v3, 24, v6
	v_and_or_b32 v3, v3, s27, v8
.LBB52_120:                             ;   in Loop: Header=BB52_59 Depth=1
	s_or_b64 exec, exec, s[16:17]
.LBB52_121:                             ;   in Loop: Header=BB52_59 Depth=1
	s_or_b64 exec, exec, s[8:9]
	v_fma_mixlo_f16 v6, v36, v7, 0 op_sel_hi:[0,1,0]
	v_mul_f16_e32 v6, v9, v6
	v_cvt_f32_f16_e32 v8, v6
	v_mov_b32_e32 v6, 0x80
	v_div_scale_f32 v14, s[8:9], v13, v13, v8
	v_rcp_f32_e32 v15, v14
	v_div_scale_f32 v16, vcc, v8, v13, v8
	v_fma_f32 v17, -v14, v15, 1.0
	v_fmac_f32_e32 v15, v17, v15
	v_mul_f32_e32 v17, v16, v15
	v_fma_f32 v18, -v14, v17, v16
	v_fmac_f32_e32 v17, v18, v15
	v_fma_f32 v14, -v14, v17, v16
	v_div_fmas_f32 v14, v14, v15, v17
	v_div_fixup_f32 v8, v14, v13, v8
	v_min_f32_e32 v8, 0x43600000, v8
	v_max_f32_e32 v14, 0xc3600000, v8
	v_and_b32_e32 v15, 0x7fffffff, v14
	v_cmp_gt_u32_e32 vcc, s23, v15
	v_mov_b32_e32 v8, 0x80
	s_and_saveexec_b64 s[8:9], vcc
	s_cbranch_execz .LBB52_127
; %bb.122:                              ;   in Loop: Header=BB52_59 Depth=1
	v_cmp_lt_u32_e32 vcc, s24, v15
	s_mov_b64 s[10:11], 0
                                        ; implicit-def: $vgpr15
	s_and_saveexec_b64 s[16:17], vcc
	s_xor_b64 s[16:17], exec, s[16:17]
	s_cbranch_execnz .LBB52_176
; %bb.123:                              ;   in Loop: Header=BB52_59 Depth=1
	s_or_saveexec_b64 s[16:17], s[16:17]
                                        ; implicit-def: $sgpr18
	s_xor_b64 exec, exec, s[16:17]
	s_cbranch_execnz .LBB52_177
.LBB52_124:                             ;   in Loop: Header=BB52_59 Depth=1
	s_or_b64 exec, exec, s[16:17]
	v_mov_b32_e32 v8, s18
	s_and_saveexec_b64 s[16:17], s[10:11]
.LBB52_125:                             ;   in Loop: Header=BB52_59 Depth=1
	v_lshrrev_b32_e32 v8, 24, v14
	v_and_or_b32 v8, v8, s27, v15
.LBB52_126:                             ;   in Loop: Header=BB52_59 Depth=1
	s_or_b64 exec, exec, s[16:17]
.LBB52_127:                             ;   in Loop: Header=BB52_59 Depth=1
	s_or_b64 exec, exec, s[8:9]
	v_fma_mixlo_f16 v7, v36, v7, 0 op_sel:[0,1,0] op_sel_hi:[0,1,0]
	v_mul_f16_sdwa v7, v9, v7 dst_sel:DWORD dst_unused:UNUSED_PAD src0_sel:WORD_1 src1_sel:DWORD
	v_cvt_f32_f16_e32 v7, v7
	v_div_scale_f32 v9, s[8:9], v13, v13, v7
	v_rcp_f32_e32 v14, v9
	v_div_scale_f32 v15, vcc, v7, v13, v7
	v_fma_f32 v16, -v9, v14, 1.0
	v_fmac_f32_e32 v14, v16, v14
	v_mul_f32_e32 v16, v15, v14
	v_fma_f32 v17, -v9, v16, v15
	v_fmac_f32_e32 v16, v17, v14
	v_fma_f32 v9, -v9, v16, v15
	v_div_fmas_f32 v9, v9, v14, v16
	v_div_fixup_f32 v7, v9, v13, v7
	v_min_f32_e32 v7, 0x43600000, v7
	v_max_f32_e32 v7, 0xc3600000, v7
	v_and_b32_e32 v9, 0x7fffffff, v7
	v_cmp_gt_u32_e32 vcc, s23, v9
	s_and_saveexec_b64 s[8:9], vcc
	s_cbranch_execz .LBB52_133
; %bb.128:                              ;   in Loop: Header=BB52_59 Depth=1
	v_cmp_lt_u32_e32 vcc, s24, v9
	s_mov_b64 s[10:11], 0
                                        ; implicit-def: $vgpr9
	s_and_saveexec_b64 s[16:17], vcc
	s_xor_b64 s[16:17], exec, s[16:17]
	s_cbranch_execnz .LBB52_178
; %bb.129:                              ;   in Loop: Header=BB52_59 Depth=1
	s_or_saveexec_b64 s[16:17], s[16:17]
                                        ; implicit-def: $sgpr18
	s_xor_b64 exec, exec, s[16:17]
	s_cbranch_execnz .LBB52_179
.LBB52_130:                             ;   in Loop: Header=BB52_59 Depth=1
	s_or_b64 exec, exec, s[16:17]
	v_mov_b32_e32 v6, s18
	s_and_saveexec_b64 s[16:17], s[10:11]
.LBB52_131:                             ;   in Loop: Header=BB52_59 Depth=1
	v_lshrrev_b32_e32 v6, 24, v7
	v_and_or_b32 v6, v6, s27, v9
.LBB52_132:                             ;   in Loop: Header=BB52_59 Depth=1
	s_or_b64 exec, exec, s[16:17]
.LBB52_133:                             ;   in Loop: Header=BB52_59 Depth=1
	s_or_b64 exec, exec, s[8:9]
	v_lshlrev_b64 v[4:5], 2, v[4:5]
	v_mov_b32_e32 v7, s20
	v_add_co_u32_e32 v4, vcc, s13, v4
	v_addc_co_u32_e32 v5, vcc, v7, v5, vcc
	v_lshlrev_b32_e32 v7, 16, v8
	v_lshlrev_b32_e32 v3, 8, v3
	v_perm_b32 v6, v6, v7, s28
	v_and_b32_e32 v3, 0xff00, v3
	v_and_b32_e32 v7, 0xff, v12
	v_add_u32_e32 v0, s21, v0
	v_or3_b32 v3, v6, v3, v7
	v_cmp_gt_u32_e32 vcc, s12, v0
	s_mov_b64 s[10:11], -1
	global_store_dword v[4:5], v3, off
	s_and_saveexec_b64 s[8:9], vcc
	s_cbranch_execz .LBB52_56
; %bb.134:                              ;   in Loop: Header=BB52_59 Depth=1
	v_lshlrev_b64 v[6:7], 3, v[0:1]
	v_mov_b32_e32 v3, s44
	v_add_co_u32_e32 v4, vcc, s33, v6
	v_addc_co_u32_e32 v5, vcc, v3, v7, vcc
	v_mov_b32_e32 v3, s15
	v_add_co_u32_e32 v6, vcc, s14, v6
	global_load_dwordx2 v[4:5], v[4:5], off
	v_addc_co_u32_e32 v7, vcc, v3, v7, vcc
	global_load_dwordx2 v[6:7], v[6:7], off
	v_lshrrev_b32_e32 v3, 3, v0
	v_and_b32_e32 v3, 0x7fffffc, v3
	global_load_dword v9, v3, s[0:1]
	s_waitcnt vmcnt(2)
	v_fma_mixlo_f16 v3, v36, v4, 0 op_sel_hi:[0,1,0]
	s_waitcnt vmcnt(1)
	v_mul_f16_e32 v3, v6, v3
	v_cvt_f32_f16_e32 v8, v3
	v_mov_b32_e32 v3, 0x80
	s_waitcnt vmcnt(0)
	v_div_scale_f32 v12, s[10:11], v9, v9, v8
	v_rcp_f32_e32 v13, v12
	v_div_scale_f32 v14, vcc, v8, v9, v8
	v_fma_f32 v15, -v12, v13, 1.0
	v_fmac_f32_e32 v13, v15, v13
	v_mul_f32_e32 v15, v14, v13
	v_fma_f32 v16, -v12, v15, v14
	v_fmac_f32_e32 v15, v16, v13
	v_fma_f32 v12, -v12, v15, v14
	v_div_fmas_f32 v12, v12, v13, v15
	v_div_fixup_f32 v8, v12, v9, v8
	v_min_f32_e32 v8, 0x43600000, v8
	v_max_f32_e32 v12, 0xc3600000, v8
	v_and_b32_e32 v13, 0x7fffffff, v12
	v_cmp_gt_u32_e32 vcc, s23, v13
	v_mov_b32_e32 v8, 0x80
	s_and_saveexec_b64 s[10:11], vcc
	s_cbranch_execz .LBB52_140
; %bb.135:                              ;   in Loop: Header=BB52_59 Depth=1
	v_cmp_lt_u32_e32 vcc, s24, v13
	s_mov_b64 s[16:17], 0
                                        ; implicit-def: $vgpr13
	s_and_saveexec_b64 s[18:19], vcc
	s_xor_b64 s[18:19], exec, s[18:19]
	s_cbranch_execnz .LBB52_180
; %bb.136:                              ;   in Loop: Header=BB52_59 Depth=1
	s_or_saveexec_b64 s[18:19], s[18:19]
                                        ; implicit-def: $sgpr29
	s_xor_b64 exec, exec, s[18:19]
	s_cbranch_execnz .LBB52_181
.LBB52_137:                             ;   in Loop: Header=BB52_59 Depth=1
	s_or_b64 exec, exec, s[18:19]
	v_mov_b32_e32 v8, s29
	s_and_saveexec_b64 s[18:19], s[16:17]
.LBB52_138:                             ;   in Loop: Header=BB52_59 Depth=1
	v_lshrrev_b32_e32 v8, 24, v12
	v_and_or_b32 v8, v8, s27, v13
.LBB52_139:                             ;   in Loop: Header=BB52_59 Depth=1
	s_or_b64 exec, exec, s[18:19]
.LBB52_140:                             ;   in Loop: Header=BB52_59 Depth=1
	s_or_b64 exec, exec, s[10:11]
	v_fma_mixlo_f16 v4, v36, v4, 0 op_sel:[0,1,0] op_sel_hi:[0,1,0]
	v_mul_f16_sdwa v4, v6, v4 dst_sel:DWORD dst_unused:UNUSED_PAD src0_sel:WORD_1 src1_sel:DWORD
	v_cvt_f32_f16_e32 v4, v4
	v_div_scale_f32 v6, s[10:11], v9, v9, v4
	v_rcp_f32_e32 v12, v6
	v_div_scale_f32 v13, vcc, v4, v9, v4
	v_fma_f32 v14, -v6, v12, 1.0
	v_fmac_f32_e32 v12, v14, v12
	v_mul_f32_e32 v14, v13, v12
	v_fma_f32 v15, -v6, v14, v13
	v_fmac_f32_e32 v14, v15, v12
	v_fma_f32 v6, -v6, v14, v13
	v_div_fmas_f32 v6, v6, v12, v14
	v_div_fixup_f32 v4, v6, v9, v4
	v_min_f32_e32 v4, 0x43600000, v4
	v_max_f32_e32 v4, 0xc3600000, v4
	v_and_b32_e32 v6, 0x7fffffff, v4
	v_cmp_gt_u32_e32 vcc, s23, v6
	s_and_saveexec_b64 s[10:11], vcc
	s_cbranch_execz .LBB52_146
; %bb.141:                              ;   in Loop: Header=BB52_59 Depth=1
	v_cmp_lt_u32_e32 vcc, s24, v6
	s_mov_b64 s[16:17], 0
                                        ; implicit-def: $vgpr6
	s_and_saveexec_b64 s[18:19], vcc
	s_xor_b64 s[18:19], exec, s[18:19]
	s_cbranch_execnz .LBB52_182
; %bb.142:                              ;   in Loop: Header=BB52_59 Depth=1
	s_or_saveexec_b64 s[18:19], s[18:19]
                                        ; implicit-def: $sgpr29
	s_xor_b64 exec, exec, s[18:19]
	s_cbranch_execnz .LBB52_183
.LBB52_143:                             ;   in Loop: Header=BB52_59 Depth=1
	s_or_b64 exec, exec, s[18:19]
	v_mov_b32_e32 v3, s29
	s_and_saveexec_b64 s[18:19], s[16:17]
.LBB52_144:                             ;   in Loop: Header=BB52_59 Depth=1
	v_lshrrev_b32_e32 v3, 24, v4
	v_and_or_b32 v3, v3, s27, v6
.LBB52_145:                             ;   in Loop: Header=BB52_59 Depth=1
	s_or_b64 exec, exec, s[18:19]
.LBB52_146:                             ;   in Loop: Header=BB52_59 Depth=1
	s_or_b64 exec, exec, s[10:11]
	v_fma_mixlo_f16 v4, v36, v5, 0 op_sel_hi:[0,1,0]
	v_mul_f16_e32 v4, v7, v4
	v_cvt_f32_f16_e32 v6, v4
	v_mov_b32_e32 v4, 0x80
	v_div_scale_f32 v12, s[10:11], v9, v9, v6
	v_rcp_f32_e32 v13, v12
	v_div_scale_f32 v14, vcc, v6, v9, v6
	v_fma_f32 v15, -v12, v13, 1.0
	v_fmac_f32_e32 v13, v15, v13
	v_mul_f32_e32 v15, v14, v13
	v_fma_f32 v16, -v12, v15, v14
	v_fmac_f32_e32 v15, v16, v13
	v_fma_f32 v12, -v12, v15, v14
	v_div_fmas_f32 v12, v12, v13, v15
	v_div_fixup_f32 v6, v12, v9, v6
	v_min_f32_e32 v6, 0x43600000, v6
	v_max_f32_e32 v12, 0xc3600000, v6
	v_and_b32_e32 v13, 0x7fffffff, v12
	v_cmp_gt_u32_e32 vcc, s23, v13
	v_mov_b32_e32 v6, 0x80
	s_and_saveexec_b64 s[10:11], vcc
	s_cbranch_execz .LBB52_152
; %bb.147:                              ;   in Loop: Header=BB52_59 Depth=1
	v_cmp_lt_u32_e32 vcc, s24, v13
	s_mov_b64 s[16:17], 0
                                        ; implicit-def: $vgpr13
	s_and_saveexec_b64 s[18:19], vcc
	s_xor_b64 s[18:19], exec, s[18:19]
	s_cbranch_execnz .LBB52_184
; %bb.148:                              ;   in Loop: Header=BB52_59 Depth=1
	s_or_saveexec_b64 s[18:19], s[18:19]
                                        ; implicit-def: $sgpr29
	s_xor_b64 exec, exec, s[18:19]
	s_cbranch_execnz .LBB52_185
.LBB52_149:                             ;   in Loop: Header=BB52_59 Depth=1
	s_or_b64 exec, exec, s[18:19]
	v_mov_b32_e32 v6, s29
	s_and_saveexec_b64 s[18:19], s[16:17]
.LBB52_150:                             ;   in Loop: Header=BB52_59 Depth=1
	v_lshrrev_b32_e32 v6, 24, v12
	v_and_or_b32 v6, v6, s27, v13
.LBB52_151:                             ;   in Loop: Header=BB52_59 Depth=1
	s_or_b64 exec, exec, s[18:19]
.LBB52_152:                             ;   in Loop: Header=BB52_59 Depth=1
	s_or_b64 exec, exec, s[10:11]
	v_fma_mixlo_f16 v5, v36, v5, 0 op_sel:[0,1,0] op_sel_hi:[0,1,0]
	v_mul_f16_sdwa v5, v7, v5 dst_sel:DWORD dst_unused:UNUSED_PAD src0_sel:WORD_1 src1_sel:DWORD
	v_cvt_f32_f16_e32 v5, v5
	v_div_scale_f32 v7, s[10:11], v9, v9, v5
	v_rcp_f32_e32 v12, v7
	v_div_scale_f32 v13, vcc, v5, v9, v5
	v_fma_f32 v14, -v7, v12, 1.0
	v_fmac_f32_e32 v12, v14, v12
	v_mul_f32_e32 v14, v13, v12
	v_fma_f32 v15, -v7, v14, v13
	v_fmac_f32_e32 v14, v15, v12
	v_fma_f32 v7, -v7, v14, v13
	v_div_fmas_f32 v7, v7, v12, v14
	v_div_fixup_f32 v5, v7, v9, v5
	v_min_f32_e32 v5, 0x43600000, v5
	v_max_f32_e32 v5, 0xc3600000, v5
	v_and_b32_e32 v7, 0x7fffffff, v5
	v_cmp_gt_u32_e32 vcc, s23, v7
	s_and_saveexec_b64 s[10:11], vcc
	s_cbranch_execz .LBB52_55
; %bb.153:                              ;   in Loop: Header=BB52_59 Depth=1
	v_cmp_lt_u32_e32 vcc, s24, v7
	s_mov_b64 s[16:17], 0
                                        ; implicit-def: $vgpr7
	s_and_saveexec_b64 s[18:19], vcc
	s_xor_b64 s[18:19], exec, s[18:19]
	s_cbranch_execnz .LBB52_186
; %bb.154:                              ;   in Loop: Header=BB52_59 Depth=1
	s_or_saveexec_b64 s[18:19], s[18:19]
                                        ; implicit-def: $sgpr29
	s_xor_b64 exec, exec, s[18:19]
	s_cbranch_execnz .LBB52_187
.LBB52_155:                             ;   in Loop: Header=BB52_59 Depth=1
	s_or_b64 exec, exec, s[18:19]
	v_mov_b32_e32 v4, s29
	s_and_saveexec_b64 s[18:19], s[16:17]
	s_cbranch_execz .LBB52_54
	s_branch .LBB52_188
.LBB52_156:                             ;   in Loop: Header=BB52_59 Depth=1
	v_bfe_u32 v8, v9, 20, 1
	v_add3_u32 v8, v9, v8, s25
	s_mov_b64 s[6:7], exec
	v_lshrrev_b32_e32 v12, 20, v8
	s_or_saveexec_b64 s[8:9], s[8:9]
                                        ; implicit-def: $sgpr10
	s_xor_b64 exec, exec, s[8:9]
	s_cbranch_execz .LBB52_62
.LBB52_157:                             ;   in Loop: Header=BB52_59 Depth=1
	v_add_f32_e64 v8, |v9|, s26
	v_and_b32_e32 v12, 0xff, v8
	v_cmp_ne_u32_e32 vcc, 0, v12
	s_andn2_b64 s[6:7], s[6:7], exec
	s_and_b64 s[16:17], vcc, exec
	s_mov_b32 s10, 0
	s_or_b64 s[6:7], s[6:7], s[16:17]
	s_or_b64 exec, exec, s[8:9]
	v_mov_b32_e32 v8, s10
	s_and_saveexec_b64 s[8:9], s[6:7]
	s_cbranch_execnz .LBB52_63
	s_branch .LBB52_64
.LBB52_158:                             ;   in Loop: Header=BB52_59 Depth=1
	v_bfe_u32 v4, v2, 20, 1
	v_add3_u32 v4, v2, v4, s25
	s_mov_b64 s[6:7], exec
	v_lshrrev_b32_e32 v4, 20, v4
	s_or_saveexec_b64 s[8:9], s[8:9]
                                        ; implicit-def: $sgpr10
	s_xor_b64 exec, exec, s[8:9]
	s_cbranch_execz .LBB52_68
.LBB52_159:                             ;   in Loop: Header=BB52_59 Depth=1
	v_add_f32_e64 v4, |v2|, s26
	v_and_b32_e32 v4, 0xff, v4
	v_cmp_ne_u32_e32 vcc, 0, v4
	s_andn2_b64 s[6:7], s[6:7], exec
	s_and_b64 s[16:17], vcc, exec
	s_mov_b32 s10, 0
	s_or_b64 s[6:7], s[6:7], s[16:17]
	s_or_b64 exec, exec, s[8:9]
	v_mov_b32_e32 v6, s10
	s_and_saveexec_b64 s[8:9], s[6:7]
	s_cbranch_execnz .LBB52_69
	s_branch .LBB52_70
.LBB52_160:                             ;   in Loop: Header=BB52_59 Depth=1
	v_bfe_u32 v4, v9, 20, 1
	v_add3_u32 v4, v9, v4, s25
	s_mov_b64 s[6:7], exec
	v_lshrrev_b32_e32 v12, 20, v4
	s_or_saveexec_b64 s[8:9], s[8:9]
                                        ; implicit-def: $sgpr10
	s_xor_b64 exec, exec, s[8:9]
	s_cbranch_execz .LBB52_74
.LBB52_161:                             ;   in Loop: Header=BB52_59 Depth=1
	v_add_f32_e64 v4, |v9|, s26
	v_and_b32_e32 v12, 0xff, v4
	v_cmp_ne_u32_e32 vcc, 0, v12
	s_andn2_b64 s[6:7], s[6:7], exec
	s_and_b64 s[16:17], vcc, exec
	s_mov_b32 s10, 0
	s_or_b64 s[6:7], s[6:7], s[16:17]
	s_or_b64 exec, exec, s[8:9]
	v_mov_b32_e32 v4, s10
	s_and_saveexec_b64 s[8:9], s[6:7]
	s_cbranch_execnz .LBB52_75
	s_branch .LBB52_76
.LBB52_162:                             ;   in Loop: Header=BB52_59 Depth=1
	v_bfe_u32 v2, v3, 20, 1
	v_add3_u32 v2, v3, v2, s25
	s_mov_b64 s[6:7], exec
	v_lshrrev_b32_e32 v5, 20, v2
	s_or_saveexec_b64 s[8:9], s[8:9]
                                        ; implicit-def: $sgpr10
	s_xor_b64 exec, exec, s[8:9]
	s_cbranch_execz .LBB52_80
.LBB52_163:                             ;   in Loop: Header=BB52_59 Depth=1
	v_add_f32_e64 v2, |v3|, s26
	v_and_b32_e32 v5, 0xff, v2
	v_cmp_ne_u32_e32 vcc, 0, v5
	s_andn2_b64 s[6:7], s[6:7], exec
	s_and_b64 s[16:17], vcc, exec
	s_mov_b32 s10, 0
	s_or_b64 s[6:7], s[6:7], s[16:17]
	s_or_b64 exec, exec, s[8:9]
	v_mov_b32_e32 v2, s10
	s_and_saveexec_b64 s[8:9], s[6:7]
	s_cbranch_execnz .LBB52_81
	s_branch .LBB52_82
.LBB52_164:                             ;   in Loop: Header=BB52_59 Depth=1
	v_bfe_u32 v9, v13, 20, 1
	v_add3_u32 v9, v13, v9, s25
	s_mov_b64 s[8:9], exec
	v_lshrrev_b32_e32 v14, 20, v9
	s_or_saveexec_b64 s[10:11], s[10:11]
                                        ; implicit-def: $sgpr16
	s_xor_b64 exec, exec, s[10:11]
	s_cbranch_execz .LBB52_87
.LBB52_165:                             ;   in Loop: Header=BB52_59 Depth=1
	v_add_f32_e64 v9, |v13|, s26
	v_and_b32_e32 v14, 0xff, v9
	v_cmp_ne_u32_e32 vcc, 0, v14
	s_andn2_b64 s[8:9], s[8:9], exec
	s_and_b64 s[18:19], vcc, exec
	s_mov_b32 s16, 0
	s_or_b64 s[8:9], s[8:9], s[18:19]
	s_or_b64 exec, exec, s[10:11]
	v_mov_b32_e32 v9, s16
	s_and_saveexec_b64 s[10:11], s[8:9]
	s_cbranch_execnz .LBB52_88
	s_branch .LBB52_89
.LBB52_166:                             ;   in Loop: Header=BB52_59 Depth=1
	v_bfe_u32 v6, v4, 20, 1
	v_add3_u32 v6, v4, v6, s25
	s_mov_b64 s[8:9], exec
	v_lshrrev_b32_e32 v6, 20, v6
	s_or_saveexec_b64 s[10:11], s[10:11]
                                        ; implicit-def: $sgpr16
	s_xor_b64 exec, exec, s[10:11]
	s_cbranch_execz .LBB52_93
.LBB52_167:                             ;   in Loop: Header=BB52_59 Depth=1
	v_add_f32_e64 v6, |v4|, s26
	v_and_b32_e32 v6, 0xff, v6
	v_cmp_ne_u32_e32 vcc, 0, v6
	s_andn2_b64 s[8:9], s[8:9], exec
	s_and_b64 s[18:19], vcc, exec
	s_mov_b32 s16, 0
	s_or_b64 s[8:9], s[8:9], s[18:19]
	s_or_b64 exec, exec, s[10:11]
	v_mov_b32_e32 v8, s16
	s_and_saveexec_b64 s[10:11], s[8:9]
	s_cbranch_execnz .LBB52_94
	s_branch .LBB52_95
.LBB52_168:                             ;   in Loop: Header=BB52_59 Depth=1
	v_bfe_u32 v6, v13, 20, 1
	v_add3_u32 v6, v13, v6, s25
	s_mov_b64 s[8:9], exec
	v_lshrrev_b32_e32 v14, 20, v6
	s_or_saveexec_b64 s[10:11], s[10:11]
                                        ; implicit-def: $sgpr16
	s_xor_b64 exec, exec, s[10:11]
	s_cbranch_execz .LBB52_99
.LBB52_169:                             ;   in Loop: Header=BB52_59 Depth=1
	v_add_f32_e64 v6, |v13|, s26
	v_and_b32_e32 v14, 0xff, v6
	v_cmp_ne_u32_e32 vcc, 0, v14
	s_andn2_b64 s[8:9], s[8:9], exec
	s_and_b64 s[18:19], vcc, exec
	s_mov_b32 s16, 0
	s_or_b64 s[8:9], s[8:9], s[18:19]
	s_or_b64 exec, exec, s[10:11]
	v_mov_b32_e32 v6, s16
	s_and_saveexec_b64 s[10:11], s[8:9]
	s_cbranch_execnz .LBB52_100
	s_branch .LBB52_101
.LBB52_170:                             ;   in Loop: Header=BB52_59 Depth=1
	v_bfe_u32 v4, v5, 20, 1
	v_add3_u32 v4, v5, v4, s25
	s_mov_b64 s[8:9], exec
	v_lshrrev_b32_e32 v7, 20, v4
	s_or_saveexec_b64 s[10:11], s[10:11]
                                        ; implicit-def: $sgpr16
	s_xor_b64 exec, exec, s[10:11]
	s_cbranch_execz .LBB52_105
.LBB52_171:                             ;   in Loop: Header=BB52_59 Depth=1
	v_add_f32_e64 v4, |v5|, s26
	v_and_b32_e32 v7, 0xff, v4
	v_cmp_ne_u32_e32 vcc, 0, v7
	s_andn2_b64 s[8:9], s[8:9], exec
	s_and_b64 s[18:19], vcc, exec
	s_mov_b32 s16, 0
	s_or_b64 s[8:9], s[8:9], s[18:19]
	s_or_b64 exec, exec, s[10:11]
	v_mov_b32_e32 v4, s16
	s_and_saveexec_b64 s[10:11], s[8:9]
	s_cbranch_execnz .LBB52_106
	s_branch .LBB52_107
.LBB52_172:                             ;   in Loop: Header=BB52_59 Depth=1
	v_bfe_u32 v12, v14, 20, 1
	v_add3_u32 v12, v14, v12, s25
	s_mov_b64 s[10:11], exec
	v_lshrrev_b32_e32 v15, 20, v12
	s_or_saveexec_b64 s[16:17], s[16:17]
                                        ; implicit-def: $sgpr18
	s_xor_b64 exec, exec, s[16:17]
	s_cbranch_execz .LBB52_112
.LBB52_173:                             ;   in Loop: Header=BB52_59 Depth=1
	v_add_f32_e64 v12, |v14|, s26
	v_and_b32_e32 v15, 0xff, v12
	v_cmp_ne_u32_e32 vcc, 0, v15
	s_andn2_b64 s[10:11], s[10:11], exec
	s_and_b64 s[30:31], vcc, exec
	s_mov_b32 s18, 0
	s_or_b64 s[10:11], s[10:11], s[30:31]
	s_or_b64 exec, exec, s[16:17]
	v_mov_b32_e32 v12, s18
	s_and_saveexec_b64 s[16:17], s[10:11]
	s_cbranch_execnz .LBB52_113
	s_branch .LBB52_114
.LBB52_174:                             ;   in Loop: Header=BB52_59 Depth=1
	v_bfe_u32 v3, v6, 20, 1
	v_add3_u32 v3, v6, v3, s25
	s_mov_b64 s[10:11], exec
	v_lshrrev_b32_e32 v8, 20, v3
	s_or_saveexec_b64 s[16:17], s[16:17]
                                        ; implicit-def: $sgpr18
	s_xor_b64 exec, exec, s[16:17]
	s_cbranch_execz .LBB52_118
.LBB52_175:                             ;   in Loop: Header=BB52_59 Depth=1
	v_add_f32_e64 v3, |v6|, s26
	v_and_b32_e32 v8, 0xff, v3
	v_cmp_ne_u32_e32 vcc, 0, v8
	s_andn2_b64 s[10:11], s[10:11], exec
	s_and_b64 s[30:31], vcc, exec
	s_mov_b32 s18, 0
	s_or_b64 s[10:11], s[10:11], s[30:31]
	s_or_b64 exec, exec, s[16:17]
	v_mov_b32_e32 v3, s18
	s_and_saveexec_b64 s[16:17], s[10:11]
	s_cbranch_execnz .LBB52_119
	s_branch .LBB52_120
.LBB52_176:                             ;   in Loop: Header=BB52_59 Depth=1
	v_bfe_u32 v8, v14, 20, 1
	v_add3_u32 v8, v14, v8, s25
	s_mov_b64 s[10:11], exec
	v_lshrrev_b32_e32 v15, 20, v8
	s_or_saveexec_b64 s[16:17], s[16:17]
                                        ; implicit-def: $sgpr18
	s_xor_b64 exec, exec, s[16:17]
	s_cbranch_execz .LBB52_124
.LBB52_177:                             ;   in Loop: Header=BB52_59 Depth=1
	v_add_f32_e64 v8, |v14|, s26
	v_and_b32_e32 v15, 0xff, v8
	v_cmp_ne_u32_e32 vcc, 0, v15
	s_andn2_b64 s[10:11], s[10:11], exec
	s_and_b64 s[30:31], vcc, exec
	s_mov_b32 s18, 0
	s_or_b64 s[10:11], s[10:11], s[30:31]
	s_or_b64 exec, exec, s[16:17]
	v_mov_b32_e32 v8, s18
	s_and_saveexec_b64 s[16:17], s[10:11]
	s_cbranch_execnz .LBB52_125
	s_branch .LBB52_126
.LBB52_178:                             ;   in Loop: Header=BB52_59 Depth=1
	v_bfe_u32 v6, v7, 20, 1
	v_add3_u32 v6, v7, v6, s25
	s_mov_b64 s[10:11], exec
	v_lshrrev_b32_e32 v9, 20, v6
	s_or_saveexec_b64 s[16:17], s[16:17]
                                        ; implicit-def: $sgpr18
	s_xor_b64 exec, exec, s[16:17]
	s_cbranch_execz .LBB52_130
.LBB52_179:                             ;   in Loop: Header=BB52_59 Depth=1
	v_add_f32_e64 v6, |v7|, s26
	v_and_b32_e32 v9, 0xff, v6
	v_cmp_ne_u32_e32 vcc, 0, v9
	s_andn2_b64 s[10:11], s[10:11], exec
	s_and_b64 s[30:31], vcc, exec
	s_mov_b32 s18, 0
	s_or_b64 s[10:11], s[10:11], s[30:31]
	s_or_b64 exec, exec, s[16:17]
	v_mov_b32_e32 v6, s18
	s_and_saveexec_b64 s[16:17], s[10:11]
	s_cbranch_execnz .LBB52_131
	s_branch .LBB52_132
.LBB52_180:                             ;   in Loop: Header=BB52_59 Depth=1
	v_bfe_u32 v8, v12, 20, 1
	v_add3_u32 v8, v12, v8, s25
	s_mov_b64 s[16:17], exec
	v_lshrrev_b32_e32 v13, 20, v8
	s_or_saveexec_b64 s[18:19], s[18:19]
                                        ; implicit-def: $sgpr29
	s_xor_b64 exec, exec, s[18:19]
	s_cbranch_execz .LBB52_137
.LBB52_181:                             ;   in Loop: Header=BB52_59 Depth=1
	v_add_f32_e64 v8, |v12|, s26
	v_and_b32_e32 v13, 0xff, v8
	v_cmp_ne_u32_e32 vcc, 0, v13
	s_andn2_b64 s[16:17], s[16:17], exec
	s_and_b64 s[30:31], vcc, exec
	s_mov_b32 s29, 0
	s_or_b64 s[16:17], s[16:17], s[30:31]
	s_or_b64 exec, exec, s[18:19]
	v_mov_b32_e32 v8, s29
	s_and_saveexec_b64 s[18:19], s[16:17]
	s_cbranch_execnz .LBB52_138
	s_branch .LBB52_139
.LBB52_182:                             ;   in Loop: Header=BB52_59 Depth=1
	v_bfe_u32 v3, v4, 20, 1
	v_add3_u32 v3, v4, v3, s25
	s_mov_b64 s[16:17], exec
	v_lshrrev_b32_e32 v6, 20, v3
	s_or_saveexec_b64 s[18:19], s[18:19]
                                        ; implicit-def: $sgpr29
	s_xor_b64 exec, exec, s[18:19]
	s_cbranch_execz .LBB52_143
.LBB52_183:                             ;   in Loop: Header=BB52_59 Depth=1
	v_add_f32_e64 v3, |v4|, s26
	v_and_b32_e32 v6, 0xff, v3
	v_cmp_ne_u32_e32 vcc, 0, v6
	s_andn2_b64 s[16:17], s[16:17], exec
	s_and_b64 s[30:31], vcc, exec
	s_mov_b32 s29, 0
	s_or_b64 s[16:17], s[16:17], s[30:31]
	s_or_b64 exec, exec, s[18:19]
	v_mov_b32_e32 v3, s29
	s_and_saveexec_b64 s[18:19], s[16:17]
	s_cbranch_execnz .LBB52_144
	s_branch .LBB52_145
.LBB52_184:                             ;   in Loop: Header=BB52_59 Depth=1
	v_bfe_u32 v6, v12, 20, 1
	v_add3_u32 v6, v12, v6, s25
	s_mov_b64 s[16:17], exec
	v_lshrrev_b32_e32 v13, 20, v6
	s_or_saveexec_b64 s[18:19], s[18:19]
                                        ; implicit-def: $sgpr29
	s_xor_b64 exec, exec, s[18:19]
	s_cbranch_execz .LBB52_149
.LBB52_185:                             ;   in Loop: Header=BB52_59 Depth=1
	v_add_f32_e64 v6, |v12|, s26
	v_and_b32_e32 v13, 0xff, v6
	v_cmp_ne_u32_e32 vcc, 0, v13
	s_andn2_b64 s[16:17], s[16:17], exec
	s_and_b64 s[30:31], vcc, exec
	s_mov_b32 s29, 0
	s_or_b64 s[16:17], s[16:17], s[30:31]
	s_or_b64 exec, exec, s[18:19]
	v_mov_b32_e32 v6, s29
	s_and_saveexec_b64 s[18:19], s[16:17]
	s_cbranch_execnz .LBB52_150
	s_branch .LBB52_151
.LBB52_186:                             ;   in Loop: Header=BB52_59 Depth=1
	v_bfe_u32 v4, v5, 20, 1
	v_add3_u32 v4, v5, v4, s25
	s_mov_b64 s[16:17], exec
	v_lshrrev_b32_e32 v7, 20, v4
	s_or_saveexec_b64 s[18:19], s[18:19]
                                        ; implicit-def: $sgpr29
	s_xor_b64 exec, exec, s[18:19]
	s_cbranch_execz .LBB52_155
.LBB52_187:                             ;   in Loop: Header=BB52_59 Depth=1
	v_add_f32_e64 v4, |v5|, s26
	v_and_b32_e32 v7, 0xff, v4
	v_cmp_ne_u32_e32 vcc, 0, v7
	s_andn2_b64 s[16:17], s[16:17], exec
	s_and_b64 s[30:31], vcc, exec
	s_mov_b32 s29, 0
	s_or_b64 s[16:17], s[16:17], s[30:31]
	s_or_b64 exec, exec, s[18:19]
	v_mov_b32_e32 v4, s29
	s_and_saveexec_b64 s[18:19], s[16:17]
	s_cbranch_execz .LBB52_54
.LBB52_188:                             ;   in Loop: Header=BB52_59 Depth=1
	v_lshrrev_b32_e32 v4, 24, v5
	v_and_or_b32 v4, v4, s27, v7
	s_branch .LBB52_54
.LBB52_189:
	s_endpgm
	.section	.rodata,"a",@progbits
	.p2align	6, 0x0
	.amdhsa_kernel _ZN4vllm31rms_norm_per_block_quant_kernelIN3c104HalfENS1_15Float8_e4m3fnuzELb0ELb0ELi128EEEvPT0_PfPKT_S9_PKffiiPS7_l
		.amdhsa_group_segment_fixed_size 4164
		.amdhsa_private_segment_fixed_size 0
		.amdhsa_kernarg_size 328
		.amdhsa_user_sgpr_count 6
		.amdhsa_user_sgpr_private_segment_buffer 1
		.amdhsa_user_sgpr_dispatch_ptr 0
		.amdhsa_user_sgpr_queue_ptr 0
		.amdhsa_user_sgpr_kernarg_segment_ptr 1
		.amdhsa_user_sgpr_dispatch_id 0
		.amdhsa_user_sgpr_flat_scratch_init 0
		.amdhsa_user_sgpr_kernarg_preload_length 0
		.amdhsa_user_sgpr_kernarg_preload_offset 0
		.amdhsa_user_sgpr_private_segment_size 0
		.amdhsa_uses_dynamic_stack 0
		.amdhsa_system_sgpr_private_segment_wavefront_offset 0
		.amdhsa_system_sgpr_workgroup_id_x 1
		.amdhsa_system_sgpr_workgroup_id_y 0
		.amdhsa_system_sgpr_workgroup_id_z 0
		.amdhsa_system_sgpr_workgroup_info 0
		.amdhsa_system_vgpr_workitem_id 0
		.amdhsa_next_free_vgpr 40
		.amdhsa_next_free_sgpr 46
		.amdhsa_accum_offset 40
		.amdhsa_reserve_vcc 1
		.amdhsa_reserve_flat_scratch 0
		.amdhsa_float_round_mode_32 0
		.amdhsa_float_round_mode_16_64 0
		.amdhsa_float_denorm_mode_32 3
		.amdhsa_float_denorm_mode_16_64 3
		.amdhsa_dx10_clamp 1
		.amdhsa_ieee_mode 1
		.amdhsa_fp16_overflow 0
		.amdhsa_tg_split 0
		.amdhsa_exception_fp_ieee_invalid_op 0
		.amdhsa_exception_fp_denorm_src 0
		.amdhsa_exception_fp_ieee_div_zero 0
		.amdhsa_exception_fp_ieee_overflow 0
		.amdhsa_exception_fp_ieee_underflow 0
		.amdhsa_exception_fp_ieee_inexact 0
		.amdhsa_exception_int_div_zero 0
	.end_amdhsa_kernel
	.section	.text._ZN4vllm31rms_norm_per_block_quant_kernelIN3c104HalfENS1_15Float8_e4m3fnuzELb0ELb0ELi128EEEvPT0_PfPKT_S9_PKffiiPS7_l,"axG",@progbits,_ZN4vllm31rms_norm_per_block_quant_kernelIN3c104HalfENS1_15Float8_e4m3fnuzELb0ELb0ELi128EEEvPT0_PfPKT_S9_PKffiiPS7_l,comdat
.Lfunc_end52:
	.size	_ZN4vllm31rms_norm_per_block_quant_kernelIN3c104HalfENS1_15Float8_e4m3fnuzELb0ELb0ELi128EEEvPT0_PfPKT_S9_PKffiiPS7_l, .Lfunc_end52-_ZN4vllm31rms_norm_per_block_quant_kernelIN3c104HalfENS1_15Float8_e4m3fnuzELb0ELb0ELi128EEEvPT0_PfPKT_S9_PKffiiPS7_l
                                        ; -- End function
	.section	.AMDGPU.csdata,"",@progbits
; Kernel info:
; codeLenInByte = 9384
; NumSgprs: 50
; NumVgprs: 40
; NumAgprs: 0
; TotalNumVgprs: 40
; ScratchSize: 0
; MemoryBound: 0
; FloatMode: 240
; IeeeMode: 1
; LDSByteSize: 4164 bytes/workgroup (compile time only)
; SGPRBlocks: 6
; VGPRBlocks: 4
; NumSGPRsForWavesPerEU: 50
; NumVGPRsForWavesPerEU: 40
; AccumOffset: 40
; Occupancy: 8
; WaveLimiterHint : 0
; COMPUTE_PGM_RSRC2:SCRATCH_EN: 0
; COMPUTE_PGM_RSRC2:USER_SGPR: 6
; COMPUTE_PGM_RSRC2:TRAP_HANDLER: 0
; COMPUTE_PGM_RSRC2:TGID_X_EN: 1
; COMPUTE_PGM_RSRC2:TGID_Y_EN: 0
; COMPUTE_PGM_RSRC2:TGID_Z_EN: 0
; COMPUTE_PGM_RSRC2:TIDIG_COMP_CNT: 0
; COMPUTE_PGM_RSRC3_GFX90A:ACCUM_OFFSET: 9
; COMPUTE_PGM_RSRC3_GFX90A:TG_SPLIT: 0
	.section	.text._ZN4vllm31rms_norm_per_block_quant_kernelIN3c104HalfEaLb0ELb0ELi128EEEvPT0_PfPKT_S8_PKffiiPS6_l,"axG",@progbits,_ZN4vllm31rms_norm_per_block_quant_kernelIN3c104HalfEaLb0ELb0ELi128EEEvPT0_PfPKT_S8_PKffiiPS6_l,comdat
	.protected	_ZN4vllm31rms_norm_per_block_quant_kernelIN3c104HalfEaLb0ELb0ELi128EEEvPT0_PfPKT_S8_PKffiiPS6_l ; -- Begin function _ZN4vllm31rms_norm_per_block_quant_kernelIN3c104HalfEaLb0ELb0ELi128EEEvPT0_PfPKT_S8_PKffiiPS6_l
	.globl	_ZN4vllm31rms_norm_per_block_quant_kernelIN3c104HalfEaLb0ELb0ELi128EEEvPT0_PfPKT_S8_PKffiiPS6_l
	.p2align	8
	.type	_ZN4vllm31rms_norm_per_block_quant_kernelIN3c104HalfEaLb0ELb0ELi128EEEvPT0_PfPKT_S8_PKffiiPS6_l,@function
_ZN4vllm31rms_norm_per_block_quant_kernelIN3c104HalfEaLb0ELb0ELi128EEEvPT0_PfPKT_S8_PKffiiPS6_l: ; @_ZN4vllm31rms_norm_per_block_quant_kernelIN3c104HalfEaLb0ELb0ELi128EEEvPT0_PfPKT_S8_PKffiiPS6_l
; %bb.0:
	s_load_dwordx4 s[16:19], s[4:5], 0x28
	s_load_dwordx8 s[8:15], s[4:5], 0x0
	v_mov_b32_e32 v1, 0
	s_waitcnt lgkmcnt(0)
	s_ashr_i32 s0, s18, 31
	s_mul_hi_u32 s1, s18, s6
	s_mul_i32 s0, s0, s6
	s_add_i32 s1, s1, s0
	s_mul_i32 s0, s18, s6
	s_lshl_b64 s[0:1], s[0:1], 1
	s_add_u32 s33, s12, s0
	s_addc_u32 s44, s13, s1
	s_ashr_i32 s12, s17, 2
	s_add_u32 s2, s4, 0x48
	s_mov_b32 s20, s17
	v_cmp_gt_u32_e64 s[0:1], s12, v0
	s_addc_u32 s3, s5, 0
	s_and_saveexec_b64 s[18:19], s[0:1]
	s_cbranch_execz .LBB53_10
; %bb.1:
	s_load_dword s7, s[2:3], 0x0
	v_mov_b32_e32 v3, 0
	v_mov_b32_e32 v9, s44
	;; [unrolled: 1-line block ×3, first 2 shown]
                                        ; implicit-def: $sgpr24_sgpr25
	s_waitcnt lgkmcnt(0)
	s_cmp_lt_u32 s6, s7
	s_cselect_b32 s7, 12, 18
	s_add_u32 s22, s2, s7
	s_addc_u32 s23, s3, 0
	global_load_ushort v8, v3, s[22:23]
	s_mov_b64 s[22:23], 0
	s_waitcnt vmcnt(0)
	v_add_u32_e32 v1, v8, v8
	v_mul_lo_u32 v10, v8, 3
	v_lshlrev_b32_e32 v11, 1, v8
	v_add_u32_e32 v12, v1, v8
	v_mov_b32_e32 v1, v3
	s_branch .LBB53_5
.LBB53_2:                               ;   in Loop: Header=BB53_5 Depth=1
	s_or_b64 exec, exec, s[30:31]
	s_orn2_b64 s[30:31], s[34:35], exec
.LBB53_3:                               ;   in Loop: Header=BB53_5 Depth=1
	s_or_b64 exec, exec, s[28:29]
	s_andn2_b64 s[24:25], s[24:25], exec
	s_and_b64 s[28:29], s[30:31], exec
	s_or_b64 s[24:25], s[24:25], s[28:29]
.LBB53_4:                               ;   in Loop: Header=BB53_5 Depth=1
	s_or_b64 exec, exec, s[26:27]
	s_and_b64 s[26:27], exec, s[24:25]
	s_or_b64 s[22:23], s[26:27], s[22:23]
	s_andn2_b64 exec, exec, s[22:23]
	s_cbranch_execz .LBB53_9
.LBB53_5:                               ; =>This Inner Loop Header: Depth=1
	v_lshlrev_b64 v[4:5], 3, v[2:3]
	v_add_co_u32_e32 v4, vcc, s33, v4
	v_addc_co_u32_e32 v5, vcc, v9, v5, vcc
	global_load_dwordx2 v[6:7], v[4:5], off
	v_add_u32_e32 v4, v2, v8
	v_cmp_gt_u32_e32 vcc, s12, v4
	s_or_b64 s[24:25], s[24:25], exec
	s_waitcnt vmcnt(0)
	v_fma_mix_f32 v1, v6, v6, v1 op_sel_hi:[1,1,0]
	v_fma_mix_f32 v1, v6, v6, v1 op_sel:[1,1,0] op_sel_hi:[1,1,0]
	v_fma_mix_f32 v1, v7, v7, v1 op_sel_hi:[1,1,0]
	v_fma_mix_f32 v1, v7, v7, v1 op_sel:[1,1,0] op_sel_hi:[1,1,0]
	s_and_saveexec_b64 s[26:27], vcc
	s_cbranch_execz .LBB53_4
; %bb.6:                                ;   in Loop: Header=BB53_5 Depth=1
	v_mov_b32_e32 v5, v3
	v_lshlrev_b64 v[6:7], 3, v[4:5]
	v_add_co_u32_e32 v6, vcc, s33, v6
	v_addc_co_u32_e32 v7, vcc, v9, v7, vcc
	global_load_dwordx2 v[14:15], v[6:7], off
	v_add_u32_e32 v6, v11, v2
	v_cmp_gt_u32_e32 vcc, s12, v6
	s_mov_b64 s[30:31], -1
	s_waitcnt vmcnt(0)
	v_fma_mix_f32 v1, v14, v14, v1 op_sel_hi:[1,1,0]
	v_fma_mix_f32 v1, v14, v14, v1 op_sel:[1,1,0] op_sel_hi:[1,1,0]
	v_fma_mix_f32 v1, v15, v15, v1 op_sel_hi:[1,1,0]
	v_fma_mix_f32 v1, v15, v15, v1 op_sel:[1,1,0] op_sel_hi:[1,1,0]
	s_and_saveexec_b64 s[28:29], vcc
	s_cbranch_execz .LBB53_3
; %bb.7:                                ;   in Loop: Header=BB53_5 Depth=1
	v_mov_b32_e32 v7, v3
	v_lshlrev_b64 v[6:7], 3, v[6:7]
	v_add_co_u32_e32 v6, vcc, s33, v6
	v_addc_co_u32_e32 v7, vcc, v9, v7, vcc
	global_load_dwordx2 v[6:7], v[6:7], off
	v_add_u32_e32 v2, v10, v2
	v_cmp_gt_u32_e32 vcc, s12, v2
	s_mov_b64 s[34:35], -1
	s_waitcnt vmcnt(0)
	v_fma_mix_f32 v1, v6, v6, v1 op_sel_hi:[1,1,0]
	v_fma_mix_f32 v1, v6, v6, v1 op_sel:[1,1,0] op_sel_hi:[1,1,0]
	v_fma_mix_f32 v1, v7, v7, v1 op_sel_hi:[1,1,0]
	v_fma_mix_f32 v1, v7, v7, v1 op_sel:[1,1,0] op_sel_hi:[1,1,0]
	s_and_saveexec_b64 s[30:31], vcc
	s_xor_b64 s[30:31], exec, s[30:31]
	s_cbranch_execz .LBB53_2
; %bb.8:                                ;   in Loop: Header=BB53_5 Depth=1
	v_lshlrev_b64 v[6:7], 3, v[2:3]
	v_add_co_u32_e32 v6, vcc, s33, v6
	v_addc_co_u32_e32 v7, vcc, v9, v7, vcc
	global_load_dwordx2 v[6:7], v[6:7], off
	v_add_u32_e32 v2, v12, v4
	v_cmp_le_u32_e32 vcc, s12, v2
	s_orn2_b64 s[34:35], vcc, exec
	s_waitcnt vmcnt(0)
	v_fma_mix_f32 v1, v6, v6, v1 op_sel_hi:[1,1,0]
	v_fma_mix_f32 v1, v6, v6, v1 op_sel:[1,1,0] op_sel_hi:[1,1,0]
	v_fma_mix_f32 v1, v7, v7, v1 op_sel_hi:[1,1,0]
	v_fma_mix_f32 v1, v7, v7, v1 op_sel:[1,1,0] op_sel_hi:[1,1,0]
	s_branch .LBB53_2
.LBB53_9:
	s_or_b64 exec, exec, s[22:23]
.LBB53_10:
	s_or_b64 exec, exec, s[18:19]
	v_mbcnt_lo_u32_b32 v2, -1, 0
	v_mbcnt_hi_u32_b32 v2, -1, v2
	v_and_b32_e32 v3, 63, v2
	v_cmp_ne_u32_e32 vcc, 63, v3
	s_load_dword s2, s[2:3], 0xc
	v_addc_co_u32_e32 v4, vcc, 0, v2, vcc
	v_lshlrev_b32_e32 v4, 2, v4
	ds_bpermute_b32 v4, v4, v1
	s_waitcnt lgkmcnt(0)
	s_and_b32 s45, s2, 0xffff
	v_and_b32_e32 v5, 0x3c0, v0
	v_sub_u32_e64 v5, s45, v5 clamp
	v_add_u32_e32 v6, 1, v2
	v_add_f32_e32 v4, v1, v4
	v_cmp_lt_u32_e32 vcc, v6, v5
	v_cndmask_b32_e32 v1, v1, v4, vcc
	v_cmp_gt_u32_e32 vcc, 62, v3
	v_cndmask_b32_e64 v4, 0, 1, vcc
	v_lshlrev_b32_e32 v4, 1, v4
	v_add_lshl_u32 v4, v4, v2, 2
	ds_bpermute_b32 v4, v4, v1
	v_add_u32_e32 v6, 2, v2
	v_cmp_lt_u32_e32 vcc, v6, v5
	v_add_u32_e32 v6, 4, v2
	s_waitcnt lgkmcnt(0)
	v_add_f32_e32 v4, v1, v4
	v_cndmask_b32_e32 v1, v1, v4, vcc
	v_cmp_gt_u32_e32 vcc, 60, v3
	v_cndmask_b32_e64 v4, 0, 1, vcc
	v_lshlrev_b32_e32 v4, 2, v4
	v_add_lshl_u32 v4, v4, v2, 2
	ds_bpermute_b32 v4, v4, v1
	v_cmp_lt_u32_e32 vcc, v6, v5
	v_add_u32_e32 v6, 8, v2
	s_waitcnt lgkmcnt(0)
	v_add_f32_e32 v4, v1, v4
	v_cndmask_b32_e32 v1, v1, v4, vcc
	v_cmp_gt_u32_e32 vcc, 56, v3
	v_cndmask_b32_e64 v4, 0, 1, vcc
	v_lshlrev_b32_e32 v4, 3, v4
	v_add_lshl_u32 v4, v4, v2, 2
	ds_bpermute_b32 v4, v4, v1
	;; [unrolled: 10-line block ×3, first 2 shown]
	v_cmp_lt_u32_e32 vcc, v6, v5
	s_waitcnt lgkmcnt(0)
	v_add_f32_e32 v4, v1, v4
	v_cndmask_b32_e32 v1, v1, v4, vcc
	v_cmp_gt_u32_e32 vcc, 32, v3
	v_cndmask_b32_e64 v3, 0, 1, vcc
	v_lshlrev_b32_e32 v3, 5, v3
	v_add_lshl_u32 v3, v3, v2, 2
	ds_bpermute_b32 v3, v3, v1
	v_add_u32_e32 v4, 32, v2
	v_cmp_lt_u32_e32 vcc, v4, v5
	s_waitcnt lgkmcnt(0)
	v_add_f32_e32 v3, v1, v3
	v_cndmask_b32_e32 v1, v1, v3, vcc
	v_cmp_eq_u32_e32 vcc, 0, v2
	s_and_saveexec_b64 s[2:3], vcc
	s_cbranch_execz .LBB53_12
; %bb.11:
	v_lshrrev_b32_e32 v3, 4, v0
	v_and_b32_e32 v3, 60, v3
	ds_write_b32 v3, v1 offset:4096
.LBB53_12:
	s_or_b64 exec, exec, s[2:3]
	v_cmp_gt_u32_e32 vcc, 16, v0
	s_waitcnt lgkmcnt(0)
	s_barrier
	s_and_saveexec_b64 s[18:19], vcc
	s_cbranch_execz .LBB53_14
; %bb.13:
	v_lshlrev_b32_e32 v1, 2, v2
	ds_read_b32 v1, v1 offset:4096
	v_and_b32_e32 v3, 15, v2
	v_cmp_ne_u32_e32 vcc, 15, v3
	v_addc_co_u32_e32 v4, vcc, 0, v2, vcc
	v_lshlrev_b32_e32 v4, 2, v4
	s_waitcnt lgkmcnt(0)
	ds_bpermute_b32 v4, v4, v1
	s_add_i32 s2, s45, 63
	s_lshr_b32 s7, s2, 6
	v_add_u32_e32 v5, 1, v3
	v_cmp_gt_u32_e64 s[2:3], 14, v3
	v_cmp_gt_u32_e32 vcc, s7, v5
	v_cndmask_b32_e64 v5, 0, 1, s[2:3]
	s_waitcnt lgkmcnt(0)
	v_add_f32_e32 v4, v1, v4
	v_lshlrev_b32_e32 v5, 1, v5
	v_cndmask_b32_e32 v4, v1, v4, vcc
	v_add_lshl_u32 v5, v5, v2, 2
	ds_bpermute_b32 v5, v5, v4
	v_add_u32_e32 v6, 2, v3
	v_cmp_gt_u32_e64 s[2:3], s7, v6
	v_add_u32_e32 v6, 4, v3
	s_waitcnt lgkmcnt(0)
	v_add_f32_e32 v5, v4, v5
	v_cndmask_b32_e64 v4, v4, v5, s[2:3]
	v_cmp_gt_u32_e64 s[2:3], 12, v3
	v_cndmask_b32_e64 v5, 0, 1, s[2:3]
	v_lshlrev_b32_e32 v5, 2, v5
	v_add_lshl_u32 v5, v5, v2, 2
	ds_bpermute_b32 v5, v5, v4
	v_cmp_gt_u32_e64 s[2:3], s7, v6
	s_waitcnt lgkmcnt(0)
	v_add_f32_e32 v5, v4, v5
	v_cndmask_b32_e64 v4, v4, v5, s[2:3]
	v_cmp_gt_u32_e64 s[2:3], 8, v3
	v_cndmask_b32_e64 v5, 0, 1, s[2:3]
	v_lshlrev_b32_e32 v5, 3, v5
	v_add_lshl_u32 v2, v5, v2, 2
	ds_bpermute_b32 v2, v2, v4
	v_add_u32_e32 v3, 8, v3
	v_cmp_gt_u32_e64 s[2:3], s7, v3
	s_waitcnt lgkmcnt(0)
	v_add_f32_e32 v2, v4, v2
	v_cndmask_b32_e64 v2, v4, v2, s[2:3]
	v_cndmask_b32_e32 v1, v1, v2, vcc
.LBB53_14:
	s_or_b64 exec, exec, s[18:19]
	v_cmp_eq_u32_e32 vcc, 0, v0
	s_and_saveexec_b64 s[2:3], vcc
	s_cbranch_execz .LBB53_16
; %bb.15:
	v_cvt_f32_i32_e32 v2, s17
	s_mov_b32 s7, 0x800000
	v_div_scale_f32 v3, s[18:19], v2, v2, v1
	v_rcp_f32_e32 v4, v3
	v_div_scale_f32 v5, vcc, v1, v2, v1
	v_fma_f32 v6, -v3, v4, 1.0
	v_fmac_f32_e32 v4, v6, v4
	v_mul_f32_e32 v6, v5, v4
	v_fma_f32 v7, -v3, v6, v5
	v_fmac_f32_e32 v6, v7, v4
	v_fma_f32 v3, -v3, v6, v5
	v_div_fmas_f32 v3, v3, v4, v6
	v_div_fixup_f32 v1, v3, v2, v1
	v_add_f32_e32 v1, s16, v1
	v_mul_f32_e32 v2, 0x4b800000, v1
	v_cmp_gt_f32_e32 vcc, s7, v1
	v_cndmask_b32_e32 v1, v1, v2, vcc
	v_rsq_f32_e32 v1, v1
	v_mul_f32_e32 v2, 0x45800000, v1
	v_cndmask_b32_e32 v1, v1, v2, vcc
	v_mov_b32_e32 v2, 0
	ds_write_b32 v2, v1 offset:4160
.LBB53_16:
	s_or_b64 exec, exec, s[2:3]
	s_ashr_i32 s21, s17, 31
	s_lshr_b32 s2, s21, 25
	s_add_i32 s2, s17, s2
	s_ashr_i32 s18, s2, 7
	s_abs_i32 s3, s18
	v_cvt_f32_u32_e32 v1, s3
	s_sub_i32 s7, 0, s3
	s_ashr_i32 s2, s2, 31
	v_mov_b32_e32 v5, 0
	v_rcp_iflag_f32_e32 v1, v1
	s_waitcnt lgkmcnt(0)
	s_barrier
	v_mul_f32_e32 v1, 0x4f7ffffe, v1
	v_cvt_u32_f32_e32 v1, v1
	ds_read_b32 v36, v5 offset:4160
	v_readfirstlane_b32 s13, v1
	s_mul_i32 s7, s7, s13
	s_mul_hi_u32 s7, s13, s7
	s_add_i32 s13, s13, s7
	s_mul_hi_u32 s7, s45, s13
	s_mul_i32 s13, s7, s3
	s_sub_i32 s13, s45, s13
	s_add_i32 s16, s7, 1
	s_sub_i32 s19, s13, s3
	s_cmp_ge_u32 s13, s3
	s_cselect_b32 s7, s16, s7
	s_cselect_b32 s13, s19, s13
	s_add_i32 s16, s7, 1
	s_cmp_ge_u32 s13, s3
	s_cselect_b32 s3, s16, s7
	s_xor_b32 s3, s3, s2
	s_sub_i32 s2, s3, s2
	s_abs_i32 s7, s2
	v_cvt_f32_u32_e32 v1, s7
	s_sub_i32 s13, 0, s7
	s_ashr_i32 s3, s2, 31
	v_rcp_iflag_f32_e32 v1, v1
	v_mul_f32_e32 v1, 0x4f7ffffe, v1
	v_cvt_u32_f32_e32 v1, v1
	v_mul_lo_u32 v2, s13, v1
	v_mul_hi_u32 v2, v1, v2
	v_add_u32_e32 v1, v1, v2
	v_mul_hi_u32 v1, v0, v1
	v_mul_lo_u32 v2, v1, s7
	v_sub_u32_e32 v2, v0, v2
	v_add_u32_e32 v3, 1, v1
	v_cmp_le_u32_e32 vcc, s7, v2
	v_cndmask_b32_e32 v1, v1, v3, vcc
	v_subrev_u32_e32 v3, s7, v2
	v_cndmask_b32_e32 v2, v2, v3, vcc
	v_add_u32_e32 v3, 1, v1
	v_cmp_le_u32_e32 vcc, s7, v2
	v_cndmask_b32_e32 v1, v1, v3, vcc
	v_xor_b32_e32 v1, s3, v1
	v_subrev_u32_e32 v2, s3, v1
	v_mul_lo_u32 v1, v2, s2
	v_ashrrev_i32_e32 v3, 31, v2
	v_sub_u32_e32 v4, v0, v1
	v_lshlrev_b64 v[8:9], 5, v[2:3]
	v_add_co_u32_e32 v6, vcc, v8, v4
	v_addc_co_u32_e32 v7, vcc, 0, v9, vcc
	v_add_co_u32_e32 v8, vcc, 32, v8
	v_addc_co_u32_e32 v9, vcc, 0, v9, vcc
	s_ashr_i32 s13, s12, 31
	v_mov_b32_e32 v1, s13
	v_cmp_gt_i64_e32 vcc, s[12:13], v[8:9]
	v_cndmask_b32_e32 v9, v1, v9, vcc
	v_mov_b32_e32 v1, s12
	v_cndmask_b32_e32 v8, v1, v8, vcc
	v_ashrrev_i32_e32 v11, 31, v8
	v_mov_b32_e32 v10, v8
	v_cmp_lt_i64_e32 vcc, v[6:7], v[10:11]
	s_and_saveexec_b64 s[22:23], vcc
	s_cbranch_execz .LBB53_26
; %bb.17:
	v_lshlrev_b64 v[12:13], 8, v[2:3]
	v_lshlrev_b64 v[14:15], 3, v[4:5]
	v_add_co_u32_e32 v12, vcc, v12, v14
	v_addc_co_u32_e32 v1, vcc, v13, v15, vcc
	s_lshl_b64 s[24:25], s[2:3], 5
	s_mul_hi_i32 s7, s2, 3
	s_mul_i32 s13, s2, 3
	s_lshl_b64 s[26:27], s[2:3], 1
	s_lshl_b64 s[30:31], s[2:3], 3
	s_mov_b64 s[28:29], 0
	v_mov_b32_e32 v5, 0
	v_mov_b32_e32 v13, s44
	;; [unrolled: 1-line block ×4, first 2 shown]
	v_pk_mov_b32 v[14:15], v[6:7], v[6:7] op_sel:[0,1]
                                        ; implicit-def: $sgpr34_sgpr35
	s_branch .LBB53_21
.LBB53_18:                              ;   in Loop: Header=BB53_21 Depth=1
	s_or_b64 exec, exec, s[40:41]
	s_orn2_b64 s[40:41], s[42:43], exec
.LBB53_19:                              ;   in Loop: Header=BB53_21 Depth=1
	s_or_b64 exec, exec, s[38:39]
	s_andn2_b64 s[34:35], s[34:35], exec
	s_and_b64 s[38:39], s[40:41], exec
	s_or_b64 s[34:35], s[34:35], s[38:39]
.LBB53_20:                              ;   in Loop: Header=BB53_21 Depth=1
	s_or_b64 exec, exec, s[36:37]
	s_and_b64 s[36:37], exec, s[34:35]
	s_or_b64 s[28:29], s[36:37], s[28:29]
	s_andn2_b64 exec, exec, s[28:29]
	s_cbranch_execz .LBB53_25
.LBB53_21:                              ; =>This Inner Loop Header: Depth=1
	v_add_co_u32_e32 v18, vcc, s33, v12
	v_addc_co_u32_e32 v19, vcc, v13, v1, vcc
	v_add_co_u32_e32 v20, vcc, s14, v12
	global_load_dwordx2 v[16:17], v[18:19], off
	v_addc_co_u32_e32 v21, vcc, v22, v1, vcc
	global_load_dwordx2 v[24:25], v[20:21], off
	s_or_b64 s[34:35], s[34:35], exec
	s_waitcnt vmcnt(1) lgkmcnt(0)
	v_fma_mixlo_f16 v26, v36, v16, 0 op_sel_hi:[0,1,0]
	v_fma_mixlo_f16 v16, v36, v16, 0 op_sel:[0,1,0] op_sel_hi:[0,1,0]
	v_fma_mixlo_f16 v27, v36, v17, 0 op_sel_hi:[0,1,0]
	v_fma_mixlo_f16 v17, v36, v17, 0 op_sel:[0,1,0] op_sel_hi:[0,1,0]
	s_waitcnt vmcnt(0)
	v_mul_f16_e32 v26, v24, v26
	v_mul_f16_sdwa v16, v24, v16 dst_sel:DWORD dst_unused:UNUSED_PAD src0_sel:WORD_1 src1_sel:DWORD
	v_mul_f16_e32 v24, v25, v27
	v_mul_f16_sdwa v17, v25, v17 dst_sel:DWORD dst_unused:UNUSED_PAD src0_sel:WORD_1 src1_sel:DWORD
	v_cvt_f32_f16_e64 v25, |v26|
	v_cvt_f32_f16_e64 v26, |v16|
	;; [unrolled: 1-line block ×4, first 2 shown]
	v_add_co_u32_e32 v16, vcc, s2, v14
	v_addc_co_u32_e32 v17, vcc, v15, v23, vcc
	v_max3_f32 v5, v5, v25, v26
	v_cmp_lt_i64_e32 vcc, v[16:17], v[10:11]
	v_max3_f32 v5, v5, v24, v27
	s_and_saveexec_b64 s[36:37], vcc
	s_cbranch_execz .LBB53_20
; %bb.22:                               ;   in Loop: Header=BB53_21 Depth=1
	v_mov_b32_e32 v26, s31
	v_add_co_u32_e32 v18, vcc, s30, v18
	v_addc_co_u32_e32 v19, vcc, v19, v26, vcc
	v_add_co_u32_e32 v20, vcc, s30, v20
	global_load_dwordx2 v[24:25], v[18:19], off
	v_addc_co_u32_e32 v21, vcc, v21, v26, vcc
	global_load_dwordx2 v[26:27], v[20:21], off
	v_mov_b32_e32 v28, s27
	s_mov_b64 s[40:41], -1
	s_waitcnt vmcnt(1)
	v_fma_mixlo_f16 v29, v36, v24, 0 op_sel_hi:[0,1,0]
	v_fma_mixlo_f16 v24, v36, v24, 0 op_sel:[0,1,0] op_sel_hi:[0,1,0]
	v_fma_mixlo_f16 v30, v36, v25, 0 op_sel_hi:[0,1,0]
	v_fma_mixlo_f16 v25, v36, v25, 0 op_sel:[0,1,0] op_sel_hi:[0,1,0]
	s_waitcnt vmcnt(0)
	v_mul_f16_e32 v29, v26, v29
	v_mul_f16_sdwa v24, v26, v24 dst_sel:DWORD dst_unused:UNUSED_PAD src0_sel:WORD_1 src1_sel:DWORD
	v_mul_f16_e32 v26, v27, v30
	v_mul_f16_sdwa v25, v27, v25 dst_sel:DWORD dst_unused:UNUSED_PAD src0_sel:WORD_1 src1_sel:DWORD
	v_cvt_f32_f16_e64 v27, |v29|
	v_cvt_f32_f16_e64 v29, |v24|
	;; [unrolled: 1-line block ×4, first 2 shown]
	v_add_co_u32_e32 v24, vcc, s26, v14
	v_addc_co_u32_e32 v25, vcc, v28, v15, vcc
	v_max3_f32 v5, v5, v27, v29
	v_cmp_lt_i64_e32 vcc, v[24:25], v[10:11]
	v_max3_f32 v5, v5, v26, v30
	s_and_saveexec_b64 s[38:39], vcc
	s_cbranch_execz .LBB53_19
; %bb.23:                               ;   in Loop: Header=BB53_21 Depth=1
	v_mov_b32_e32 v26, s31
	v_add_co_u32_e32 v18, vcc, s30, v18
	v_addc_co_u32_e32 v19, vcc, v19, v26, vcc
	v_add_co_u32_e32 v20, vcc, s30, v20
	global_load_dwordx2 v[24:25], v[18:19], off
	v_addc_co_u32_e32 v21, vcc, v21, v26, vcc
	global_load_dwordx2 v[26:27], v[20:21], off
	v_mov_b32_e32 v28, s7
	v_add_co_u32_e32 v14, vcc, s13, v14
	v_addc_co_u32_e32 v15, vcc, v28, v15, vcc
	v_cmp_lt_i64_e32 vcc, v[14:15], v[10:11]
	s_mov_b64 s[42:43], -1
                                        ; implicit-def: $vgpr14_vgpr15
	s_waitcnt vmcnt(1)
	v_fma_mixlo_f16 v29, v36, v24, 0 op_sel_hi:[0,1,0]
	v_fma_mixlo_f16 v24, v36, v24, 0 op_sel:[0,1,0] op_sel_hi:[0,1,0]
	v_fma_mixlo_f16 v30, v36, v25, 0 op_sel_hi:[0,1,0]
	v_fma_mixlo_f16 v25, v36, v25, 0 op_sel:[0,1,0] op_sel_hi:[0,1,0]
	s_waitcnt vmcnt(0)
	v_mul_f16_e32 v29, v26, v29
	v_mul_f16_sdwa v24, v26, v24 dst_sel:DWORD dst_unused:UNUSED_PAD src0_sel:WORD_1 src1_sel:DWORD
	v_mul_f16_e32 v26, v27, v30
	v_mul_f16_sdwa v25, v27, v25 dst_sel:DWORD dst_unused:UNUSED_PAD src0_sel:WORD_1 src1_sel:DWORD
	v_cvt_f32_f16_e64 v27, |v29|
	v_cvt_f32_f16_e64 v24, |v24|
	;; [unrolled: 1-line block ×4, first 2 shown]
	v_max3_f32 v5, v5, v27, v24
	v_max3_f32 v5, v5, v26, v25
	s_and_saveexec_b64 s[40:41], vcc
	s_xor_b64 s[40:41], exec, s[40:41]
	s_cbranch_execz .LBB53_18
; %bb.24:                               ;   in Loop: Header=BB53_21 Depth=1
	v_mov_b32_e32 v24, s31
	v_add_co_u32_e32 v14, vcc, s30, v18
	v_addc_co_u32_e32 v15, vcc, v19, v24, vcc
	v_add_co_u32_e32 v18, vcc, s30, v20
	global_load_dwordx2 v[14:15], v[14:15], off
	v_addc_co_u32_e32 v19, vcc, v21, v24, vcc
	global_load_dwordx2 v[18:19], v[18:19], off
	s_add_u32 s16, s2, s2
	s_addc_u32 s19, s3, s3
	v_mov_b32_e32 v20, s25
	v_add_co_u32_e32 v12, vcc, s24, v12
	s_add_u32 s16, s16, s2
	v_addc_co_u32_e32 v1, vcc, v1, v20, vcc
	s_addc_u32 s19, s19, s3
	v_mov_b32_e32 v20, s19
	s_waitcnt vmcnt(1)
	v_fma_mixlo_f16 v21, v36, v14, 0 op_sel_hi:[0,1,0]
	v_fma_mixlo_f16 v14, v36, v14, 0 op_sel:[0,1,0] op_sel_hi:[0,1,0]
	v_fma_mixlo_f16 v24, v36, v15, 0 op_sel_hi:[0,1,0]
	v_fma_mixlo_f16 v15, v36, v15, 0 op_sel:[0,1,0] op_sel_hi:[0,1,0]
	s_waitcnt vmcnt(0)
	v_mul_f16_e32 v21, v18, v21
	v_mul_f16_sdwa v14, v18, v14 dst_sel:DWORD dst_unused:UNUSED_PAD src0_sel:WORD_1 src1_sel:DWORD
	v_mul_f16_e32 v18, v19, v24
	v_mul_f16_sdwa v15, v19, v15 dst_sel:DWORD dst_unused:UNUSED_PAD src0_sel:WORD_1 src1_sel:DWORD
	v_cvt_f32_f16_e64 v19, |v21|
	v_cvt_f32_f16_e64 v21, |v14|
	;; [unrolled: 1-line block ×4, first 2 shown]
	v_add_co_u32_e32 v14, vcc, s16, v16
	v_addc_co_u32_e32 v15, vcc, v20, v17, vcc
	v_cmp_ge_i64_e32 vcc, v[14:15], v[10:11]
	v_max3_f32 v5, v5, v19, v21
	v_max3_f32 v5, v5, v18, v24
	s_orn2_b64 s[42:43], vcc, exec
	s_branch .LBB53_18
.LBB53_25:
	s_or_b64 exec, exec, s[28:29]
.LBB53_26:
	s_or_b64 exec, exec, s[22:23]
	s_lshr_b32 s7, s45, 6
	v_cvt_f32_u32_e32 v10, s7
	v_lshlrev_b32_e32 v1, 2, v0
	ds_write_b32 v1, v5
	s_sub_i32 s22, 0, s7
	v_rcp_iflag_f32_e32 v5, v10
	s_add_i32 s13, s18, s7
	s_add_i32 s13, s13, -1
	s_ashr_i32 s16, s13, 31
	v_mul_f32_e32 v5, 0x4f7ffffe, v5
	v_cvt_u32_f32_e32 v5, v5
	s_abs_i32 s13, s13
	s_ashr_i32 s19, s18, 31
	s_waitcnt lgkmcnt(0)
	v_readfirstlane_b32 s23, v5
	s_mul_i32 s22, s22, s23
	s_mul_hi_u32 s22, s23, s22
	s_add_i32 s23, s23, s22
	s_mul_hi_u32 s22, s13, s23
	s_mul_i32 s23, s22, s7
	s_sub_i32 s13, s13, s23
	s_add_i32 s23, s22, 1
	s_sub_i32 s24, s13, s7
	s_cmp_ge_u32 s13, s7
	s_cselect_b32 s22, s23, s22
	s_cselect_b32 s13, s24, s13
	s_add_i32 s23, s22, 1
	s_cmp_ge_u32 s13, s7
	s_cselect_b32 s13, s23, s22
	s_xor_b32 s13, s13, s16
	s_sub_i32 s22, s13, s16
	s_ashr_i32 s23, s22, 31
	v_cmp_lt_i64_e64 s[24:25], s[22:23], 1
	s_and_b64 vcc, exec, s[24:25]
	s_barrier
	s_cbranch_vccnz .LBB53_48
; %bb.27:
	v_and_b32_e32 v12, 63, v0
	v_add_co_u32_e32 v14, vcc, 32, v12
	v_addc_co_u32_e64 v15, s[24:25], 0, 0, vcc
	v_add_co_u32_e32 v16, vcc, 16, v12
	v_addc_co_u32_e64 v17, s[24:25], 0, 0, vcc
	v_add_co_u32_e32 v18, vcc, 8, v12
	v_lshrrev_b32_e32 v10, 6, v0
	v_addc_co_u32_e64 v19, s[24:25], 0, 0, vcc
	v_add_co_u32_e32 v20, vcc, 4, v12
	v_addc_co_u32_e64 v21, s[24:25], 0, 0, vcc
	v_add_co_u32_e32 v22, vcc, 2, v12
	v_mul_lo_u32 v5, s2, v10
	v_addc_co_u32_e64 v23, s[24:25], 0, 0, vcc
	v_add_co_u32_e32 v24, vcc, 1, v12
	v_lshlrev_b32_e32 v5, 2, v5
	v_lshlrev_b32_e32 v26, 2, v12
	s_movk_i32 s13, 0x100
	v_mov_b32_e32 v11, 0
	v_addc_co_u32_e64 v25, s[24:25], 0, 0, vcc
	v_add3_u32 v5, v5, v26, s13
	s_mul_i32 s13, s2, s7
	v_mov_b32_e32 v13, v11
	s_lshl_b32 s13, s13, 2
	s_mov_b64 s[24:25], 0
	v_mov_b32_e32 v37, s7
	s_mov_b64 s[26:27], src_shared_base
	s_branch .LBB53_30
.LBB53_28:                              ;   in Loop: Header=BB53_30 Depth=1
	s_or_b64 exec, exec, s[30:31]
	v_mov_b32_e32 v27, s27
	flat_load_dword v26, v[26:27] glc
	s_waitcnt vmcnt(0)
.LBB53_29:                              ;   in Loop: Header=BB53_30 Depth=1
	s_or_b64 exec, exec, s[28:29]
	s_add_u32 s24, s24, 1
	s_addc_u32 s25, s25, 0
	s_cmp_eq_u64 s[24:25], s[22:23]
	v_add_u32_e32 v5, s13, v5
	s_cbranch_scc1 .LBB53_48
.LBB53_30:                              ; =>This Loop Header: Depth=1
                                        ;     Child Loop BB53_33 Depth 2
	v_mad_u64_u32 v[30:31], s[28:29], s24, v37, v[10:11]
	s_mul_i32 s16, s25, s7
	v_add_u32_e32 v31, s16, v31
	v_cmp_gt_i64_e32 vcc, s[18:19], v[30:31]
	s_and_saveexec_b64 s[28:29], vcc
	s_cbranch_execz .LBB53_29
; %bb.31:                               ;   in Loop: Header=BB53_30 Depth=1
	v_pk_mov_b32 v[32:33], s[2:3], s[2:3] op_sel:[0,1]
	v_mul_lo_u32 v29, v31, s2
	v_mul_lo_u32 v38, v30, s3
	v_mad_u64_u32 v[32:33], s[30:31], v30, s2, v[32:33]
	v_add3_u32 v33, v29, v33, v38
	v_mov_b32_e32 v28, s21
	v_cmp_gt_i64_e32 vcc, s[20:21], v[32:33]
	s_waitcnt lgkmcnt(0)
	v_mad_u64_u32 v[26:27], s[30:31], v30, s2, v[12:13]
	v_cndmask_b32_e32 v33, v28, v33, vcc
	v_mov_b32_e32 v28, s17
	v_add3_u32 v27, v29, v27, v38
	v_cndmask_b32_e32 v32, v28, v32, vcc
	v_add_co_u32_e32 v34, vcc, 64, v26
	v_addc_co_u32_e32 v35, vcc, 0, v27, vcc
	v_cmp_lt_i64_e32 vcc, v[34:35], v[32:33]
	v_lshlrev_b32_e32 v28, 2, v26
	s_and_saveexec_b64 s[30:31], vcc
	s_cbranch_execz .LBB53_34
; %bb.32:                               ;   in Loop: Header=BB53_30 Depth=1
	ds_read_b32 v31, v28
	s_mov_b64 s[34:35], 0
	v_mov_b32_e32 v27, v5
.LBB53_33:                              ;   Parent Loop BB53_30 Depth=1
                                        ; =>  This Inner Loop Header: Depth=2
	ds_read_b32 v39, v27
	v_add_co_u32_e32 v34, vcc, 64, v34
	v_addc_co_u32_e32 v35, vcc, 0, v35, vcc
	s_waitcnt lgkmcnt(1)
	v_max_f32_e32 v31, v31, v31
	v_cmp_ge_i64_e32 vcc, v[34:35], v[32:33]
	s_waitcnt lgkmcnt(0)
	v_max_f32_e32 v39, v39, v39
	v_add_u32_e32 v27, 0x100, v27
	s_or_b64 s[34:35], vcc, s[34:35]
	v_max_f32_e32 v31, v31, v39
	ds_write_b32 v28, v31
	s_andn2_b64 exec, exec, s[34:35]
	s_cbranch_execnz .LBB53_33
.LBB53_34:                              ;   in Loop: Header=BB53_30 Depth=1
	s_or_b64 exec, exec, s[30:31]
	v_mad_u64_u32 v[30:31], s[30:31], v30, s2, 0
	v_add3_u32 v27, v31, v38, v29
	v_sub_co_u32_e32 v30, vcc, v32, v30
	v_subb_co_u32_e32 v31, vcc, v33, v27, vcc
	v_cmp_gt_i64_e32 vcc, 64, v[30:31]
	v_cndmask_b32_e32 v31, 0, v31, vcc
	v_cndmask_b32_e32 v30, 64, v30, vcc
	v_cmp_lt_i64_e32 vcc, v[14:15], v[30:31]
	s_and_saveexec_b64 s[30:31], vcc
	s_cbranch_execnz .LBB53_46
; %bb.35:                               ;   in Loop: Header=BB53_30 Depth=1
	s_or_b64 exec, exec, s[30:31]
	v_cmp_lt_i64_e32 vcc, v[16:17], v[30:31]
	s_and_saveexec_b64 s[30:31], vcc
	s_cbranch_execnz .LBB53_47
.LBB53_36:                              ;   in Loop: Header=BB53_30 Depth=1
	s_or_b64 exec, exec, s[30:31]
	v_cmp_lt_i64_e32 vcc, v[18:19], v[30:31]
	s_and_saveexec_b64 s[30:31], vcc
	s_cbranch_execz .LBB53_38
.LBB53_37:                              ;   in Loop: Header=BB53_30 Depth=1
	v_mov_b32_e32 v29, s27
	v_add_u32_e32 v32, 32, v28
	v_mov_b32_e32 v33, s27
	flat_load_dword v27, v[28:29] glc
	s_waitcnt vmcnt(0)
	flat_load_dword v34, v[32:33] glc
	s_waitcnt vmcnt(0) lgkmcnt(0)
	v_max_f32_e32 v27, v27, v27
	v_max_f32_e32 v32, v34, v34
	;; [unrolled: 1-line block ×3, first 2 shown]
	flat_store_dword v[28:29], v27
	s_waitcnt vmcnt(0)
.LBB53_38:                              ;   in Loop: Header=BB53_30 Depth=1
	s_or_b64 exec, exec, s[30:31]
	v_cmp_ge_i64_e32 vcc, v[20:21], v[30:31]
	s_and_saveexec_b64 s[30:31], vcc
	s_xor_b64 s[30:31], exec, s[30:31]
; %bb.39:                               ;   in Loop: Header=BB53_30 Depth=1
                                        ; implicit-def: $vgpr28
; %bb.40:                               ;   in Loop: Header=BB53_30 Depth=1
	s_andn2_saveexec_b64 s[30:31], s[30:31]
	s_cbranch_execz .LBB53_42
; %bb.41:                               ;   in Loop: Header=BB53_30 Depth=1
	v_mov_b32_e32 v29, s27
	v_add_u32_e32 v32, 16, v28
	v_mov_b32_e32 v33, s27
	flat_load_dword v27, v[28:29] glc
	s_waitcnt vmcnt(0)
	flat_load_dword v34, v[32:33] glc
	s_waitcnt vmcnt(0) lgkmcnt(0)
	v_max_f32_e32 v27, v27, v27
	v_max_f32_e32 v32, v34, v34
	;; [unrolled: 1-line block ×3, first 2 shown]
	flat_store_dword v[28:29], v27
	s_waitcnt vmcnt(0)
.LBB53_42:                              ;   in Loop: Header=BB53_30 Depth=1
	s_or_b64 exec, exec, s[30:31]
	v_cmp_lt_i64_e32 vcc, v[22:23], v[30:31]
	v_lshlrev_b32_e32 v26, 2, v26
	s_and_saveexec_b64 s[30:31], vcc
	s_cbranch_execz .LBB53_44
; %bb.43:                               ;   in Loop: Header=BB53_30 Depth=1
	v_mov_b32_e32 v27, s27
	v_add_u32_e32 v28, 8, v26
	v_mov_b32_e32 v29, s27
	flat_load_dword v32, v[26:27] glc
	s_waitcnt vmcnt(0)
	flat_load_dword v33, v[28:29] glc
	s_waitcnt vmcnt(0) lgkmcnt(0)
	v_max_f32_e32 v28, v32, v32
	v_max_f32_e32 v29, v33, v33
	;; [unrolled: 1-line block ×3, first 2 shown]
	flat_store_dword v[26:27], v28
	s_waitcnt vmcnt(0)
.LBB53_44:                              ;   in Loop: Header=BB53_30 Depth=1
	s_or_b64 exec, exec, s[30:31]
	v_cmp_lt_i64_e32 vcc, v[24:25], v[30:31]
	s_and_saveexec_b64 s[30:31], vcc
	s_cbranch_execz .LBB53_28
; %bb.45:                               ;   in Loop: Header=BB53_30 Depth=1
	v_mov_b32_e32 v27, s27
	v_add_u32_e32 v28, 4, v26
	v_mov_b32_e32 v29, s27
	flat_load_dword v30, v[26:27] glc
	s_waitcnt vmcnt(0)
	flat_load_dword v31, v[28:29] glc
	s_waitcnt vmcnt(0) lgkmcnt(0)
	v_max_f32_e32 v28, v30, v30
	v_max_f32_e32 v29, v31, v31
	;; [unrolled: 1-line block ×3, first 2 shown]
	flat_store_dword v[26:27], v28
	s_waitcnt vmcnt(0)
	s_branch .LBB53_28
.LBB53_46:                              ;   in Loop: Header=BB53_30 Depth=1
	v_mov_b32_e32 v29, s27
	v_add_u32_e32 v32, 0x80, v28
	v_mov_b32_e32 v33, s27
	flat_load_dword v27, v[28:29] glc
	s_waitcnt vmcnt(0)
	flat_load_dword v34, v[32:33] glc
	s_waitcnt vmcnt(0) lgkmcnt(0)
	v_max_f32_e32 v27, v27, v27
	v_max_f32_e32 v32, v34, v34
	;; [unrolled: 1-line block ×3, first 2 shown]
	flat_store_dword v[28:29], v27
	s_waitcnt vmcnt(0)
	s_or_b64 exec, exec, s[30:31]
	v_cmp_lt_i64_e32 vcc, v[16:17], v[30:31]
	s_and_saveexec_b64 s[30:31], vcc
	s_cbranch_execz .LBB53_36
.LBB53_47:                              ;   in Loop: Header=BB53_30 Depth=1
	v_mov_b32_e32 v29, s27
	v_add_u32_e32 v32, 64, v28
	v_mov_b32_e32 v33, s27
	flat_load_dword v27, v[28:29] glc
	s_waitcnt vmcnt(0)
	flat_load_dword v34, v[32:33] glc
	s_waitcnt vmcnt(0) lgkmcnt(0)
	v_max_f32_e32 v27, v27, v27
	v_max_f32_e32 v32, v34, v34
	;; [unrolled: 1-line block ×3, first 2 shown]
	flat_store_dword v[28:29], v27
	s_waitcnt vmcnt(0)
	s_or_b64 exec, exec, s[30:31]
	v_cmp_lt_i64_e32 vcc, v[18:19], v[30:31]
	s_and_saveexec_b64 s[30:31], vcc
	s_cbranch_execnz .LBB53_37
	s_branch .LBB53_38
.LBB53_48:
	v_cmp_eq_u32_e32 vcc, 0, v4
	v_cmp_lt_i64_e64 s[2:3], v[6:7], v[8:9]
	s_and_b64 s[22:23], vcc, s[2:3]
	s_mul_i32 s7, s19, s6
	s_mul_hi_u32 s16, s18, s6
	s_mul_i32 s2, s18, s6
	s_waitcnt lgkmcnt(0)
	s_barrier
	s_and_saveexec_b64 s[18:19], s[22:23]
	s_cbranch_execz .LBB53_52
; %bb.49:
	s_load_dwordx2 s[4:5], s[4:5], 0x20
	ds_read_b32 v1, v1
	s_waitcnt lgkmcnt(0)
	s_cmp_eq_u64 s[4:5], 0
	s_cbranch_scc1 .LBB53_51
; %bb.50:
	s_load_dword s3, s[4:5], 0x0
	v_max_f32_e32 v1, v1, v1
	s_waitcnt lgkmcnt(0)
	v_max_f32_e64 v4, s3, s3
	v_min_f32_e32 v1, v1, v4
.LBB53_51:
	s_mov_b32 s3, 0x42fe0000
	v_div_scale_f32 v4, s[4:5], s3, s3, v1
	v_rcp_f32_e32 v5, v4
	v_div_scale_f32 v6, vcc, v1, s3, v1
	v_lshlrev_b64 v[2:3], 2, v[2:3]
	v_fma_f32 v7, -v4, v5, 1.0
	v_fmac_f32_e32 v5, v7, v5
	v_mul_f32_e32 v7, v6, v5
	v_fma_f32 v8, -v4, v7, v6
	v_fmac_f32_e32 v7, v8, v5
	v_fma_f32 v4, -v4, v7, v6
	v_div_fmas_f32 v4, v4, v5, v7
	v_div_fixup_f32 v1, v4, s3, v1
	s_add_i32 s3, s16, s7
	s_lshl_b64 s[4:5], s[2:3], 2
	s_add_u32 s3, s10, s4
	s_addc_u32 s4, s11, s5
	v_mov_b32_e32 v4, s4
	v_add_co_u32_e32 v2, vcc, s3, v2
	v_max_f32_e32 v1, 0x34000000, v1
	v_addc_co_u32_e32 v3, vcc, v4, v3, vcc
	global_store_dword v[2:3], v1, off
.LBB53_52:
	s_or_b64 exec, exec, s[18:19]
	s_barrier
	s_and_saveexec_b64 s[4:5], s[0:1]
	s_cbranch_execz .LBB53_61
; %bb.53:
	s_mul_i32 s0, s21, s6
	s_mul_hi_u32 s1, s17, s6
	s_add_i32 s1, s1, s0
	s_mul_i32 s0, s17, s6
	s_add_u32 s13, s8, s0
	s_addc_u32 s20, s9, s1
	s_add_i32 s3, s16, s7
	s_lshl_b64 s[0:1], s[2:3], 2
	s_add_u32 s2, s10, s0
	s_addc_u32 s3, s11, s1
	s_add_i32 s25, s45, s45
	s_mul_i32 s21, s45, 3
	s_lshl_b32 s22, s45, 1
	s_mov_b64 s[4:5], 0
	v_mov_b32_e32 v1, 0
	v_mov_b32_e32 v6, s44
	;; [unrolled: 1-line block ×3, first 2 shown]
	s_mov_b32 s23, 0x42fe0000
	v_mov_b32_e32 v8, 0x42fe0000
	s_mov_b32 s24, 0xc3000000
	v_mov_b32_e32 v9, 0xc3000000
	v_mov_b32_e32 v10, s20
	s_add_i32 s25, s25, s45
	v_mov_b32_e32 v11, 8
                                        ; implicit-def: $sgpr6_sgpr7
	s_branch .LBB53_57
.LBB53_54:                              ;   in Loop: Header=BB53_57 Depth=1
	s_or_b64 exec, exec, s[16:17]
	s_orn2_b64 s[16:17], s[18:19], exec
.LBB53_55:                              ;   in Loop: Header=BB53_57 Depth=1
	s_or_b64 exec, exec, s[10:11]
	s_andn2_b64 s[0:1], s[6:7], exec
	s_and_b64 s[6:7], s[16:17], exec
	s_or_b64 s[6:7], s[0:1], s[6:7]
.LBB53_56:                              ;   in Loop: Header=BB53_57 Depth=1
	s_or_b64 exec, exec, s[8:9]
	s_and_b64 s[0:1], exec, s[6:7]
	s_or_b64 s[4:5], s[0:1], s[4:5]
	s_andn2_b64 exec, exec, s[4:5]
	s_cbranch_execz .LBB53_61
.LBB53_57:                              ; =>This Inner Loop Header: Depth=1
	v_lshrrev_b32_e32 v4, 3, v0
	v_lshlrev_b64 v[2:3], 3, v[0:1]
	v_and_b32_e32 v4, 0x7fffffc, v4
	global_load_dword v16, v4, s[2:3]
	v_add_co_u32_e32 v4, vcc, s33, v2
	v_addc_co_u32_e32 v5, vcc, v6, v3, vcc
	v_add_co_u32_e32 v2, vcc, s14, v2
	global_load_dwordx2 v[4:5], v[4:5], off
	v_addc_co_u32_e32 v3, vcc, v7, v3, vcc
	global_load_dwordx2 v[12:13], v[2:3], off
	v_lshlrev_b64 v[14:15], 2, v[0:1]
	v_add_co_u32_e32 v14, vcc, s13, v14
	v_addc_co_u32_e32 v15, vcc, v10, v15, vcc
	v_add_u32_e32 v2, s45, v0
	v_cmp_gt_u32_e64 s[0:1], s12, v2
	s_or_b64 s[6:7], s[6:7], exec
	s_waitcnt vmcnt(2)
	v_div_scale_f32 v3, s[8:9], v16, v16, 1.0
	v_rcp_f32_e32 v20, v3
	v_div_scale_f32 v17, vcc, 1.0, v16, 1.0
	s_waitcnt vmcnt(1)
	v_fma_mixlo_f16 v18, v36, v4, 0 op_sel_hi:[0,1,0]
	v_fma_mixlo_f16 v4, v36, v4, 0 op_sel:[0,1,0] op_sel_hi:[0,1,0]
	v_fma_mixlo_f16 v19, v36, v5, 0 op_sel_hi:[0,1,0]
	v_fma_mixlo_f16 v5, v36, v5, 0 op_sel:[0,1,0] op_sel_hi:[0,1,0]
	s_waitcnt vmcnt(0)
	v_mul_f16_e32 v18, v12, v18
	v_mul_f16_sdwa v4, v12, v4 dst_sel:DWORD dst_unused:UNUSED_PAD src0_sel:WORD_1 src1_sel:DWORD
	v_mul_f16_e32 v12, v13, v19
	v_mul_f16_sdwa v5, v13, v5 dst_sel:DWORD dst_unused:UNUSED_PAD src0_sel:WORD_1 src1_sel:DWORD
	v_cvt_f32_f16_e32 v13, v18
	v_fma_f32 v18, -v3, v20, 1.0
	v_fmac_f32_e32 v20, v18, v20
	v_mul_f32_e32 v18, v17, v20
	v_fma_f32 v19, -v3, v18, v17
	v_fmac_f32_e32 v18, v19, v20
	v_cvt_f32_f16_e32 v4, v4
	v_cvt_f32_f16_e32 v12, v12
	v_cvt_f32_f16_e32 v5, v5
	v_fma_f32 v3, -v3, v18, v17
	v_div_fmas_f32 v3, v3, v20, v18
	v_div_fixup_f32 v3, v3, v16, 1.0
	v_mul_f32_e32 v13, v3, v13
	v_mul_f32_e32 v4, v3, v4
	;; [unrolled: 1-line block ×4, first 2 shown]
	v_rndne_f32_e32 v5, v13
	v_rndne_f32_e32 v4, v4
	v_cmp_nlt_f32_e32 vcc, s23, v5
	v_rndne_f32_e32 v12, v12
	v_cndmask_b32_e32 v13, v8, v5, vcc
	v_cmp_nlt_f32_e32 vcc, s23, v4
	v_rndne_f32_e32 v3, v3
	v_cndmask_b32_e32 v16, v8, v4, vcc
	v_cmp_nlt_f32_e32 vcc, s23, v12
	v_cndmask_b32_e32 v17, v8, v12, vcc
	v_cmp_nlt_f32_e32 vcc, s23, v3
	v_cndmask_b32_e32 v18, v8, v3, vcc
	v_cmp_ngt_f32_e32 vcc, s24, v5
	v_cndmask_b32_e32 v5, v9, v13, vcc
	v_cmp_ngt_f32_e32 vcc, s24, v4
	;; [unrolled: 2-line block ×4, first 2 shown]
	v_cvt_i32_f32_e32 v12, v12
	v_cndmask_b32_e32 v3, v9, v18, vcc
	v_cvt_i32_f32_e32 v4, v4
	v_cvt_i32_f32_e32 v5, v5
	;; [unrolled: 1-line block ×3, first 2 shown]
	v_and_b32_e32 v12, 0xff, v12
	v_lshlrev_b32_e32 v12, 16, v12
	v_lshlrev_b32_sdwa v4, v11, v4 dst_sel:DWORD dst_unused:UNUSED_PAD src0_sel:DWORD src1_sel:BYTE_0
	v_and_b32_e32 v5, 0xff, v5
	v_lshl_or_b32 v3, v3, 24, v12
	v_or3_b32 v3, v3, v4, v5
	global_store_dword v[14:15], v3, off
	s_and_saveexec_b64 s[8:9], s[0:1]
	s_cbranch_execz .LBB53_56
; %bb.58:                               ;   in Loop: Header=BB53_57 Depth=1
	v_mov_b32_e32 v3, v1
	v_lshrrev_b32_e32 v12, 3, v2
	v_lshlrev_b64 v[4:5], 3, v[2:3]
	v_and_b32_e32 v12, 0x7fffffc, v12
	global_load_dword v18, v12, s[2:3]
	v_add_co_u32_e32 v12, vcc, s33, v4
	v_addc_co_u32_e32 v13, vcc, v6, v5, vcc
	v_add_co_u32_e32 v4, vcc, s14, v4
	global_load_dwordx2 v[12:13], v[12:13], off
	v_addc_co_u32_e32 v5, vcc, v7, v5, vcc
	global_load_dwordx2 v[14:15], v[4:5], off
	v_lshlrev_b64 v[16:17], 2, v[2:3]
	v_add_co_u32_e32 v16, vcc, s13, v16
	v_addc_co_u32_e32 v17, vcc, v10, v17, vcc
	v_add_u32_e32 v4, s22, v0
	v_cmp_gt_u32_e64 s[0:1], s12, v4
	s_mov_b64 s[16:17], -1
	s_waitcnt vmcnt(2)
	v_div_scale_f32 v3, s[10:11], v18, v18, 1.0
	v_rcp_f32_e32 v19, v3
	v_div_scale_f32 v5, vcc, 1.0, v18, 1.0
	s_waitcnt vmcnt(1)
	v_fma_mixlo_f16 v20, v36, v12, 0 op_sel_hi:[0,1,0]
	v_fma_mixlo_f16 v12, v36, v12, 0 op_sel:[0,1,0] op_sel_hi:[0,1,0]
	v_fma_mixlo_f16 v21, v36, v13, 0 op_sel_hi:[0,1,0]
	v_fma_mixlo_f16 v13, v36, v13, 0 op_sel:[0,1,0] op_sel_hi:[0,1,0]
	s_waitcnt vmcnt(0)
	v_mul_f16_e32 v20, v14, v20
	v_mul_f16_sdwa v12, v14, v12 dst_sel:DWORD dst_unused:UNUSED_PAD src0_sel:WORD_1 src1_sel:DWORD
	v_mul_f16_e32 v14, v15, v21
	v_mul_f16_sdwa v13, v15, v13 dst_sel:DWORD dst_unused:UNUSED_PAD src0_sel:WORD_1 src1_sel:DWORD
	v_cvt_f32_f16_e32 v15, v20
	v_fma_f32 v20, -v3, v19, 1.0
	v_fmac_f32_e32 v19, v20, v19
	v_mul_f32_e32 v20, v5, v19
	v_fma_f32 v21, -v3, v20, v5
	v_fmac_f32_e32 v20, v21, v19
	v_cvt_f32_f16_e32 v12, v12
	v_fma_f32 v3, -v3, v20, v5
	v_cvt_f32_f16_e32 v14, v14
	v_div_fmas_f32 v3, v3, v19, v20
	v_cvt_f32_f16_e32 v13, v13
	v_div_fixup_f32 v3, v3, v18, 1.0
	v_mul_f32_e32 v5, v3, v15
	v_mul_f32_e32 v12, v3, v12
	v_rndne_f32_e32 v5, v5
	v_mul_f32_e32 v14, v3, v14
	v_rndne_f32_e32 v12, v12
	v_cmp_nlt_f32_e32 vcc, s23, v5
	v_mul_f32_e32 v3, v3, v13
	v_rndne_f32_e32 v13, v14
	v_cndmask_b32_e32 v14, v8, v5, vcc
	v_cmp_nlt_f32_e32 vcc, s23, v12
	v_rndne_f32_e32 v3, v3
	v_cndmask_b32_e32 v15, v8, v12, vcc
	v_cmp_nlt_f32_e32 vcc, s23, v13
	v_cndmask_b32_e32 v18, v8, v13, vcc
	v_cmp_nlt_f32_e32 vcc, s23, v3
	v_cndmask_b32_e32 v19, v8, v3, vcc
	v_cmp_ngt_f32_e32 vcc, s24, v5
	v_cndmask_b32_e32 v5, v9, v14, vcc
	v_cmp_ngt_f32_e32 vcc, s24, v12
	;; [unrolled: 2-line block ×4, first 2 shown]
	v_cvt_i32_f32_e32 v13, v13
	v_cndmask_b32_e32 v3, v9, v19, vcc
	v_cvt_i32_f32_e32 v12, v12
	v_cvt_i32_f32_e32 v5, v5
	;; [unrolled: 1-line block ×3, first 2 shown]
	v_and_b32_e32 v13, 0xff, v13
	v_lshlrev_b32_e32 v13, 16, v13
	v_lshlrev_b32_sdwa v12, v11, v12 dst_sel:DWORD dst_unused:UNUSED_PAD src0_sel:DWORD src1_sel:BYTE_0
	v_and_b32_e32 v5, 0xff, v5
	v_lshl_or_b32 v3, v3, 24, v13
	v_or3_b32 v3, v3, v12, v5
	global_store_dword v[16:17], v3, off
	s_and_saveexec_b64 s[10:11], s[0:1]
	s_cbranch_execz .LBB53_55
; %bb.59:                               ;   in Loop: Header=BB53_57 Depth=1
	v_mov_b32_e32 v5, v1
	v_lshrrev_b32_e32 v14, 3, v4
	v_lshlrev_b64 v[12:13], 3, v[4:5]
	v_and_b32_e32 v14, 0x7fffffc, v14
	v_mov_b32_e32 v3, s44
	global_load_dword v16, v14, s[2:3]
	v_add_co_u32_e32 v14, vcc, s33, v12
	v_addc_co_u32_e32 v15, vcc, v3, v13, vcc
	v_mov_b32_e32 v3, s15
	v_add_co_u32_e32 v12, vcc, s14, v12
	global_load_dwordx2 v[14:15], v[14:15], off
	v_addc_co_u32_e32 v13, vcc, v3, v13, vcc
	global_load_dwordx2 v[12:13], v[12:13], off
	v_lshlrev_b64 v[4:5], 2, v[4:5]
	v_mov_b32_e32 v3, s20
	v_add_co_u32_e32 v4, vcc, s13, v4
	v_addc_co_u32_e32 v5, vcc, v3, v5, vcc
	v_add_u32_e32 v0, s21, v0
	v_cmp_gt_u32_e64 s[0:1], s12, v0
	s_mov_b64 s[18:19], -1
	s_waitcnt vmcnt(2)
	v_div_scale_f32 v3, s[16:17], v16, v16, 1.0
	v_rcp_f32_e32 v18, v3
	v_div_scale_f32 v17, vcc, 1.0, v16, 1.0
	s_waitcnt vmcnt(1)
	v_fma_mixlo_f16 v19, v36, v14, 0 op_sel_hi:[0,1,0]
	v_fma_mixlo_f16 v14, v36, v14, 0 op_sel:[0,1,0] op_sel_hi:[0,1,0]
	v_fma_mixlo_f16 v20, v36, v15, 0 op_sel_hi:[0,1,0]
	v_fma_mixlo_f16 v15, v36, v15, 0 op_sel:[0,1,0] op_sel_hi:[0,1,0]
	s_waitcnt vmcnt(0)
	v_mul_f16_e32 v19, v12, v19
	v_mul_f16_sdwa v12, v12, v14 dst_sel:DWORD dst_unused:UNUSED_PAD src0_sel:WORD_1 src1_sel:DWORD
	v_mul_f16_e32 v14, v13, v20
	v_mul_f16_sdwa v13, v13, v15 dst_sel:DWORD dst_unused:UNUSED_PAD src0_sel:WORD_1 src1_sel:DWORD
	v_cvt_f32_f16_e32 v15, v19
	v_fma_f32 v19, -v3, v18, 1.0
	v_fmac_f32_e32 v18, v19, v18
	v_mul_f32_e32 v19, v17, v18
	v_fma_f32 v20, -v3, v19, v17
	v_fmac_f32_e32 v19, v20, v18
	v_cvt_f32_f16_e32 v12, v12
	v_cvt_f32_f16_e32 v14, v14
	;; [unrolled: 1-line block ×3, first 2 shown]
	v_fma_f32 v3, -v3, v19, v17
	v_div_fmas_f32 v3, v3, v18, v19
	v_div_fixup_f32 v3, v3, v16, 1.0
	v_mul_f32_e32 v15, v3, v15
	v_mul_f32_e32 v12, v3, v12
	;; [unrolled: 1-line block ×4, first 2 shown]
	v_rndne_f32_e32 v13, v15
	v_rndne_f32_e32 v12, v12
	v_cmp_nlt_f32_e32 vcc, s23, v13
	v_rndne_f32_e32 v14, v14
	v_cndmask_b32_e32 v15, v8, v13, vcc
	v_cmp_nlt_f32_e32 vcc, s23, v12
	v_rndne_f32_e32 v3, v3
	v_cndmask_b32_e32 v16, v8, v12, vcc
	v_cmp_nlt_f32_e32 vcc, s23, v14
	v_cndmask_b32_e32 v17, v8, v14, vcc
	v_cmp_nlt_f32_e32 vcc, s23, v3
	v_cndmask_b32_e32 v18, v8, v3, vcc
	v_cmp_ngt_f32_e32 vcc, s24, v13
	v_cndmask_b32_e32 v13, v9, v15, vcc
	v_cmp_ngt_f32_e32 vcc, s24, v12
	;; [unrolled: 2-line block ×4, first 2 shown]
	v_cvt_i32_f32_e32 v14, v14
	v_cndmask_b32_e32 v3, v9, v18, vcc
	v_cvt_i32_f32_e32 v12, v12
	v_cvt_i32_f32_e32 v13, v13
	;; [unrolled: 1-line block ×3, first 2 shown]
	v_and_b32_e32 v14, 0xff, v14
	v_lshlrev_b32_e32 v14, 16, v14
	v_lshlrev_b32_sdwa v12, v11, v12 dst_sel:DWORD dst_unused:UNUSED_PAD src0_sel:DWORD src1_sel:BYTE_0
	v_and_b32_e32 v13, 0xff, v13
	v_lshl_or_b32 v3, v3, 24, v14
	v_or3_b32 v3, v3, v12, v13
	global_store_dword v[4:5], v3, off
	s_and_saveexec_b64 s[16:17], s[0:1]
	s_cbranch_execz .LBB53_54
; %bb.60:                               ;   in Loop: Header=BB53_57 Depth=1
	v_lshrrev_b32_e32 v12, 3, v0
	v_lshlrev_b64 v[4:5], 3, v[0:1]
	v_and_b32_e32 v12, 0x7fffffc, v12
	v_mov_b32_e32 v3, s44
	global_load_dword v16, v12, s[2:3]
	v_add_co_u32_e32 v12, vcc, s33, v4
	v_addc_co_u32_e32 v13, vcc, v3, v5, vcc
	v_mov_b32_e32 v3, s15
	v_add_co_u32_e32 v4, vcc, s14, v4
	global_load_dwordx2 v[12:13], v[12:13], off
	v_addc_co_u32_e32 v5, vcc, v3, v5, vcc
	global_load_dwordx2 v[4:5], v[4:5], off
	v_lshlrev_b64 v[14:15], 2, v[0:1]
	v_add_u32_e32 v0, s25, v2
	v_add_co_u32_e32 v2, vcc, s13, v14
	v_mov_b32_e32 v3, s20
	v_addc_co_u32_e32 v3, vcc, v3, v15, vcc
	v_cmp_le_u32_e64 s[0:1], s12, v0
	s_waitcnt vmcnt(2)
	v_div_scale_f32 v14, s[18:19], v16, v16, 1.0
	v_rcp_f32_e32 v19, v14
	v_div_scale_f32 v15, vcc, 1.0, v16, 1.0
	s_orn2_b64 s[18:19], s[0:1], exec
	s_waitcnt vmcnt(1)
	v_fma_mixlo_f16 v17, v36, v12, 0 op_sel_hi:[0,1,0]
	v_fma_mixlo_f16 v12, v36, v12, 0 op_sel:[0,1,0] op_sel_hi:[0,1,0]
	v_fma_mixlo_f16 v18, v36, v13, 0 op_sel_hi:[0,1,0]
	v_fma_mixlo_f16 v13, v36, v13, 0 op_sel:[0,1,0] op_sel_hi:[0,1,0]
	s_waitcnt vmcnt(0)
	v_mul_f16_e32 v17, v4, v17
	v_mul_f16_sdwa v4, v4, v12 dst_sel:DWORD dst_unused:UNUSED_PAD src0_sel:WORD_1 src1_sel:DWORD
	v_mul_f16_e32 v12, v5, v18
	v_mul_f16_sdwa v5, v5, v13 dst_sel:DWORD dst_unused:UNUSED_PAD src0_sel:WORD_1 src1_sel:DWORD
	v_cvt_f32_f16_e32 v13, v17
	v_fma_f32 v17, -v14, v19, 1.0
	v_fmac_f32_e32 v19, v17, v19
	v_mul_f32_e32 v17, v15, v19
	v_fma_f32 v18, -v14, v17, v15
	v_fmac_f32_e32 v17, v18, v19
	v_cvt_f32_f16_e32 v4, v4
	v_fma_f32 v14, -v14, v17, v15
	v_cvt_f32_f16_e32 v12, v12
	v_div_fmas_f32 v14, v14, v19, v17
	v_cvt_f32_f16_e32 v5, v5
	v_div_fixup_f32 v14, v14, v16, 1.0
	v_mul_f32_e32 v13, v14, v13
	v_mul_f32_e32 v4, v14, v4
	v_rndne_f32_e32 v13, v13
	v_mul_f32_e32 v12, v14, v12
	v_rndne_f32_e32 v4, v4
	v_cmp_nlt_f32_e32 vcc, s23, v13
	v_mul_f32_e32 v5, v14, v5
	v_rndne_f32_e32 v12, v12
	v_cndmask_b32_e32 v14, v8, v13, vcc
	v_cmp_nlt_f32_e32 vcc, s23, v4
	v_rndne_f32_e32 v5, v5
	v_cndmask_b32_e32 v15, v8, v4, vcc
	v_cmp_nlt_f32_e32 vcc, s23, v12
	v_cndmask_b32_e32 v16, v8, v12, vcc
	v_cmp_nlt_f32_e32 vcc, s23, v5
	v_cndmask_b32_e32 v17, v8, v5, vcc
	v_cmp_ngt_f32_e32 vcc, s24, v13
	v_cndmask_b32_e32 v13, v9, v14, vcc
	v_cmp_ngt_f32_e32 vcc, s24, v4
	;; [unrolled: 2-line block ×4, first 2 shown]
	v_cvt_i32_f32_e32 v12, v12
	v_cndmask_b32_e32 v5, v9, v17, vcc
	v_cvt_i32_f32_e32 v4, v4
	v_cvt_i32_f32_e32 v13, v13
	;; [unrolled: 1-line block ×3, first 2 shown]
	v_and_b32_e32 v12, 0xff, v12
	v_lshlrev_b32_e32 v12, 16, v12
	v_lshlrev_b32_sdwa v4, v11, v4 dst_sel:DWORD dst_unused:UNUSED_PAD src0_sel:DWORD src1_sel:BYTE_0
	v_and_b32_e32 v13, 0xff, v13
	v_lshl_or_b32 v5, v5, 24, v12
	v_or3_b32 v4, v5, v4, v13
	global_store_dword v[2:3], v4, off
	s_branch .LBB53_54
.LBB53_61:
	s_endpgm
	.section	.rodata,"a",@progbits
	.p2align	6, 0x0
	.amdhsa_kernel _ZN4vllm31rms_norm_per_block_quant_kernelIN3c104HalfEaLb0ELb0ELi128EEEvPT0_PfPKT_S8_PKffiiPS6_l
		.amdhsa_group_segment_fixed_size 4164
		.amdhsa_private_segment_fixed_size 0
		.amdhsa_kernarg_size 328
		.amdhsa_user_sgpr_count 6
		.amdhsa_user_sgpr_private_segment_buffer 1
		.amdhsa_user_sgpr_dispatch_ptr 0
		.amdhsa_user_sgpr_queue_ptr 0
		.amdhsa_user_sgpr_kernarg_segment_ptr 1
		.amdhsa_user_sgpr_dispatch_id 0
		.amdhsa_user_sgpr_flat_scratch_init 0
		.amdhsa_user_sgpr_kernarg_preload_length 0
		.amdhsa_user_sgpr_kernarg_preload_offset 0
		.amdhsa_user_sgpr_private_segment_size 0
		.amdhsa_uses_dynamic_stack 0
		.amdhsa_system_sgpr_private_segment_wavefront_offset 0
		.amdhsa_system_sgpr_workgroup_id_x 1
		.amdhsa_system_sgpr_workgroup_id_y 0
		.amdhsa_system_sgpr_workgroup_id_z 0
		.amdhsa_system_sgpr_workgroup_info 0
		.amdhsa_system_vgpr_workitem_id 0
		.amdhsa_next_free_vgpr 40
		.amdhsa_next_free_sgpr 46
		.amdhsa_accum_offset 40
		.amdhsa_reserve_vcc 1
		.amdhsa_reserve_flat_scratch 0
		.amdhsa_float_round_mode_32 0
		.amdhsa_float_round_mode_16_64 0
		.amdhsa_float_denorm_mode_32 3
		.amdhsa_float_denorm_mode_16_64 3
		.amdhsa_dx10_clamp 1
		.amdhsa_ieee_mode 1
		.amdhsa_fp16_overflow 0
		.amdhsa_tg_split 0
		.amdhsa_exception_fp_ieee_invalid_op 0
		.amdhsa_exception_fp_denorm_src 0
		.amdhsa_exception_fp_ieee_div_zero 0
		.amdhsa_exception_fp_ieee_overflow 0
		.amdhsa_exception_fp_ieee_underflow 0
		.amdhsa_exception_fp_ieee_inexact 0
		.amdhsa_exception_int_div_zero 0
	.end_amdhsa_kernel
	.section	.text._ZN4vllm31rms_norm_per_block_quant_kernelIN3c104HalfEaLb0ELb0ELi128EEEvPT0_PfPKT_S8_PKffiiPS6_l,"axG",@progbits,_ZN4vllm31rms_norm_per_block_quant_kernelIN3c104HalfEaLb0ELb0ELi128EEEvPT0_PfPKT_S8_PKffiiPS6_l,comdat
.Lfunc_end53:
	.size	_ZN4vllm31rms_norm_per_block_quant_kernelIN3c104HalfEaLb0ELb0ELi128EEEvPT0_PfPKT_S8_PKffiiPS6_l, .Lfunc_end53-_ZN4vllm31rms_norm_per_block_quant_kernelIN3c104HalfEaLb0ELb0ELi128EEEvPT0_PfPKT_S8_PKffiiPS6_l
                                        ; -- End function
	.section	.AMDGPU.csdata,"",@progbits
; Kernel info:
; codeLenInByte = 5784
; NumSgprs: 50
; NumVgprs: 40
; NumAgprs: 0
; TotalNumVgprs: 40
; ScratchSize: 0
; MemoryBound: 0
; FloatMode: 240
; IeeeMode: 1
; LDSByteSize: 4164 bytes/workgroup (compile time only)
; SGPRBlocks: 6
; VGPRBlocks: 4
; NumSGPRsForWavesPerEU: 50
; NumVGPRsForWavesPerEU: 40
; AccumOffset: 40
; Occupancy: 8
; WaveLimiterHint : 0
; COMPUTE_PGM_RSRC2:SCRATCH_EN: 0
; COMPUTE_PGM_RSRC2:USER_SGPR: 6
; COMPUTE_PGM_RSRC2:TRAP_HANDLER: 0
; COMPUTE_PGM_RSRC2:TGID_X_EN: 1
; COMPUTE_PGM_RSRC2:TGID_Y_EN: 0
; COMPUTE_PGM_RSRC2:TGID_Z_EN: 0
; COMPUTE_PGM_RSRC2:TIDIG_COMP_CNT: 0
; COMPUTE_PGM_RSRC3_GFX90A:ACCUM_OFFSET: 9
; COMPUTE_PGM_RSRC3_GFX90A:TG_SPLIT: 0
	.section	.text._ZN4vllm31rms_norm_per_block_quant_kernelIN3c104HalfENS1_13Float8_e4m3fnELb1ELb1ELi64EEEvPT0_PfPKT_S9_PKffiiPS7_l,"axG",@progbits,_ZN4vllm31rms_norm_per_block_quant_kernelIN3c104HalfENS1_13Float8_e4m3fnELb1ELb1ELi64EEEvPT0_PfPKT_S9_PKffiiPS7_l,comdat
	.protected	_ZN4vllm31rms_norm_per_block_quant_kernelIN3c104HalfENS1_13Float8_e4m3fnELb1ELb1ELi64EEEvPT0_PfPKT_S9_PKffiiPS7_l ; -- Begin function _ZN4vllm31rms_norm_per_block_quant_kernelIN3c104HalfENS1_13Float8_e4m3fnELb1ELb1ELi64EEEvPT0_PfPKT_S9_PKffiiPS7_l
	.globl	_ZN4vllm31rms_norm_per_block_quant_kernelIN3c104HalfENS1_13Float8_e4m3fnELb1ELb1ELi64EEEvPT0_PfPKT_S9_PKffiiPS7_l
	.p2align	8
	.type	_ZN4vllm31rms_norm_per_block_quant_kernelIN3c104HalfENS1_13Float8_e4m3fnELb1ELb1ELi64EEEvPT0_PfPKT_S9_PKffiiPS7_l,@function
_ZN4vllm31rms_norm_per_block_quant_kernelIN3c104HalfENS1_13Float8_e4m3fnELb1ELb1ELi64EEEvPT0_PfPKT_S9_PKffiiPS7_l: ; @_ZN4vllm31rms_norm_per_block_quant_kernelIN3c104HalfENS1_13Float8_e4m3fnELb1ELb1ELi64EEEvPT0_PfPKT_S9_PKffiiPS7_l
; %bb.0:
	s_load_dwordx4 s[16:19], s[4:5], 0x28
	s_load_dwordx8 s[8:15], s[4:5], 0x0
	s_load_dwordx2 s[0:1], s[4:5], 0x38
	s_load_dword s48, s[4:5], 0x48
	s_mov_b32 s7, 0
	s_waitcnt lgkmcnt(0)
	s_ashr_i32 s2, s18, 31
	s_mul_hi_u32 s3, s18, s6
	s_mul_i32 s2, s2, s6
	s_ashr_i32 s21, s17, 31
	s_add_i32 s3, s3, s2
	s_mul_i32 s2, s18, s6
	s_mul_hi_u32 s18, s17, s6
	s_mul_i32 s19, s21, s6
	s_add_i32 s19, s18, s19
	s_lshl_b64 s[2:3], s[2:3], 1
	s_mul_i32 s18, s17, s6
	s_add_u32 s33, s12, s2
	s_addc_u32 s44, s13, s3
	s_lshl_b64 s[2:3], s[18:19], 1
	s_add_u32 s45, s0, s2
	s_addc_u32 s46, s1, s3
	s_ashr_i32 s12, s17, 2
	s_add_u32 s22, s4, 0x48
	s_mov_b32 s20, s17
	v_cmp_gt_u32_e64 s[0:1], s12, v0
	s_addc_u32 s23, s5, 0
	v_mov_b32_e32 v1, 0
	s_and_saveexec_b64 s[2:3], s[0:1]
	s_cbranch_execz .LBB54_10
; %bb.1:
	s_cmp_lt_u32 s6, s48
	s_cselect_b32 s13, 12, 18
	s_add_u32 s24, s22, s13
	s_addc_u32 s25, s23, 0
	v_mov_b32_e32 v3, 0
	global_load_ushort v8, v3, s[24:25]
	s_mov_b64 s[24:25], 0
	v_mov_b32_e32 v9, s44
	v_mov_b32_e32 v10, s46
	;; [unrolled: 1-line block ×4, first 2 shown]
                                        ; implicit-def: $sgpr26_sgpr27
	s_waitcnt vmcnt(0)
	v_mul_lo_u32 v11, v8, 3
	v_lshlrev_b32_e32 v12, 1, v8
	s_branch .LBB54_5
.LBB54_2:                               ;   in Loop: Header=BB54_5 Depth=1
	s_or_b64 exec, exec, s[34:35]
	s_orn2_b64 s[34:35], s[36:37], exec
.LBB54_3:                               ;   in Loop: Header=BB54_5 Depth=1
	s_or_b64 exec, exec, s[30:31]
	s_andn2_b64 s[26:27], s[26:27], exec
	s_and_b64 s[30:31], s[34:35], exec
	s_or_b64 s[26:27], s[26:27], s[30:31]
.LBB54_4:                               ;   in Loop: Header=BB54_5 Depth=1
	s_or_b64 exec, exec, s[28:29]
	s_and_b64 s[28:29], exec, s[26:27]
	s_or_b64 s[24:25], s[28:29], s[24:25]
	s_andn2_b64 exec, exec, s[24:25]
	s_cbranch_execz .LBB54_9
.LBB54_5:                               ; =>This Inner Loop Header: Depth=1
	v_lshlrev_b64 v[4:5], 3, v[2:3]
	v_add_co_u32_e32 v6, vcc, s33, v4
	v_addc_co_u32_e32 v7, vcc, v9, v5, vcc
	v_add_co_u32_e32 v4, vcc, s45, v4
	v_addc_co_u32_e32 v5, vcc, v10, v5, vcc
	global_load_dwordx2 v[6:7], v[6:7], off
	s_or_b64 s[26:27], s[26:27], exec
	global_load_dwordx2 v[4:5], v[4:5], off
	s_waitcnt vmcnt(1)
	v_cvt_f32_f16_e32 v14, v6
	v_cvt_f32_f16_sdwa v15, v6 dst_sel:DWORD dst_unused:UNUSED_PAD src0_sel:WORD_1
	s_waitcnt vmcnt(0)
	v_cvt_f32_f16_e32 v16, v4
	v_cvt_f32_f16_sdwa v17, v4 dst_sel:DWORD dst_unused:UNUSED_PAD src0_sel:WORD_1
	v_cvt_f32_f16_e32 v6, v7
	v_cvt_f32_f16_sdwa v7, v7 dst_sel:DWORD dst_unused:UNUSED_PAD src0_sel:WORD_1
	;; [unrolled: 2-line block ×3, first 2 shown]
	v_pk_add_f32 v[14:15], v[14:15], v[16:17]
	v_pk_mul_f32 v[14:15], v[14:15], v[14:15]
	v_add_f32_e32 v1, v1, v14
	v_pk_add_f32 v[6:7], v[6:7], v[18:19]
	v_pk_mul_f32 v[6:7], v[6:7], v[6:7]
	v_add_f32_e32 v1, v1, v15
	v_add_u32_e32 v4, v2, v8
	v_add_f32_e32 v1, v1, v6
	v_cmp_gt_u32_e32 vcc, s12, v4
	v_add_f32_e32 v1, v1, v7
	s_and_saveexec_b64 s[28:29], vcc
	s_cbranch_execz .LBB54_4
; %bb.6:                                ;   in Loop: Header=BB54_5 Depth=1
	v_mov_b32_e32 v5, v3
	v_lshlrev_b64 v[6:7], 3, v[4:5]
	v_add_co_u32_e32 v14, vcc, s33, v6
	v_addc_co_u32_e32 v15, vcc, v9, v7, vcc
	v_add_co_u32_e32 v6, vcc, s45, v6
	v_addc_co_u32_e32 v7, vcc, v10, v7, vcc
	global_load_dwordx2 v[14:15], v[14:15], off
	s_mov_b64 s[34:35], -1
	global_load_dwordx2 v[6:7], v[6:7], off
	s_waitcnt vmcnt(1)
	v_cvt_f32_f16_e32 v16, v14
	v_cvt_f32_f16_sdwa v17, v14 dst_sel:DWORD dst_unused:UNUSED_PAD src0_sel:WORD_1
	s_waitcnt vmcnt(0)
	v_cvt_f32_f16_e32 v18, v6
	v_cvt_f32_f16_sdwa v19, v6 dst_sel:DWORD dst_unused:UNUSED_PAD src0_sel:WORD_1
	v_cvt_f32_f16_e32 v14, v15
	v_cvt_f32_f16_sdwa v15, v15 dst_sel:DWORD dst_unused:UNUSED_PAD src0_sel:WORD_1
	;; [unrolled: 2-line block ×3, first 2 shown]
	v_pk_add_f32 v[16:17], v[16:17], v[18:19]
	v_pk_mul_f32 v[16:17], v[16:17], v[16:17]
	v_add_f32_e32 v1, v1, v16
	v_pk_add_f32 v[14:15], v[14:15], v[20:21]
	v_pk_mul_f32 v[14:15], v[14:15], v[14:15]
	v_add_f32_e32 v1, v1, v17
	v_add_u32_e32 v6, v12, v2
	v_add_f32_e32 v1, v1, v14
	v_cmp_gt_u32_e32 vcc, s12, v6
	v_add_f32_e32 v1, v1, v15
	s_and_saveexec_b64 s[30:31], vcc
	s_cbranch_execz .LBB54_3
; %bb.7:                                ;   in Loop: Header=BB54_5 Depth=1
	v_mov_b32_e32 v7, v3
	v_lshlrev_b64 v[6:7], 3, v[6:7]
	v_mov_b32_e32 v5, s44
	v_add_co_u32_e32 v14, vcc, s33, v6
	v_addc_co_u32_e32 v15, vcc, v5, v7, vcc
	v_mov_b32_e32 v5, s46
	v_add_co_u32_e32 v6, vcc, s45, v6
	v_addc_co_u32_e32 v7, vcc, v5, v7, vcc
	global_load_dwordx2 v[14:15], v[14:15], off
	v_add_u32_e32 v2, v11, v2
	global_load_dwordx2 v[6:7], v[6:7], off
	v_cmp_gt_u32_e32 vcc, s12, v2
	s_mov_b64 s[36:37], -1
	s_waitcnt vmcnt(1)
	v_cvt_f32_f16_e32 v16, v14
	v_cvt_f32_f16_sdwa v17, v14 dst_sel:DWORD dst_unused:UNUSED_PAD src0_sel:WORD_1
	s_waitcnt vmcnt(0)
	v_cvt_f32_f16_e32 v18, v6
	v_cvt_f32_f16_sdwa v19, v6 dst_sel:DWORD dst_unused:UNUSED_PAD src0_sel:WORD_1
	v_cvt_f32_f16_e32 v14, v15
	v_cvt_f32_f16_sdwa v15, v15 dst_sel:DWORD dst_unused:UNUSED_PAD src0_sel:WORD_1
	;; [unrolled: 2-line block ×3, first 2 shown]
	v_pk_add_f32 v[16:17], v[16:17], v[18:19]
	v_pk_add_f32 v[6:7], v[14:15], v[6:7]
	v_pk_mul_f32 v[14:15], v[16:17], v[16:17]
	v_add_f32_e32 v1, v1, v14
	v_pk_mul_f32 v[6:7], v[6:7], v[6:7]
	v_add_f32_e32 v1, v1, v15
	v_add_f32_e32 v1, v1, v6
	;; [unrolled: 1-line block ×3, first 2 shown]
	s_and_saveexec_b64 s[34:35], vcc
	s_xor_b64 s[34:35], exec, s[34:35]
	s_cbranch_execz .LBB54_2
; %bb.8:                                ;   in Loop: Header=BB54_5 Depth=1
	v_lshlrev_b64 v[6:7], 3, v[2:3]
	v_mov_b32_e32 v2, s44
	v_add_co_u32_e32 v14, vcc, s33, v6
	v_addc_co_u32_e32 v15, vcc, v2, v7, vcc
	v_mov_b32_e32 v2, s46
	v_add_co_u32_e32 v6, vcc, s45, v6
	v_addc_co_u32_e32 v7, vcc, v2, v7, vcc
	global_load_dwordx2 v[14:15], v[14:15], off
	v_add_u32_e32 v2, v8, v8
	global_load_dwordx2 v[6:7], v[6:7], off
	v_add_u32_e32 v2, v2, v8
	v_add_u32_e32 v2, v2, v4
	v_cmp_le_u32_e32 vcc, s12, v2
	s_orn2_b64 s[36:37], vcc, exec
	s_waitcnt vmcnt(1)
	v_cvt_f32_f16_e32 v16, v14
	v_cvt_f32_f16_sdwa v17, v14 dst_sel:DWORD dst_unused:UNUSED_PAD src0_sel:WORD_1
	s_waitcnt vmcnt(0)
	v_cvt_f32_f16_e32 v18, v6
	v_cvt_f32_f16_sdwa v19, v6 dst_sel:DWORD dst_unused:UNUSED_PAD src0_sel:WORD_1
	v_cvt_f32_f16_e32 v14, v15
	v_cvt_f32_f16_sdwa v15, v15 dst_sel:DWORD dst_unused:UNUSED_PAD src0_sel:WORD_1
	;; [unrolled: 2-line block ×3, first 2 shown]
	v_pk_add_f32 v[4:5], v[16:17], v[18:19]
	v_pk_mul_f32 v[4:5], v[4:5], v[4:5]
	v_add_f32_e32 v1, v1, v4
	v_pk_add_f32 v[6:7], v[14:15], v[6:7]
	v_pk_mul_f32 v[6:7], v[6:7], v[6:7]
	v_add_f32_e32 v1, v1, v5
	v_add_f32_e32 v1, v1, v6
	;; [unrolled: 1-line block ×3, first 2 shown]
	s_branch .LBB54_2
.LBB54_9:
	s_or_b64 exec, exec, s[24:25]
.LBB54_10:
	s_or_b64 exec, exec, s[2:3]
	v_mbcnt_lo_u32_b32 v2, -1, 0
	v_mbcnt_hi_u32_b32 v2, -1, v2
	v_and_b32_e32 v3, 63, v2
	v_cmp_ne_u32_e32 vcc, 63, v3
	s_load_dword s2, s[22:23], 0xc
	v_addc_co_u32_e32 v4, vcc, 0, v2, vcc
	v_lshlrev_b32_e32 v4, 2, v4
	ds_bpermute_b32 v4, v4, v1
	s_waitcnt lgkmcnt(0)
	s_and_b32 s13, s2, 0xffff
	v_and_b32_e32 v5, 0x3c0, v0
	v_sub_u32_e64 v5, s13, v5 clamp
	v_add_u32_e32 v6, 1, v2
	v_add_f32_e32 v4, v1, v4
	v_cmp_lt_u32_e32 vcc, v6, v5
	v_cndmask_b32_e32 v1, v1, v4, vcc
	v_cmp_gt_u32_e32 vcc, 62, v3
	v_cndmask_b32_e64 v4, 0, 1, vcc
	v_lshlrev_b32_e32 v4, 1, v4
	v_add_lshl_u32 v4, v4, v2, 2
	ds_bpermute_b32 v4, v4, v1
	v_add_u32_e32 v6, 2, v2
	v_cmp_lt_u32_e32 vcc, v6, v5
	v_add_u32_e32 v6, 4, v2
	s_waitcnt lgkmcnt(0)
	v_add_f32_e32 v4, v1, v4
	v_cndmask_b32_e32 v1, v1, v4, vcc
	v_cmp_gt_u32_e32 vcc, 60, v3
	v_cndmask_b32_e64 v4, 0, 1, vcc
	v_lshlrev_b32_e32 v4, 2, v4
	v_add_lshl_u32 v4, v4, v2, 2
	ds_bpermute_b32 v4, v4, v1
	v_cmp_lt_u32_e32 vcc, v6, v5
	v_add_u32_e32 v6, 8, v2
	s_waitcnt lgkmcnt(0)
	v_add_f32_e32 v4, v1, v4
	v_cndmask_b32_e32 v1, v1, v4, vcc
	v_cmp_gt_u32_e32 vcc, 56, v3
	v_cndmask_b32_e64 v4, 0, 1, vcc
	v_lshlrev_b32_e32 v4, 3, v4
	v_add_lshl_u32 v4, v4, v2, 2
	ds_bpermute_b32 v4, v4, v1
	;; [unrolled: 10-line block ×3, first 2 shown]
	v_cmp_lt_u32_e32 vcc, v6, v5
	s_waitcnt lgkmcnt(0)
	v_add_f32_e32 v4, v1, v4
	v_cndmask_b32_e32 v1, v1, v4, vcc
	v_cmp_gt_u32_e32 vcc, 32, v3
	v_cndmask_b32_e64 v3, 0, 1, vcc
	v_lshlrev_b32_e32 v3, 5, v3
	v_add_lshl_u32 v3, v3, v2, 2
	ds_bpermute_b32 v3, v3, v1
	v_add_u32_e32 v4, 32, v2
	v_cmp_lt_u32_e32 vcc, v4, v5
	s_waitcnt lgkmcnt(0)
	v_add_f32_e32 v3, v1, v3
	v_cndmask_b32_e32 v1, v1, v3, vcc
	v_cmp_eq_u32_e32 vcc, 0, v2
	s_and_saveexec_b64 s[2:3], vcc
	s_cbranch_execz .LBB54_12
; %bb.11:
	v_lshrrev_b32_e32 v3, 4, v0
	v_and_b32_e32 v3, 60, v3
	ds_write_b32 v3, v1 offset:4096
.LBB54_12:
	s_or_b64 exec, exec, s[2:3]
	v_cmp_gt_u32_e32 vcc, 16, v0
	s_waitcnt lgkmcnt(0)
	s_barrier
	s_and_saveexec_b64 s[24:25], vcc
	s_cbranch_execz .LBB54_14
; %bb.13:
	v_lshlrev_b32_e32 v1, 2, v2
	ds_read_b32 v1, v1 offset:4096
	v_and_b32_e32 v3, 15, v2
	v_cmp_ne_u32_e32 vcc, 15, v3
	v_addc_co_u32_e32 v4, vcc, 0, v2, vcc
	v_lshlrev_b32_e32 v4, 2, v4
	s_waitcnt lgkmcnt(0)
	ds_bpermute_b32 v4, v4, v1
	s_add_i32 s13, s13, 63
	s_lshr_b32 s13, s13, 6
	v_add_u32_e32 v5, 1, v3
	v_cmp_gt_u32_e64 s[2:3], 14, v3
	v_cmp_gt_u32_e32 vcc, s13, v5
	v_cndmask_b32_e64 v5, 0, 1, s[2:3]
	s_waitcnt lgkmcnt(0)
	v_add_f32_e32 v4, v1, v4
	v_lshlrev_b32_e32 v5, 1, v5
	v_cndmask_b32_e32 v4, v1, v4, vcc
	v_add_lshl_u32 v5, v5, v2, 2
	ds_bpermute_b32 v5, v5, v4
	v_add_u32_e32 v6, 2, v3
	v_cmp_gt_u32_e64 s[2:3], s13, v6
	v_add_u32_e32 v6, 4, v3
	s_waitcnt lgkmcnt(0)
	v_add_f32_e32 v5, v4, v5
	v_cndmask_b32_e64 v4, v4, v5, s[2:3]
	v_cmp_gt_u32_e64 s[2:3], 12, v3
	v_cndmask_b32_e64 v5, 0, 1, s[2:3]
	v_lshlrev_b32_e32 v5, 2, v5
	v_add_lshl_u32 v5, v5, v2, 2
	ds_bpermute_b32 v5, v5, v4
	v_cmp_gt_u32_e64 s[2:3], s13, v6
	s_waitcnt lgkmcnt(0)
	v_add_f32_e32 v5, v4, v5
	v_cndmask_b32_e64 v4, v4, v5, s[2:3]
	v_cmp_gt_u32_e64 s[2:3], 8, v3
	v_cndmask_b32_e64 v5, 0, 1, s[2:3]
	v_lshlrev_b32_e32 v5, 3, v5
	v_add_lshl_u32 v2, v5, v2, 2
	ds_bpermute_b32 v2, v2, v4
	v_add_u32_e32 v3, 8, v3
	v_cmp_gt_u32_e64 s[2:3], s13, v3
	s_waitcnt lgkmcnt(0)
	v_add_f32_e32 v2, v4, v2
	v_cndmask_b32_e64 v2, v4, v2, s[2:3]
	v_cndmask_b32_e32 v1, v1, v2, vcc
.LBB54_14:
	s_or_b64 exec, exec, s[24:25]
	v_cmp_eq_u32_e32 vcc, 0, v0
	s_and_saveexec_b64 s[2:3], vcc
	s_cbranch_execz .LBB54_16
; %bb.15:
	v_cvt_f32_i32_e32 v2, s20
	s_mov_b32 s13, 0x800000
	v_div_scale_f32 v3, s[24:25], v2, v2, v1
	v_rcp_f32_e32 v4, v3
	v_div_scale_f32 v5, vcc, v1, v2, v1
	v_fma_f32 v6, -v3, v4, 1.0
	v_fmac_f32_e32 v4, v6, v4
	v_mul_f32_e32 v6, v5, v4
	v_fma_f32 v7, -v3, v6, v5
	v_fmac_f32_e32 v6, v7, v4
	v_fma_f32 v3, -v3, v6, v5
	v_div_fmas_f32 v3, v3, v4, v6
	v_div_fixup_f32 v1, v3, v2, v1
	v_add_f32_e32 v1, s16, v1
	v_mul_f32_e32 v2, 0x4b800000, v1
	v_cmp_gt_f32_e32 vcc, s13, v1
	v_cndmask_b32_e32 v1, v1, v2, vcc
	v_rsq_f32_e32 v1, v1
	v_mul_f32_e32 v2, 0x45800000, v1
	v_cndmask_b32_e32 v1, v1, v2, vcc
	v_mov_b32_e32 v2, 0
	ds_write_b32 v2, v1 offset:4160
.LBB54_16:
	s_or_b64 exec, exec, s[2:3]
	s_ashr_i32 s2, s20, 31
	s_lshr_b32 s2, s2, 26
	s_add_i32 s3, s20, s2
	s_ashr_i32 s2, s3, 6
	s_cmp_lt_u32 s6, s48
	s_cselect_b32 s13, 12, 18
	s_add_u32 s16, s22, s13
	v_mov_b32_e32 v5, 0
	s_addc_u32 s17, s23, 0
	s_waitcnt lgkmcnt(0)
	s_barrier
	global_load_ushort v1, v5, s[16:17]
	ds_read_b32 v36, v5 offset:4160
	s_abs_i32 s13, s2
	v_cvt_f32_u32_e32 v2, s13
	s_sub_i32 s16, 0, s13
	s_ashr_i32 s3, s3, 31
	v_mov_b32_e32 v10, s12
	v_rcp_iflag_f32_e32 v2, v2
	v_mul_f32_e32 v2, 0x4f7ffffe, v2
	v_cvt_u32_f32_e32 v2, v2
	v_readfirstlane_b32 s17, v2
	s_mul_i32 s16, s16, s17
	s_mul_hi_u32 s16, s17, s16
	s_add_i32 s17, s17, s16
	s_waitcnt vmcnt(0)
	v_readfirstlane_b32 s47, v1
	s_mul_hi_u32 s16, s47, s17
	s_mul_i32 s17, s16, s13
	s_sub_i32 s17, s47, s17
	s_add_i32 s22, s16, 1
	s_sub_i32 s23, s17, s13
	s_cmp_ge_u32 s17, s13
	s_cselect_b32 s16, s22, s16
	s_cselect_b32 s17, s23, s17
	s_add_i32 s22, s16, 1
	s_cmp_ge_u32 s17, s13
	s_cselect_b32 s13, s22, s16
	s_xor_b32 s13, s13, s3
	s_sub_i32 s16, s13, s3
	s_abs_i32 s3, s16
	v_cvt_f32_u32_e32 v1, s3
	s_sub_i32 s22, 0, s3
	s_ashr_i32 s17, s16, 31
	s_ashr_i32 s13, s12, 31
	v_rcp_iflag_f32_e32 v1, v1
	v_mov_b32_e32 v11, s13
	v_mul_f32_e32 v1, 0x4f7ffffe, v1
	v_cvt_u32_f32_e32 v1, v1
	v_mul_lo_u32 v2, s22, v1
	v_mul_hi_u32 v2, v1, v2
	v_add_u32_e32 v1, v1, v2
	v_mul_hi_u32 v1, v0, v1
	v_mul_lo_u32 v2, v1, s3
	v_sub_u32_e32 v2, v0, v2
	v_add_u32_e32 v3, 1, v1
	v_cmp_le_u32_e32 vcc, s3, v2
	v_cndmask_b32_e32 v1, v1, v3, vcc
	v_subrev_u32_e32 v3, s3, v2
	v_cndmask_b32_e32 v2, v2, v3, vcc
	v_add_u32_e32 v3, 1, v1
	v_cmp_le_u32_e32 vcc, s3, v2
	v_cndmask_b32_e32 v1, v1, v3, vcc
	v_xor_b32_e32 v1, s17, v1
	v_subrev_u32_e32 v2, s17, v1
	v_mul_lo_u32 v1, v2, s16
	v_ashrrev_i32_e32 v3, 31, v2
	v_sub_u32_e32 v4, v0, v1
	v_lshlrev_b64 v[8:9], 4, v[2:3]
	v_add_co_u32_e32 v6, vcc, v8, v4
	v_addc_co_u32_e32 v7, vcc, 0, v9, vcc
	v_add_co_u32_e32 v8, vcc, 16, v8
	v_addc_co_u32_e32 v9, vcc, 0, v9, vcc
	v_cmp_gt_i64_e32 vcc, s[12:13], v[8:9]
	v_cndmask_b32_e32 v8, v10, v8, vcc
	v_cndmask_b32_e32 v9, v11, v9, vcc
	v_ashrrev_i32_e32 v11, 31, v8
	v_mov_b32_e32 v10, v8
	v_cmp_lt_i64_e32 vcc, v[6:7], v[10:11]
	s_and_saveexec_b64 s[22:23], vcc
	s_cbranch_execz .LBB54_26
; %bb.17:
	v_lshlrev_b64 v[12:13], 7, v[2:3]
	v_lshlrev_b64 v[14:15], 3, v[4:5]
	v_add_co_u32_e32 v12, vcc, v12, v14
	v_addc_co_u32_e32 v1, vcc, v13, v15, vcc
	s_lshl_b64 s[24:25], s[16:17], 5
	s_mul_hi_i32 s3, s16, 3
	s_mul_i32 s13, s16, 3
	s_lshl_b64 s[26:27], s[16:17], 1
	s_lshl_b64 s[30:31], s[16:17], 3
	s_mov_b64 s[28:29], 0
	v_mov_b32_e32 v5, 0
	v_mov_b32_e32 v13, s44
	;; [unrolled: 1-line block ×5, first 2 shown]
	v_pk_mov_b32 v[14:15], v[6:7], v[6:7] op_sel:[0,1]
                                        ; implicit-def: $sgpr34_sgpr35
	s_branch .LBB54_21
.LBB54_18:                              ;   in Loop: Header=BB54_21 Depth=1
	s_or_b64 exec, exec, s[40:41]
	s_orn2_b64 s[40:41], s[42:43], exec
.LBB54_19:                              ;   in Loop: Header=BB54_21 Depth=1
	s_or_b64 exec, exec, s[38:39]
	s_andn2_b64 s[34:35], s[34:35], exec
	s_and_b64 s[38:39], s[40:41], exec
	s_or_b64 s[34:35], s[34:35], s[38:39]
.LBB54_20:                              ;   in Loop: Header=BB54_21 Depth=1
	s_or_b64 exec, exec, s[36:37]
	s_and_b64 s[36:37], exec, s[34:35]
	s_or_b64 s[28:29], s[36:37], s[28:29]
	s_andn2_b64 exec, exec, s[28:29]
	s_cbranch_execz .LBB54_25
.LBB54_21:                              ; =>This Inner Loop Header: Depth=1
	v_add_co_u32_e32 v18, vcc, s33, v12
	v_addc_co_u32_e32 v19, vcc, v13, v1, vcc
	v_add_co_u32_e32 v22, vcc, s45, v12
	v_addc_co_u32_e32 v23, vcc, v25, v1, vcc
	global_load_dwordx2 v[16:17], v[18:19], off
	global_load_dwordx2 v[28:29], v[22:23], off
	v_add_co_u32_e32 v20, vcc, s14, v12
	v_addc_co_u32_e32 v21, vcc, v24, v1, vcc
	global_load_dwordx2 v[30:31], v[20:21], off
	s_or_b64 s[34:35], s[34:35], exec
	s_waitcnt vmcnt(2)
	v_cvt_f32_f16_e32 v27, v16
	v_cvt_f32_f16_sdwa v16, v16 dst_sel:DWORD dst_unused:UNUSED_PAD src0_sel:WORD_1
	s_waitcnt vmcnt(1)
	v_cvt_f32_f16_e32 v33, v28
	v_cvt_f32_f16_sdwa v28, v28 dst_sel:DWORD dst_unused:UNUSED_PAD src0_sel:WORD_1
	v_cvt_f32_f16_e32 v32, v17
	v_cvt_f32_f16_sdwa v17, v17 dst_sel:DWORD dst_unused:UNUSED_PAD src0_sel:WORD_1
	;; [unrolled: 2-line block ×3, first 2 shown]
	v_add_f32_e32 v27, v27, v33
	v_add_f32_e32 v16, v16, v28
	;; [unrolled: 1-line block ×4, first 2 shown]
	s_waitcnt lgkmcnt(0)
	v_fma_mixlo_f16 v27, v36, v27, 0
	v_fma_mixlo_f16 v16, v36, v16, 0
	;; [unrolled: 1-line block ×4, first 2 shown]
	s_waitcnt vmcnt(0)
	v_mul_f16_e32 v27, v30, v27
	v_mul_f16_sdwa v16, v30, v16 dst_sel:DWORD dst_unused:UNUSED_PAD src0_sel:WORD_1 src1_sel:DWORD
	v_mul_f16_e32 v28, v31, v28
	v_mul_f16_sdwa v17, v31, v17 dst_sel:DWORD dst_unused:UNUSED_PAD src0_sel:WORD_1 src1_sel:DWORD
	v_cvt_f32_f16_e64 v27, |v27|
	v_cvt_f32_f16_e64 v29, |v16|
	;; [unrolled: 1-line block ×4, first 2 shown]
	v_add_co_u32_e32 v16, vcc, s16, v14
	v_addc_co_u32_e32 v17, vcc, v15, v26, vcc
	v_max3_f32 v5, v5, v27, v29
	v_cmp_lt_i64_e32 vcc, v[16:17], v[10:11]
	v_max3_f32 v5, v5, v28, v30
	s_and_saveexec_b64 s[36:37], vcc
	s_cbranch_execz .LBB54_20
; %bb.22:                               ;   in Loop: Header=BB54_21 Depth=1
	v_mov_b32_e32 v27, s31
	v_add_co_u32_e32 v18, vcc, s30, v18
	v_addc_co_u32_e32 v19, vcc, v19, v27, vcc
	v_add_co_u32_e32 v22, vcc, s30, v22
	v_addc_co_u32_e32 v23, vcc, v23, v27, vcc
	global_load_dwordx2 v[28:29], v[18:19], off
	global_load_dwordx2 v[30:31], v[22:23], off
	v_add_co_u32_e32 v20, vcc, s30, v20
	v_addc_co_u32_e32 v21, vcc, v21, v27, vcc
	global_load_dwordx2 v[32:33], v[20:21], off
	v_mov_b32_e32 v27, s27
	s_mov_b64 s[40:41], -1
	s_waitcnt vmcnt(2)
	v_cvt_f32_f16_e32 v34, v28
	v_cvt_f32_f16_sdwa v28, v28 dst_sel:DWORD dst_unused:UNUSED_PAD src0_sel:WORD_1
	s_waitcnt vmcnt(1)
	v_cvt_f32_f16_e32 v37, v30
	v_cvt_f32_f16_sdwa v30, v30 dst_sel:DWORD dst_unused:UNUSED_PAD src0_sel:WORD_1
	v_cvt_f32_f16_e32 v35, v29
	v_cvt_f32_f16_sdwa v29, v29 dst_sel:DWORD dst_unused:UNUSED_PAD src0_sel:WORD_1
	;; [unrolled: 2-line block ×3, first 2 shown]
	v_add_f32_e32 v34, v34, v37
	v_add_f32_e32 v28, v28, v30
	;; [unrolled: 1-line block ×4, first 2 shown]
	v_fma_mixlo_f16 v31, v36, v34, 0
	v_fma_mixlo_f16 v28, v36, v28, 0
	;; [unrolled: 1-line block ×4, first 2 shown]
	s_waitcnt vmcnt(0)
	v_mul_f16_e32 v31, v32, v31
	v_mul_f16_sdwa v28, v32, v28 dst_sel:DWORD dst_unused:UNUSED_PAD src0_sel:WORD_1 src1_sel:DWORD
	v_mul_f16_e32 v30, v33, v30
	v_mul_f16_sdwa v29, v33, v29 dst_sel:DWORD dst_unused:UNUSED_PAD src0_sel:WORD_1 src1_sel:DWORD
	v_cvt_f32_f16_e64 v31, |v31|
	v_cvt_f32_f16_e64 v32, |v28|
	v_cvt_f32_f16_e64 v30, |v30|
	v_cvt_f32_f16_e64 v33, |v29|
	v_add_co_u32_e32 v28, vcc, s26, v14
	v_addc_co_u32_e32 v29, vcc, v27, v15, vcc
	v_max3_f32 v5, v5, v31, v32
	v_cmp_lt_i64_e32 vcc, v[28:29], v[10:11]
	v_max3_f32 v5, v5, v30, v33
	s_and_saveexec_b64 s[38:39], vcc
	s_cbranch_execz .LBB54_19
; %bb.23:                               ;   in Loop: Header=BB54_21 Depth=1
	v_mov_b32_e32 v27, s31
	v_add_co_u32_e32 v18, vcc, s30, v18
	v_addc_co_u32_e32 v19, vcc, v19, v27, vcc
	v_add_co_u32_e32 v22, vcc, s30, v22
	v_addc_co_u32_e32 v23, vcc, v23, v27, vcc
	global_load_dwordx2 v[28:29], v[18:19], off
	global_load_dwordx2 v[30:31], v[22:23], off
	v_add_co_u32_e32 v20, vcc, s30, v20
	v_addc_co_u32_e32 v21, vcc, v21, v27, vcc
	global_load_dwordx2 v[32:33], v[20:21], off
	v_mov_b32_e32 v27, s3
	v_add_co_u32_e32 v14, vcc, s13, v14
	v_addc_co_u32_e32 v15, vcc, v27, v15, vcc
	v_cmp_lt_i64_e32 vcc, v[14:15], v[10:11]
	s_mov_b64 s[42:43], -1
                                        ; implicit-def: $vgpr14_vgpr15
	s_waitcnt vmcnt(2)
	v_cvt_f32_f16_e32 v34, v28
	v_cvt_f32_f16_sdwa v28, v28 dst_sel:DWORD dst_unused:UNUSED_PAD src0_sel:WORD_1
	s_waitcnt vmcnt(1)
	v_cvt_f32_f16_e32 v37, v30
	v_cvt_f32_f16_sdwa v30, v30 dst_sel:DWORD dst_unused:UNUSED_PAD src0_sel:WORD_1
	v_cvt_f32_f16_e32 v35, v29
	v_cvt_f32_f16_sdwa v29, v29 dst_sel:DWORD dst_unused:UNUSED_PAD src0_sel:WORD_1
	;; [unrolled: 2-line block ×3, first 2 shown]
	v_add_f32_e32 v34, v34, v37
	v_add_f32_e32 v28, v28, v30
	;; [unrolled: 1-line block ×4, first 2 shown]
	v_fma_mixlo_f16 v31, v36, v34, 0
	v_fma_mixlo_f16 v28, v36, v28, 0
	;; [unrolled: 1-line block ×4, first 2 shown]
	s_waitcnt vmcnt(0)
	v_mul_f16_e32 v31, v32, v31
	v_mul_f16_sdwa v28, v32, v28 dst_sel:DWORD dst_unused:UNUSED_PAD src0_sel:WORD_1 src1_sel:DWORD
	v_mul_f16_e32 v30, v33, v30
	v_mul_f16_sdwa v29, v33, v29 dst_sel:DWORD dst_unused:UNUSED_PAD src0_sel:WORD_1 src1_sel:DWORD
	v_cvt_f32_f16_e64 v31, |v31|
	v_cvt_f32_f16_e64 v28, |v28|
	;; [unrolled: 1-line block ×4, first 2 shown]
	v_max3_f32 v5, v5, v31, v28
	v_max3_f32 v5, v5, v30, v29
	s_and_saveexec_b64 s[40:41], vcc
	s_xor_b64 s[40:41], exec, s[40:41]
	s_cbranch_execz .LBB54_18
; %bb.24:                               ;   in Loop: Header=BB54_21 Depth=1
	v_mov_b32_e32 v27, s31
	v_add_co_u32_e32 v14, vcc, s30, v18
	v_addc_co_u32_e32 v15, vcc, v19, v27, vcc
	v_add_co_u32_e32 v18, vcc, s30, v22
	v_addc_co_u32_e32 v19, vcc, v23, v27, vcc
	global_load_dwordx2 v[14:15], v[14:15], off
	v_add_co_u32_e32 v20, vcc, s30, v20
	global_load_dwordx2 v[18:19], v[18:19], off
	v_addc_co_u32_e32 v21, vcc, v21, v27, vcc
	global_load_dwordx2 v[20:21], v[20:21], off
	s_add_u32 s42, s16, s16
	s_addc_u32 s43, s17, s17
	v_mov_b32_e32 v22, s25
	v_add_co_u32_e32 v12, vcc, s24, v12
	s_add_u32 s42, s42, s16
	v_addc_co_u32_e32 v1, vcc, v1, v22, vcc
	s_addc_u32 s43, s43, s17
	v_mov_b32_e32 v22, s43
	s_waitcnt vmcnt(2)
	v_cvt_f32_f16_e32 v23, v14
	v_cvt_f32_f16_sdwa v14, v14 dst_sel:DWORD dst_unused:UNUSED_PAD src0_sel:WORD_1
	v_cvt_f32_f16_e32 v27, v15
	s_waitcnt vmcnt(1)
	v_cvt_f32_f16_e32 v28, v18
	v_cvt_f32_f16_sdwa v18, v18 dst_sel:DWORD dst_unused:UNUSED_PAD src0_sel:WORD_1
	v_cvt_f32_f16_sdwa v15, v15 dst_sel:DWORD dst_unused:UNUSED_PAD src0_sel:WORD_1
	v_cvt_f32_f16_e32 v29, v19
	v_cvt_f32_f16_sdwa v19, v19 dst_sel:DWORD dst_unused:UNUSED_PAD src0_sel:WORD_1
	v_add_f32_e32 v23, v23, v28
	v_add_f32_e32 v14, v14, v18
	;; [unrolled: 1-line block ×4, first 2 shown]
	v_fma_mixlo_f16 v19, v36, v23, 0
	v_fma_mixlo_f16 v14, v36, v14, 0
	;; [unrolled: 1-line block ×4, first 2 shown]
	s_waitcnt vmcnt(0)
	v_mul_f16_e32 v19, v20, v19
	v_mul_f16_sdwa v14, v20, v14 dst_sel:DWORD dst_unused:UNUSED_PAD src0_sel:WORD_1 src1_sel:DWORD
	v_mul_f16_e32 v18, v21, v18
	v_mul_f16_sdwa v15, v21, v15 dst_sel:DWORD dst_unused:UNUSED_PAD src0_sel:WORD_1 src1_sel:DWORD
	v_cvt_f32_f16_e64 v19, |v19|
	v_cvt_f32_f16_e64 v20, |v14|
	;; [unrolled: 1-line block ×4, first 2 shown]
	v_add_co_u32_e32 v14, vcc, s42, v16
	v_addc_co_u32_e32 v15, vcc, v22, v17, vcc
	v_cmp_ge_i64_e32 vcc, v[14:15], v[10:11]
	v_max3_f32 v5, v5, v19, v20
	v_max3_f32 v5, v5, v18, v21
	s_orn2_b64 s[42:43], vcc, exec
	s_branch .LBB54_18
.LBB54_25:
	s_or_b64 exec, exec, s[28:29]
.LBB54_26:
	s_or_b64 exec, exec, s[22:23]
	s_lshr_b32 s13, s47, 6
	v_cvt_f32_u32_e32 v10, s13
	v_lshlrev_b32_e32 v1, 2, v0
	ds_write_b32 v1, v5
	s_sub_i32 s23, 0, s13
	v_rcp_iflag_f32_e32 v5, v10
	s_add_i32 s3, s2, s13
	s_add_i32 s3, s3, -1
	s_ashr_i32 s22, s3, 31
	v_mul_f32_e32 v5, 0x4f7ffffe, v5
	v_cvt_u32_f32_e32 v5, v5
	s_abs_i32 s3, s3
	s_waitcnt lgkmcnt(0)
	s_barrier
	v_readfirstlane_b32 s24, v5
	s_mul_i32 s23, s23, s24
	s_mul_hi_u32 s23, s24, s23
	s_add_i32 s24, s24, s23
	s_mul_hi_u32 s23, s3, s24
	s_mul_i32 s24, s23, s13
	s_sub_i32 s3, s3, s24
	s_add_i32 s24, s23, 1
	s_sub_i32 s25, s3, s13
	s_cmp_ge_u32 s3, s13
	s_cselect_b32 s23, s24, s23
	s_cselect_b32 s3, s25, s3
	s_add_i32 s24, s23, 1
	s_cmp_ge_u32 s3, s13
	s_cselect_b32 s3, s24, s23
	s_xor_b32 s3, s3, s22
	s_sub_i32 s22, s3, s22
	s_ashr_i32 s23, s22, 31
	v_cmp_lt_i64_e64 s[24:25], s[22:23], 1
	s_and_b64 vcc, exec, s[24:25]
	s_cbranch_vccnz .LBB54_48
; %bb.27:
	v_and_b32_e32 v12, 63, v0
	v_add_co_u32_e32 v14, vcc, 32, v12
	v_addc_co_u32_e64 v15, s[24:25], 0, 0, vcc
	v_add_co_u32_e32 v16, vcc, 16, v12
	v_addc_co_u32_e64 v17, s[24:25], 0, 0, vcc
	;; [unrolled: 2-line block ×4, first 2 shown]
	v_add_co_u32_e32 v22, vcc, 2, v12
	v_lshrrev_b32_e32 v10, 6, v0
	v_addc_co_u32_e64 v23, s[24:25], 0, 0, vcc
	v_add_co_u32_e32 v24, vcc, 1, v12
	v_addc_co_u32_e64 v25, s[24:25], 0, 0, vcc
	v_mul_lo_u32 v5, s16, v10
	v_lshlrev_b32_e32 v5, 2, v5
	v_lshlrev_b32_e32 v26, 2, v12
	s_movk_i32 s24, 0x100
	v_mov_b32_e32 v11, 0
	v_add3_u32 v5, v5, v26, s24
	s_mul_i32 s24, s16, s13
	s_ashr_i32 s3, s2, 31
	v_mov_b32_e32 v13, v11
	s_lshl_b32 s36, s24, 2
	s_mov_b64 s[24:25], 0
	v_mov_b32_e32 v37, s13
	s_mov_b64 s[26:27], src_shared_base
	s_branch .LBB54_30
.LBB54_28:                              ;   in Loop: Header=BB54_30 Depth=1
	s_or_b64 exec, exec, s[30:31]
	v_mov_b32_e32 v27, s27
	flat_load_dword v26, v[26:27] glc
	s_waitcnt vmcnt(0)
.LBB54_29:                              ;   in Loop: Header=BB54_30 Depth=1
	s_or_b64 exec, exec, s[28:29]
	s_add_u32 s24, s24, 1
	s_addc_u32 s25, s25, 0
	s_cmp_eq_u64 s[24:25], s[22:23]
	v_add_u32_e32 v5, s36, v5
	s_cbranch_scc1 .LBB54_48
.LBB54_30:                              ; =>This Loop Header: Depth=1
                                        ;     Child Loop BB54_33 Depth 2
	v_mad_u64_u32 v[30:31], s[28:29], s24, v37, v[10:11]
	s_mul_i32 s26, s25, s13
	v_add_u32_e32 v31, s26, v31
	v_cmp_gt_i64_e32 vcc, s[2:3], v[30:31]
	s_and_saveexec_b64 s[28:29], vcc
	s_cbranch_execz .LBB54_29
; %bb.31:                               ;   in Loop: Header=BB54_30 Depth=1
	v_pk_mov_b32 v[32:33], s[16:17], s[16:17] op_sel:[0,1]
	v_mul_lo_u32 v29, v31, s16
	v_mul_lo_u32 v38, v30, s17
	v_mad_u64_u32 v[32:33], s[30:31], v30, s16, v[32:33]
	v_add3_u32 v33, v29, v33, v38
	v_mov_b32_e32 v28, s21
	v_cmp_gt_i64_e32 vcc, s[20:21], v[32:33]
	s_waitcnt lgkmcnt(0)
	v_mad_u64_u32 v[26:27], s[30:31], v30, s16, v[12:13]
	v_cndmask_b32_e32 v33, v28, v33, vcc
	v_mov_b32_e32 v28, s20
	v_add3_u32 v27, v29, v27, v38
	v_cndmask_b32_e32 v32, v28, v32, vcc
	v_add_co_u32_e32 v34, vcc, 64, v26
	v_addc_co_u32_e32 v35, vcc, 0, v27, vcc
	v_cmp_lt_i64_e32 vcc, v[34:35], v[32:33]
	v_lshlrev_b32_e32 v28, 2, v26
	s_and_saveexec_b64 s[30:31], vcc
	s_cbranch_execz .LBB54_34
; %bb.32:                               ;   in Loop: Header=BB54_30 Depth=1
	ds_read_b32 v31, v28
	s_mov_b64 s[34:35], 0
	v_mov_b32_e32 v27, v5
.LBB54_33:                              ;   Parent Loop BB54_30 Depth=1
                                        ; =>  This Inner Loop Header: Depth=2
	ds_read_b32 v39, v27
	v_add_co_u32_e32 v34, vcc, 64, v34
	v_addc_co_u32_e32 v35, vcc, 0, v35, vcc
	s_waitcnt lgkmcnt(1)
	v_max_f32_e32 v31, v31, v31
	v_cmp_ge_i64_e32 vcc, v[34:35], v[32:33]
	s_waitcnt lgkmcnt(0)
	v_max_f32_e32 v39, v39, v39
	v_add_u32_e32 v27, 0x100, v27
	s_or_b64 s[34:35], vcc, s[34:35]
	v_max_f32_e32 v31, v31, v39
	ds_write_b32 v28, v31
	s_andn2_b64 exec, exec, s[34:35]
	s_cbranch_execnz .LBB54_33
.LBB54_34:                              ;   in Loop: Header=BB54_30 Depth=1
	s_or_b64 exec, exec, s[30:31]
	v_mad_u64_u32 v[30:31], s[30:31], v30, s16, 0
	v_add3_u32 v27, v31, v38, v29
	v_sub_co_u32_e32 v30, vcc, v32, v30
	v_subb_co_u32_e32 v31, vcc, v33, v27, vcc
	v_cmp_gt_i64_e32 vcc, 64, v[30:31]
	v_cndmask_b32_e32 v31, 0, v31, vcc
	v_cndmask_b32_e32 v30, 64, v30, vcc
	v_cmp_lt_i64_e32 vcc, v[14:15], v[30:31]
	s_and_saveexec_b64 s[30:31], vcc
	s_cbranch_execnz .LBB54_46
; %bb.35:                               ;   in Loop: Header=BB54_30 Depth=1
	s_or_b64 exec, exec, s[30:31]
	v_cmp_lt_i64_e32 vcc, v[16:17], v[30:31]
	s_and_saveexec_b64 s[30:31], vcc
	s_cbranch_execnz .LBB54_47
.LBB54_36:                              ;   in Loop: Header=BB54_30 Depth=1
	s_or_b64 exec, exec, s[30:31]
	v_cmp_lt_i64_e32 vcc, v[18:19], v[30:31]
	s_and_saveexec_b64 s[30:31], vcc
	s_cbranch_execz .LBB54_38
.LBB54_37:                              ;   in Loop: Header=BB54_30 Depth=1
	v_mov_b32_e32 v29, s27
	v_add_u32_e32 v32, 32, v28
	v_mov_b32_e32 v33, s27
	flat_load_dword v27, v[28:29] glc
	s_waitcnt vmcnt(0)
	flat_load_dword v34, v[32:33] glc
	s_waitcnt vmcnt(0) lgkmcnt(0)
	v_max_f32_e32 v27, v27, v27
	v_max_f32_e32 v32, v34, v34
	v_max_f32_e32 v27, v27, v32
	flat_store_dword v[28:29], v27
	s_waitcnt vmcnt(0)
.LBB54_38:                              ;   in Loop: Header=BB54_30 Depth=1
	s_or_b64 exec, exec, s[30:31]
	v_cmp_ge_i64_e32 vcc, v[20:21], v[30:31]
	s_and_saveexec_b64 s[30:31], vcc
	s_xor_b64 s[30:31], exec, s[30:31]
; %bb.39:                               ;   in Loop: Header=BB54_30 Depth=1
                                        ; implicit-def: $vgpr28
; %bb.40:                               ;   in Loop: Header=BB54_30 Depth=1
	s_andn2_saveexec_b64 s[30:31], s[30:31]
	s_cbranch_execz .LBB54_42
; %bb.41:                               ;   in Loop: Header=BB54_30 Depth=1
	v_mov_b32_e32 v29, s27
	v_add_u32_e32 v32, 16, v28
	v_mov_b32_e32 v33, s27
	flat_load_dword v27, v[28:29] glc
	s_waitcnt vmcnt(0)
	flat_load_dword v34, v[32:33] glc
	s_waitcnt vmcnt(0) lgkmcnt(0)
	v_max_f32_e32 v27, v27, v27
	v_max_f32_e32 v32, v34, v34
	;; [unrolled: 1-line block ×3, first 2 shown]
	flat_store_dword v[28:29], v27
	s_waitcnt vmcnt(0)
.LBB54_42:                              ;   in Loop: Header=BB54_30 Depth=1
	s_or_b64 exec, exec, s[30:31]
	v_cmp_lt_i64_e32 vcc, v[22:23], v[30:31]
	v_lshlrev_b32_e32 v26, 2, v26
	s_and_saveexec_b64 s[30:31], vcc
	s_cbranch_execz .LBB54_44
; %bb.43:                               ;   in Loop: Header=BB54_30 Depth=1
	v_mov_b32_e32 v27, s27
	v_add_u32_e32 v28, 8, v26
	v_mov_b32_e32 v29, s27
	flat_load_dword v32, v[26:27] glc
	s_waitcnt vmcnt(0)
	flat_load_dword v33, v[28:29] glc
	s_waitcnt vmcnt(0) lgkmcnt(0)
	v_max_f32_e32 v28, v32, v32
	v_max_f32_e32 v29, v33, v33
	;; [unrolled: 1-line block ×3, first 2 shown]
	flat_store_dword v[26:27], v28
	s_waitcnt vmcnt(0)
.LBB54_44:                              ;   in Loop: Header=BB54_30 Depth=1
	s_or_b64 exec, exec, s[30:31]
	v_cmp_lt_i64_e32 vcc, v[24:25], v[30:31]
	s_and_saveexec_b64 s[30:31], vcc
	s_cbranch_execz .LBB54_28
; %bb.45:                               ;   in Loop: Header=BB54_30 Depth=1
	v_mov_b32_e32 v27, s27
	v_add_u32_e32 v28, 4, v26
	v_mov_b32_e32 v29, s27
	flat_load_dword v30, v[26:27] glc
	s_waitcnt vmcnt(0)
	flat_load_dword v31, v[28:29] glc
	s_waitcnt vmcnt(0) lgkmcnt(0)
	v_max_f32_e32 v28, v30, v30
	v_max_f32_e32 v29, v31, v31
	;; [unrolled: 1-line block ×3, first 2 shown]
	flat_store_dword v[26:27], v28
	s_waitcnt vmcnt(0)
	s_branch .LBB54_28
.LBB54_46:                              ;   in Loop: Header=BB54_30 Depth=1
	v_mov_b32_e32 v29, s27
	v_add_u32_e32 v32, 0x80, v28
	v_mov_b32_e32 v33, s27
	flat_load_dword v27, v[28:29] glc
	s_waitcnt vmcnt(0)
	flat_load_dword v34, v[32:33] glc
	s_waitcnt vmcnt(0) lgkmcnt(0)
	v_max_f32_e32 v27, v27, v27
	v_max_f32_e32 v32, v34, v34
	;; [unrolled: 1-line block ×3, first 2 shown]
	flat_store_dword v[28:29], v27
	s_waitcnt vmcnt(0)
	s_or_b64 exec, exec, s[30:31]
	v_cmp_lt_i64_e32 vcc, v[16:17], v[30:31]
	s_and_saveexec_b64 s[30:31], vcc
	s_cbranch_execz .LBB54_36
.LBB54_47:                              ;   in Loop: Header=BB54_30 Depth=1
	v_mov_b32_e32 v29, s27
	v_add_u32_e32 v32, 64, v28
	v_mov_b32_e32 v33, s27
	flat_load_dword v27, v[28:29] glc
	s_waitcnt vmcnt(0)
	flat_load_dword v34, v[32:33] glc
	s_waitcnt vmcnt(0) lgkmcnt(0)
	v_max_f32_e32 v27, v27, v27
	v_max_f32_e32 v32, v34, v34
	v_max_f32_e32 v27, v27, v32
	flat_store_dword v[28:29], v27
	s_waitcnt vmcnt(0)
	s_or_b64 exec, exec, s[30:31]
	v_cmp_lt_i64_e32 vcc, v[18:19], v[30:31]
	s_and_saveexec_b64 s[30:31], vcc
	s_cbranch_execnz .LBB54_37
	s_branch .LBB54_38
.LBB54_48:
	s_load_dwordx2 s[16:17], s[4:5], 0x40
	v_cmp_eq_u32_e32 vcc, 0, v4
	v_cmp_lt_i64_e64 s[2:3], v[6:7], v[8:9]
	s_and_b64 s[2:3], vcc, s[2:3]
	s_waitcnt lgkmcnt(0)
	s_barrier
	s_and_saveexec_b64 s[20:21], s[2:3]
	s_cbranch_execz .LBB54_55
; %bb.49:
	s_load_dwordx2 s[2:3], s[4:5], 0x20
	ds_read_b32 v1, v1
	s_waitcnt lgkmcnt(0)
	s_cmp_eq_u64 s[2:3], 0
	s_cbranch_scc1 .LBB54_51
; %bb.50:
	s_load_dword s2, s[2:3], 0x0
	v_max_f32_e32 v1, v1, v1
	s_waitcnt lgkmcnt(0)
	v_max_f32_e64 v4, s2, s2
	v_min_f32_e32 v1, v1, v4
.LBB54_51:
	s_add_u32 s3, s16, s48
	s_addc_u32 s4, s17, 0
	s_add_u32 s22, s3, -1
	s_addc_u32 s23, s4, -1
	s_or_b64 s[4:5], s[22:23], s[16:17]
	s_mov_b32 s2, 0
	s_mov_b32 s3, s5
	s_cmp_lg_u64 s[2:3], 0
	s_mov_b64 s[24:25], -1
	s_cbranch_scc0 .LBB54_164
; %bb.52:
	s_ashr_i32 s2, s17, 31
	s_add_u32 s4, s16, s2
	s_mov_b32 s3, s2
	s_addc_u32 s5, s17, s2
	s_xor_b64 s[26:27], s[4:5], s[2:3]
	v_cvt_f32_u32_e32 v4, s26
	v_cvt_f32_u32_e32 v5, s27
	s_sub_u32 s2, 0, s26
	s_subb_u32 s3, 0, s27
	v_madmk_f32 v4, v5, 0x4f800000, v4
	v_rcp_f32_e32 v4, v4
	v_mul_f32_e32 v4, 0x5f7ffffc, v4
	v_mul_f32_e32 v5, 0x2f800000, v4
	v_trunc_f32_e32 v5, v5
	v_madmk_f32 v4, v5, 0xcf800000, v4
	v_cvt_u32_f32_e32 v5, v5
	v_cvt_u32_f32_e32 v4, v4
	v_readfirstlane_b32 s4, v5
	v_readfirstlane_b32 s5, v4
	s_mul_i32 s13, s2, s4
	s_mul_hi_u32 s29, s2, s5
	s_mul_i32 s28, s3, s5
	s_add_i32 s13, s29, s13
	s_add_i32 s13, s13, s28
	s_mul_i32 s30, s2, s5
	s_mul_hi_u32 s28, s5, s13
	s_mul_i32 s29, s5, s13
	s_mul_hi_u32 s5, s5, s30
	s_add_u32 s5, s5, s29
	s_addc_u32 s28, 0, s28
	s_mul_hi_u32 s31, s4, s30
	s_mul_i32 s30, s4, s30
	s_add_u32 s5, s5, s30
	s_mul_hi_u32 s29, s4, s13
	s_addc_u32 s5, s28, s31
	s_addc_u32 s28, s29, 0
	s_mul_i32 s13, s4, s13
	s_add_u32 s5, s5, s13
	s_addc_u32 s13, 0, s28
	v_add_co_u32_e32 v4, vcc, s5, v4
	s_cmp_lg_u64 vcc, 0
	s_addc_u32 s4, s4, s13
	v_readfirstlane_b32 s13, v4
	s_mul_i32 s5, s2, s4
	s_mul_hi_u32 s28, s2, s13
	s_add_i32 s5, s28, s5
	s_mul_i32 s3, s3, s13
	s_add_i32 s5, s5, s3
	s_mul_i32 s2, s2, s13
	s_mul_hi_u32 s28, s4, s2
	s_mul_i32 s29, s4, s2
	s_mul_i32 s31, s13, s5
	s_mul_hi_u32 s2, s13, s2
	s_mul_hi_u32 s30, s13, s5
	s_add_u32 s2, s2, s31
	s_addc_u32 s13, 0, s30
	s_add_u32 s2, s2, s29
	s_mul_hi_u32 s3, s4, s5
	s_addc_u32 s2, s13, s28
	s_addc_u32 s3, s3, 0
	s_mul_i32 s5, s4, s5
	s_add_u32 s2, s2, s5
	s_addc_u32 s3, 0, s3
	v_add_co_u32_e32 v4, vcc, s2, v4
	s_cmp_lg_u64 vcc, 0
	s_addc_u32 s4, s4, s3
	s_ashr_i32 s28, s23, 31
	s_add_u32 s2, s22, s28
	s_mov_b32 s29, s28
	s_addc_u32 s3, s23, s28
	s_xor_b64 s[30:31], s[2:3], s[28:29]
	v_readfirstlane_b32 s5, v4
	s_mul_i32 s3, s30, s4
	s_mul_hi_u32 s13, s30, s5
	s_mul_hi_u32 s2, s30, s4
	s_add_u32 s3, s13, s3
	s_addc_u32 s2, 0, s2
	s_mul_hi_u32 s29, s31, s5
	s_mul_i32 s5, s31, s5
	s_add_u32 s3, s3, s5
	s_mul_hi_u32 s13, s31, s4
	s_addc_u32 s2, s2, s29
	s_addc_u32 s3, s13, 0
	s_mul_i32 s4, s31, s4
	s_add_u32 s2, s2, s4
	s_addc_u32 s3, 0, s3
	s_mul_i32 s3, s26, s3
	s_mul_hi_u32 s4, s26, s2
	s_add_i32 s3, s4, s3
	s_mul_i32 s4, s27, s2
	s_mul_i32 s2, s26, s2
	s_add_i32 s13, s3, s4
	v_mov_b32_e32 v4, s2
	s_sub_i32 s3, s31, s13
	v_sub_co_u32_e32 v4, vcc, s30, v4
	s_cmp_lg_u64 vcc, 0
	s_subb_u32 s29, s3, s27
	v_subrev_co_u32_e64 v5, s[2:3], s26, v4
	s_cmp_lg_u64 s[2:3], 0
	s_subb_u32 s30, s29, 0
	s_cmp_ge_u32 s30, s27
	s_cselect_b32 s34, -1, 0
	v_cmp_le_u32_e64 s[4:5], s26, v5
	s_cmp_eq_u32 s30, s27
	v_cndmask_b32_e64 v6, 0, -1, s[4:5]
	v_mov_b32_e32 v7, s34
	s_cselect_b64 s[4:5], -1, 0
	s_cmp_lg_u64 s[2:3], 0
	v_cndmask_b32_e64 v6, v7, v6, s[4:5]
	s_subb_u32 s4, s29, s27
	v_subrev_co_u32_e64 v7, s[2:3], s26, v5
	s_cmp_lg_u64 s[2:3], 0
	s_subb_u32 s4, s4, 0
	v_cmp_ne_u32_e64 s[2:3], 0, v6
	v_cndmask_b32_e64 v5, v5, v7, s[2:3]
	v_mov_b32_e32 v6, s30
	v_mov_b32_e32 v7, s4
	s_cmp_lg_u64 vcc, 0
	v_cndmask_b32_e64 v6, v6, v7, s[2:3]
	s_subb_u32 s2, s31, s13
	s_cmp_ge_u32 s2, s27
	s_cselect_b32 s3, -1, 0
	v_cmp_le_u32_e32 vcc, s26, v4
	s_cmp_eq_u32 s2, s27
	v_cndmask_b32_e64 v7, 0, -1, vcc
	v_mov_b32_e32 v8, s3
	s_cselect_b64 vcc, -1, 0
	v_cndmask_b32_e32 v7, v8, v7, vcc
	v_cmp_ne_u32_e32 vcc, 0, v7
	v_mov_b32_e32 v8, s2
	v_cndmask_b32_e32 v4, v4, v5, vcc
	v_cndmask_b32_e32 v6, v8, v6, vcc
	v_xor_b32_e32 v4, s28, v4
	v_xor_b32_e32 v5, s28, v6
	v_mov_b32_e32 v6, s28
	v_subrev_co_u32_e32 v4, vcc, s28, v4
	v_subb_co_u32_e32 v5, vcc, v5, v6, vcc
	s_cbranch_execnz .LBB54_54
.LBB54_53:
	v_cvt_f32_u32_e32 v4, s16
	s_sub_i32 s2, 0, s16
	v_rcp_iflag_f32_e32 v4, v4
	v_mul_f32_e32 v4, 0x4f7ffffe, v4
	v_cvt_u32_f32_e32 v4, v4
	v_mul_lo_u32 v5, s2, v4
	v_mul_hi_u32 v5, v4, v5
	v_add_u32_e32 v4, v4, v5
	v_mul_hi_u32 v4, s22, v4
	v_mul_lo_u32 v4, v4, s16
	v_sub_u32_e32 v4, s22, v4
	v_subrev_u32_e32 v5, s16, v4
	v_cmp_le_u32_e32 vcc, s16, v4
	v_cndmask_b32_e32 v4, v4, v5, vcc
	v_subrev_u32_e32 v5, s16, v4
	v_cmp_le_u32_e32 vcc, s16, v4
	v_cndmask_b32_e32 v4, v4, v5, vcc
	v_mov_b32_e32 v5, 0
.LBB54_54:
	s_mov_b32 s4, 0x43e00000
	v_div_scale_f32 v6, s[2:3], s4, s4, v1
	v_rcp_f32_e32 v7, v6
	v_div_scale_f32 v8, vcc, v1, s4, v1
	v_fma_f32 v9, -v6, v7, 1.0
	v_fmac_f32_e32 v7, v9, v7
	v_mul_f32_e32 v9, v8, v7
	v_fma_f32 v10, -v6, v9, v8
	v_fmac_f32_e32 v9, v10, v7
	v_fma_f32 v6, -v6, v9, v8
	v_div_fmas_f32 v6, v6, v7, v9
	v_div_fixup_f32 v1, v6, s4, v1
	v_mov_b32_e32 v6, s23
	v_sub_co_u32_e32 v4, vcc, s22, v4
	v_subb_co_u32_e32 v5, vcc, v6, v5, vcc
	v_mul_lo_u32 v5, v5, v2
	v_mul_lo_u32 v6, v4, v3
	v_mad_u64_u32 v[2:3], s[2:3], v4, v2, 0
	s_lshl_b64 s[2:3], s[6:7], 2
	v_add3_u32 v3, v3, v6, v5
	s_add_u32 s2, s2, s10
	v_lshlrev_b64 v[2:3], 2, v[2:3]
	s_addc_u32 s3, s3, s11
	v_mov_b32_e32 v4, s3
	v_add_co_u32_e32 v2, vcc, s2, v2
	v_max_f32_e32 v1, 0x36924925, v1
	v_addc_co_u32_e32 v3, vcc, v4, v3, vcc
	global_store_dword v[2:3], v1, off
.LBB54_55:
	s_or_b64 exec, exec, s[20:21]
	s_barrier
	s_and_saveexec_b64 s[2:3], s[0:1]
	s_cbranch_execz .LBB54_163
; %bb.56:
	s_add_u32 s1, s16, s48
	s_addc_u32 s2, s17, 0
	s_add_u32 s4, s1, -1
	s_addc_u32 s5, s2, -1
	s_or_b64 s[2:3], s[4:5], s[16:17]
	s_mov_b32 s0, 0
	s_mov_b32 s1, s3
	s_cmp_lg_u64 s[0:1], 0
	s_mov_b64 s[20:21], -1
	s_cbranch_scc0 .LBB54_165
; %bb.57:
	s_ashr_i32 s0, s17, 31
	s_add_u32 s2, s16, s0
	s_mov_b32 s1, s0
	s_addc_u32 s3, s17, s0
	s_xor_b64 s[22:23], s[2:3], s[0:1]
	v_cvt_f32_u32_e32 v1, s22
	v_cvt_f32_u32_e32 v2, s23
	s_sub_u32 s0, 0, s22
	s_subb_u32 s1, 0, s23
	v_madmk_f32 v1, v2, 0x4f800000, v1
	v_rcp_f32_e32 v1, v1
	v_mul_f32_e32 v1, 0x5f7ffffc, v1
	v_mul_f32_e32 v2, 0x2f800000, v1
	v_trunc_f32_e32 v2, v2
	v_madmk_f32 v1, v2, 0xcf800000, v1
	v_cvt_u32_f32_e32 v2, v2
	v_cvt_u32_f32_e32 v1, v1
	v_readfirstlane_b32 s2, v2
	v_readfirstlane_b32 s3, v1
	s_mul_i32 s13, s0, s2
	s_mul_hi_u32 s24, s0, s3
	s_mul_i32 s17, s1, s3
	s_add_i32 s13, s24, s13
	s_add_i32 s13, s13, s17
	s_mul_i32 s25, s0, s3
	s_mul_hi_u32 s17, s3, s13
	s_mul_i32 s24, s3, s13
	s_mul_hi_u32 s3, s3, s25
	s_add_u32 s3, s3, s24
	s_addc_u32 s17, 0, s17
	s_mul_hi_u32 s26, s2, s25
	s_mul_i32 s25, s2, s25
	s_add_u32 s3, s3, s25
	s_mul_hi_u32 s24, s2, s13
	s_addc_u32 s3, s17, s26
	s_addc_u32 s17, s24, 0
	s_mul_i32 s13, s2, s13
	s_add_u32 s3, s3, s13
	s_addc_u32 s13, 0, s17
	v_add_co_u32_e32 v1, vcc, s3, v1
	s_cmp_lg_u64 vcc, 0
	s_addc_u32 s2, s2, s13
	v_readfirstlane_b32 s13, v1
	s_mul_i32 s3, s0, s2
	s_mul_hi_u32 s17, s0, s13
	s_add_i32 s3, s17, s3
	s_mul_i32 s1, s1, s13
	s_add_i32 s3, s3, s1
	s_mul_i32 s0, s0, s13
	s_mul_hi_u32 s17, s2, s0
	s_mul_i32 s24, s2, s0
	s_mul_i32 s26, s13, s3
	s_mul_hi_u32 s0, s13, s0
	s_mul_hi_u32 s25, s13, s3
	s_add_u32 s0, s0, s26
	s_addc_u32 s13, 0, s25
	s_add_u32 s0, s0, s24
	s_mul_hi_u32 s1, s2, s3
	s_addc_u32 s0, s13, s17
	s_addc_u32 s1, s1, 0
	s_mul_i32 s3, s2, s3
	s_add_u32 s0, s0, s3
	s_addc_u32 s1, 0, s1
	v_add_co_u32_e32 v1, vcc, s0, v1
	s_cmp_lg_u64 vcc, 0
	s_addc_u32 s2, s2, s1
	s_ashr_i32 s24, s5, 31
	s_add_u32 s0, s4, s24
	s_mov_b32 s25, s24
	s_addc_u32 s1, s5, s24
	s_xor_b64 s[26:27], s[0:1], s[24:25]
	v_readfirstlane_b32 s3, v1
	s_mul_i32 s1, s26, s2
	s_mul_hi_u32 s13, s26, s3
	s_mul_hi_u32 s0, s26, s2
	s_add_u32 s1, s13, s1
	s_addc_u32 s0, 0, s0
	s_mul_hi_u32 s17, s27, s3
	s_mul_i32 s3, s27, s3
	s_add_u32 s1, s1, s3
	s_mul_hi_u32 s13, s27, s2
	s_addc_u32 s0, s0, s17
	s_addc_u32 s1, s13, 0
	s_mul_i32 s2, s27, s2
	s_add_u32 s0, s0, s2
	s_addc_u32 s1, 0, s1
	s_mul_i32 s1, s22, s1
	s_mul_hi_u32 s2, s22, s0
	s_add_i32 s1, s2, s1
	s_mul_i32 s2, s23, s0
	s_mul_i32 s0, s22, s0
	s_add_i32 s13, s1, s2
	v_mov_b32_e32 v1, s0
	s_sub_i32 s1, s27, s13
	v_sub_co_u32_e32 v1, vcc, s26, v1
	s_cmp_lg_u64 vcc, 0
	s_subb_u32 s17, s1, s23
	v_subrev_co_u32_e64 v2, s[0:1], s22, v1
	s_cmp_lg_u64 s[0:1], 0
	s_subb_u32 s25, s17, 0
	s_cmp_ge_u32 s25, s23
	s_cselect_b32 s26, -1, 0
	v_cmp_le_u32_e64 s[2:3], s22, v2
	s_cmp_eq_u32 s25, s23
	v_cndmask_b32_e64 v3, 0, -1, s[2:3]
	v_mov_b32_e32 v4, s26
	s_cselect_b64 s[2:3], -1, 0
	s_cmp_lg_u64 s[0:1], 0
	v_cndmask_b32_e64 v3, v4, v3, s[2:3]
	s_subb_u32 s2, s17, s23
	v_subrev_co_u32_e64 v4, s[0:1], s22, v2
	s_cmp_lg_u64 s[0:1], 0
	s_subb_u32 s2, s2, 0
	v_cmp_ne_u32_e64 s[0:1], 0, v3
	v_cndmask_b32_e64 v2, v2, v4, s[0:1]
	v_mov_b32_e32 v3, s25
	v_mov_b32_e32 v4, s2
	s_cmp_lg_u64 vcc, 0
	v_cndmask_b32_e64 v3, v3, v4, s[0:1]
	s_subb_u32 s0, s27, s13
	s_cmp_ge_u32 s0, s23
	s_cselect_b32 s1, -1, 0
	v_cmp_le_u32_e32 vcc, s22, v1
	s_cmp_eq_u32 s0, s23
	v_cndmask_b32_e64 v4, 0, -1, vcc
	v_mov_b32_e32 v5, s1
	s_cselect_b64 vcc, -1, 0
	v_cndmask_b32_e32 v4, v5, v4, vcc
	v_cmp_ne_u32_e32 vcc, 0, v4
	v_mov_b32_e32 v5, s0
	v_cndmask_b32_e32 v1, v1, v2, vcc
	v_cndmask_b32_e32 v3, v5, v3, vcc
	v_xor_b32_e32 v1, s24, v1
	v_xor_b32_e32 v3, s24, v3
	v_mov_b32_e32 v4, s24
	v_subrev_co_u32_e32 v2, vcc, s24, v1
	v_subb_co_u32_e32 v3, vcc, v3, v4, vcc
	s_cbranch_execnz .LBB54_59
.LBB54_58:
	v_cvt_f32_u32_e32 v1, s16
	s_sub_i32 s0, 0, s16
	v_mov_b32_e32 v3, 0
	v_rcp_iflag_f32_e32 v1, v1
	v_mul_f32_e32 v1, 0x4f7ffffe, v1
	v_cvt_u32_f32_e32 v1, v1
	v_mul_lo_u32 v2, s0, v1
	v_mul_hi_u32 v2, v1, v2
	v_add_u32_e32 v1, v1, v2
	v_mul_hi_u32 v1, s4, v1
	v_mul_lo_u32 v1, v1, s16
	v_sub_u32_e32 v1, s4, v1
	v_subrev_u32_e32 v2, s16, v1
	v_cmp_le_u32_e32 vcc, s16, v1
	v_cndmask_b32_e32 v1, v1, v2, vcc
	v_subrev_u32_e32 v2, s16, v1
	v_cmp_le_u32_e32 vcc, s16, v1
	v_cndmask_b32_e32 v2, v1, v2, vcc
.LBB54_59:
	s_add_u32 s13, s8, s18
	s_addc_u32 s16, s9, s19
	s_lshl_b64 s[0:1], s[6:7], 2
	s_add_u32 s17, s10, s0
	s_addc_u32 s18, s11, s1
	v_mov_b32_e32 v1, s5
	v_sub_co_u32_e32 v12, vcc, s4, v2
	v_subb_co_u32_e32 v13, vcc, v1, v3, vcc
	s_mul_i32 s19, s47, 3
	s_lshl_b32 s20, s47, 1
	s_mov_b64 s[0:1], 0
	v_mov_b32_e32 v1, 0
	v_mov_b32_e32 v14, s44
	;; [unrolled: 1-line block ×5, first 2 shown]
	s_mov_b32 s21, 0x43f00000
	s_mov_b32 s22, 0x3c7fffff
	;; [unrolled: 1-line block ×4, first 2 shown]
	s_movk_i32 s25, 0x80
	s_movk_i32 s26, 0xff
	s_branch .LBB54_65
.LBB54_60:                              ;   in Loop: Header=BB54_65 Depth=1
	s_or_b64 exec, exec, s[10:11]
.LBB54_61:                              ;   in Loop: Header=BB54_65 Depth=1
	s_or_b64 exec, exec, s[8:9]
	v_and_b32_sdwa v7, v18, s25 dst_sel:DWORD dst_unused:UNUSED_PAD src0_sel:BYTE_3 src1_sel:DWORD
	v_lshrrev_b32_e32 v18, 24, v11
	v_lshlrev_b64 v[10:11], 2, v[0:1]
	v_mov_b32_e32 v0, s16
	v_add_co_u32_e32 v10, vcc, s13, v10
	v_and_b32_sdwa v4, v4, s25 dst_sel:DWORD dst_unused:UNUSED_PAD src0_sel:BYTE_3 src1_sel:DWORD
	v_addc_co_u32_e32 v11, vcc, v0, v11, vcc
	v_lshlrev_b32_e32 v0, 24, v6
	v_and_or_b32 v6, v9, s26, v7
	v_and_b32_e32 v5, 0x80000000, v5
	v_lshlrev_b32_e32 v6, 16, v6
	v_and_or_b32 v3, v3, s26, v4
	v_and_b32_e32 v4, 0xff, v8
	v_or3_b32 v0, v5, v0, v6
	v_lshlrev_b32_e32 v3, 8, v3
	v_and_or_b32 v4, v18, s25, v4
	s_add_i32 s8, s47, s47
	v_or3_b32 v0, v0, v3, v4
	s_add_i32 s8, s8, s47
	global_store_dword v[10:11], v0, off
	v_add_u32_e32 v0, s8, v2
	v_cmp_le_u32_e32 vcc, s12, v0
	s_orn2_b64 s[8:9], vcc, exec
.LBB54_62:                              ;   in Loop: Header=BB54_65 Depth=1
	s_or_b64 exec, exec, s[6:7]
	s_orn2_b64 s[6:7], s[8:9], exec
.LBB54_63:                              ;   in Loop: Header=BB54_65 Depth=1
	s_or_b64 exec, exec, s[4:5]
	s_orn2_b64 s[4:5], s[6:7], exec
.LBB54_64:                              ;   in Loop: Header=BB54_65 Depth=1
	s_or_b64 exec, exec, s[2:3]
	s_and_b64 s[2:3], exec, s[4:5]
	s_or_b64 s[0:1], s[2:3], s[0:1]
	s_andn2_b64 exec, exec, s[0:1]
	s_cbranch_execz .LBB54_163
.LBB54_65:                              ; =>This Inner Loop Header: Depth=1
	v_lshlrev_b64 v[2:3], 3, v[0:1]
	v_add_co_u32_e32 v4, vcc, s33, v2
	v_addc_co_u32_e32 v5, vcc, v14, v3, vcc
	v_add_co_u32_e32 v10, vcc, s45, v2
	v_addc_co_u32_e32 v11, vcc, v16, v3, vcc
	global_load_dwordx2 v[4:5], v[4:5], off
	v_bfe_u32 v19, v0, 4, 26
	global_load_dwordx2 v[6:7], v[10:11], off
	v_add_co_u32_e32 v2, vcc, s14, v2
	v_mad_u64_u32 v[8:9], s[2:3], v12, v19, 0
	v_addc_co_u32_e32 v3, vcc, v15, v3, vcc
	v_mov_b32_e32 v18, v9
	global_load_dwordx2 v[2:3], v[2:3], off
	v_mad_u64_u32 v[18:19], s[2:3], v13, v19, v[18:19]
	v_mov_b32_e32 v9, v18
	v_lshlrev_b64 v[8:9], 2, v[8:9]
	v_add_co_u32_e32 v8, vcc, s17, v8
	v_addc_co_u32_e32 v9, vcc, v17, v9, vcc
	global_load_dword v9, v[8:9], off
	v_mov_b32_e32 v8, 0x7f
	s_waitcnt vmcnt(3)
	v_cvt_f32_f16_e32 v20, v4
	v_cvt_f32_f16_sdwa v21, v4 dst_sel:DWORD dst_unused:UNUSED_PAD src0_sel:WORD_1
	s_waitcnt vmcnt(2)
	v_cvt_f32_f16_e32 v22, v6
	v_cvt_f32_f16_sdwa v23, v6 dst_sel:DWORD dst_unused:UNUSED_PAD src0_sel:WORD_1
	v_cvt_f32_f16_e32 v18, v5
	v_cvt_f32_f16_sdwa v19, v5 dst_sel:DWORD dst_unused:UNUSED_PAD src0_sel:WORD_1
	;; [unrolled: 2-line block ×3, first 2 shown]
	v_pk_add_f32 v[6:7], v[20:21], v[22:23]
	v_cvt_f16_f32_e32 v21, v6
	v_fma_mixlo_f16 v6, v36, v6, 0
	v_pk_add_f32 v[4:5], v[18:19], v[4:5]
	s_waitcnt vmcnt(1)
	v_mul_f16_e32 v6, v2, v6
	v_cvt_f16_f32_e32 v18, v5
	v_cvt_f16_f32_e32 v19, v4
	;; [unrolled: 1-line block ×3, first 2 shown]
	v_cvt_f32_f16_e32 v6, v6
	v_pack_b32_f16 v19, v19, v18
	v_pack_b32_f16 v18, v21, v20
	s_waitcnt vmcnt(0)
	v_div_scale_f32 v20, s[2:3], v9, v9, v6
	v_rcp_f32_e32 v21, v20
	global_store_dwordx2 v[10:11], v[18:19], off
	v_div_scale_f32 v10, vcc, v6, v9, v6
	v_fma_f32 v11, -v20, v21, 1.0
	v_fmac_f32_e32 v21, v11, v21
	v_mul_f32_e32 v11, v10, v21
	v_fma_f32 v18, -v20, v11, v10
	v_fmac_f32_e32 v11, v18, v21
	v_fma_f32 v10, -v20, v11, v10
	v_div_fmas_f32 v10, v10, v21, v11
	v_div_fixup_f32 v6, v10, v9, v6
	v_min_f32_e32 v6, 0x43e00000, v6
	v_max_f32_e32 v10, 0xc3e00000, v6
	v_and_b32_e32 v11, 0x7fffffff, v10
	v_cmp_gt_u32_e32 vcc, s21, v11
	v_mov_b32_e32 v6, 0x7f
	s_and_saveexec_b64 s[2:3], vcc
	s_cbranch_execz .LBB54_71
; %bb.66:                               ;   in Loop: Header=BB54_65 Depth=1
	v_cmp_lt_u32_e32 vcc, s22, v11
                                        ; implicit-def: $vgpr6
	s_and_saveexec_b64 s[4:5], vcc
	s_xor_b64 s[4:5], exec, s[4:5]
; %bb.67:                               ;   in Loop: Header=BB54_65 Depth=1
	v_bfe_u32 v6, v10, 20, 1
	v_add3_u32 v6, v10, v6, s23
	v_lshrrev_b32_e32 v6, 20, v6
; %bb.68:                               ;   in Loop: Header=BB54_65 Depth=1
	s_andn2_saveexec_b64 s[4:5], s[4:5]
; %bb.69:                               ;   in Loop: Header=BB54_65 Depth=1
	v_add_f32_e64 v6, |v10|, s24
; %bb.70:                               ;   in Loop: Header=BB54_65 Depth=1
	s_or_b64 exec, exec, s[4:5]
.LBB54_71:                              ;   in Loop: Header=BB54_65 Depth=1
	s_or_b64 exec, exec, s[2:3]
	v_fma_mixlo_f16 v7, v36, v7, 0
	v_mul_f16_sdwa v2, v2, v7 dst_sel:DWORD dst_unused:UNUSED_PAD src0_sel:WORD_1 src1_sel:DWORD
	v_cvt_f32_f16_e32 v2, v2
	v_div_scale_f32 v7, s[2:3], v9, v9, v2
	v_rcp_f32_e32 v11, v7
	v_div_scale_f32 v18, vcc, v2, v9, v2
	v_fma_f32 v19, -v7, v11, 1.0
	v_fmac_f32_e32 v11, v19, v11
	v_mul_f32_e32 v19, v18, v11
	v_fma_f32 v20, -v7, v19, v18
	v_fmac_f32_e32 v19, v20, v11
	v_fma_f32 v7, -v7, v19, v18
	v_div_fmas_f32 v7, v7, v11, v19
	v_div_fixup_f32 v2, v7, v9, v2
	v_min_f32_e32 v2, 0x43e00000, v2
	v_max_f32_e32 v2, 0xc3e00000, v2
	v_and_b32_e32 v7, 0x7fffffff, v2
	v_cmp_gt_u32_e32 vcc, s21, v7
	s_and_saveexec_b64 s[2:3], vcc
	s_cbranch_execz .LBB54_77
; %bb.72:                               ;   in Loop: Header=BB54_65 Depth=1
	v_cmp_lt_u32_e32 vcc, s22, v7
                                        ; implicit-def: $vgpr8
	s_and_saveexec_b64 s[4:5], vcc
	s_xor_b64 s[4:5], exec, s[4:5]
; %bb.73:                               ;   in Loop: Header=BB54_65 Depth=1
	v_bfe_u32 v7, v2, 20, 1
	v_add3_u32 v7, v2, v7, s23
	v_lshrrev_b32_e32 v8, 20, v7
; %bb.74:                               ;   in Loop: Header=BB54_65 Depth=1
	s_andn2_saveexec_b64 s[4:5], s[4:5]
; %bb.75:                               ;   in Loop: Header=BB54_65 Depth=1
	v_add_f32_e64 v8, |v2|, s24
; %bb.76:                               ;   in Loop: Header=BB54_65 Depth=1
	s_or_b64 exec, exec, s[4:5]
.LBB54_77:                              ;   in Loop: Header=BB54_65 Depth=1
	s_or_b64 exec, exec, s[2:3]
	v_fma_mixlo_f16 v4, v36, v4, 0
	v_mul_f16_e32 v4, v3, v4
	v_cvt_f32_f16_e32 v7, v4
	v_mov_b32_e32 v4, 0x7f
	v_div_scale_f32 v11, s[2:3], v9, v9, v7
	v_rcp_f32_e32 v18, v11
	v_div_scale_f32 v19, vcc, v7, v9, v7
	v_fma_f32 v20, -v11, v18, 1.0
	v_fmac_f32_e32 v18, v20, v18
	v_mul_f32_e32 v20, v19, v18
	v_fma_f32 v21, -v11, v20, v19
	v_fmac_f32_e32 v20, v21, v18
	v_fma_f32 v11, -v11, v20, v19
	v_div_fmas_f32 v11, v11, v18, v20
	v_div_fixup_f32 v7, v11, v9, v7
	v_min_f32_e32 v7, 0x43e00000, v7
	v_max_f32_e32 v11, 0xc3e00000, v7
	v_and_b32_e32 v18, 0x7fffffff, v11
	v_cmp_gt_u32_e32 vcc, s21, v18
	v_mov_b32_e32 v7, 0x7f
	s_and_saveexec_b64 s[2:3], vcc
	s_cbranch_execz .LBB54_83
; %bb.78:                               ;   in Loop: Header=BB54_65 Depth=1
	v_cmp_lt_u32_e32 vcc, s22, v18
                                        ; implicit-def: $vgpr7
	s_and_saveexec_b64 s[4:5], vcc
	s_xor_b64 s[4:5], exec, s[4:5]
; %bb.79:                               ;   in Loop: Header=BB54_65 Depth=1
	v_bfe_u32 v7, v11, 20, 1
	v_add3_u32 v7, v11, v7, s23
	v_lshrrev_b32_e32 v7, 20, v7
; %bb.80:                               ;   in Loop: Header=BB54_65 Depth=1
	s_andn2_saveexec_b64 s[4:5], s[4:5]
; %bb.81:                               ;   in Loop: Header=BB54_65 Depth=1
	v_add_f32_e64 v7, |v11|, s24
; %bb.82:                               ;   in Loop: Header=BB54_65 Depth=1
	s_or_b64 exec, exec, s[4:5]
.LBB54_83:                              ;   in Loop: Header=BB54_65 Depth=1
	s_or_b64 exec, exec, s[2:3]
	v_fma_mixlo_f16 v5, v36, v5, 0
	v_mul_f16_sdwa v3, v3, v5 dst_sel:DWORD dst_unused:UNUSED_PAD src0_sel:WORD_1 src1_sel:DWORD
	v_cvt_f32_f16_e32 v3, v3
	v_div_scale_f32 v5, s[2:3], v9, v9, v3
	v_rcp_f32_e32 v18, v5
	v_div_scale_f32 v19, vcc, v3, v9, v3
	v_fma_f32 v20, -v5, v18, 1.0
	v_fmac_f32_e32 v18, v20, v18
	v_mul_f32_e32 v20, v19, v18
	v_fma_f32 v21, -v5, v20, v19
	v_fmac_f32_e32 v20, v21, v18
	v_fma_f32 v5, -v5, v20, v19
	v_div_fmas_f32 v5, v5, v18, v20
	v_div_fixup_f32 v3, v5, v9, v3
	v_min_f32_e32 v3, 0x43e00000, v3
	v_max_f32_e32 v3, 0xc3e00000, v3
	v_and_b32_e32 v5, 0x7fffffff, v3
	v_cmp_gt_u32_e32 vcc, s21, v5
	s_and_saveexec_b64 s[2:3], vcc
	s_cbranch_execz .LBB54_89
; %bb.84:                               ;   in Loop: Header=BB54_65 Depth=1
	v_cmp_lt_u32_e32 vcc, s22, v5
                                        ; implicit-def: $vgpr4
	s_and_saveexec_b64 s[4:5], vcc
	s_xor_b64 s[4:5], exec, s[4:5]
; %bb.85:                               ;   in Loop: Header=BB54_65 Depth=1
	v_bfe_u32 v4, v3, 20, 1
	v_add3_u32 v4, v3, v4, s23
	v_lshrrev_b32_e32 v4, 20, v4
; %bb.86:                               ;   in Loop: Header=BB54_65 Depth=1
	s_andn2_saveexec_b64 s[4:5], s[4:5]
; %bb.87:                               ;   in Loop: Header=BB54_65 Depth=1
	v_add_f32_e64 v4, |v3|, s24
; %bb.88:                               ;   in Loop: Header=BB54_65 Depth=1
	s_or_b64 exec, exec, s[4:5]
.LBB54_89:                              ;   in Loop: Header=BB54_65 Depth=1
	s_or_b64 exec, exec, s[2:3]
	v_and_b32_sdwa v5, v11, s25 dst_sel:DWORD dst_unused:UNUSED_PAD src0_sel:BYTE_3 src1_sel:DWORD
	v_and_or_b32 v5, v7, s26, v5
	v_and_b32_sdwa v2, v2, s25 dst_sel:DWORD dst_unused:UNUSED_PAD src0_sel:BYTE_3 src1_sel:DWORD
	v_lshlrev_b32_e32 v4, 24, v4
	v_and_b32_e32 v3, 0x80000000, v3
	v_lshlrev_b32_e32 v5, 16, v5
	v_lshrrev_b32_e32 v9, 24, v10
	v_lshlrev_b64 v[10:11], 2, v[0:1]
	v_or3_b32 v3, v3, v4, v5
	v_and_or_b32 v2, v8, s26, v2
	v_and_b32_e32 v4, 0xff, v6
	v_mov_b32_e32 v18, s16
	v_add_co_u32_e32 v10, vcc, s13, v10
	v_lshlrev_b32_e32 v2, 8, v2
	v_and_or_b32 v4, v9, s25, v4
	v_addc_co_u32_e32 v11, vcc, v18, v11, vcc
	v_or3_b32 v2, v3, v2, v4
	global_store_dword v[10:11], v2, off
	v_add_u32_e32 v2, s47, v0
	v_cmp_gt_u32_e32 vcc, s12, v2
	s_mov_b64 s[4:5], -1
	s_and_saveexec_b64 s[2:3], vcc
	s_cbranch_execz .LBB54_64
; %bb.90:                               ;   in Loop: Header=BB54_65 Depth=1
	v_mov_b32_e32 v3, v1
	v_lshlrev_b64 v[4:5], 3, v[2:3]
	v_mov_b32_e32 v7, s44
	v_add_co_u32_e32 v6, vcc, s33, v4
	v_addc_co_u32_e32 v7, vcc, v7, v5, vcc
	v_mov_b32_e32 v8, s46
	v_add_co_u32_e32 v18, vcc, s45, v4
	v_addc_co_u32_e32 v19, vcc, v8, v5, vcc
	global_load_dwordx2 v[6:7], v[6:7], off
	v_mov_b32_e32 v10, s15
	global_load_dwordx2 v[8:9], v[18:19], off
	v_add_co_u32_e32 v4, vcc, s14, v4
	v_bfe_u32 v21, v2, 4, 26
	v_addc_co_u32_e32 v5, vcc, v10, v5, vcc
	v_mad_u64_u32 v[10:11], s[4:5], v12, v21, 0
	v_mov_b32_e32 v20, v11
	global_load_dwordx2 v[4:5], v[4:5], off
	v_mad_u64_u32 v[20:21], s[4:5], v13, v21, v[20:21]
	v_mov_b32_e32 v11, v20
	v_lshlrev_b64 v[10:11], 2, v[10:11]
	v_mov_b32_e32 v20, s18
	v_add_co_u32_e32 v10, vcc, s17, v10
	v_addc_co_u32_e32 v11, vcc, v20, v11, vcc
	global_load_dword v11, v[10:11], off
	v_mov_b32_e32 v10, 0x7f
	s_waitcnt vmcnt(3)
	v_cvt_f32_f16_e32 v22, v6
	v_cvt_f32_f16_sdwa v23, v6 dst_sel:DWORD dst_unused:UNUSED_PAD src0_sel:WORD_1
	s_waitcnt vmcnt(2)
	v_cvt_f32_f16_e32 v24, v8
	v_cvt_f32_f16_sdwa v25, v8 dst_sel:DWORD dst_unused:UNUSED_PAD src0_sel:WORD_1
	v_cvt_f32_f16_e32 v20, v7
	v_cvt_f32_f16_sdwa v21, v7 dst_sel:DWORD dst_unused:UNUSED_PAD src0_sel:WORD_1
	v_cvt_f32_f16_e32 v6, v9
	v_cvt_f32_f16_sdwa v7, v9 dst_sel:DWORD dst_unused:UNUSED_PAD src0_sel:WORD_1
	v_pk_add_f32 v[8:9], v[22:23], v[24:25]
	v_cvt_f16_f32_e32 v23, v8
	v_fma_mixlo_f16 v8, v36, v8, 0
	v_pk_add_f32 v[6:7], v[20:21], v[6:7]
	s_waitcnt vmcnt(1)
	v_mul_f16_e32 v8, v4, v8
	v_cvt_f16_f32_e32 v20, v7
	v_cvt_f16_f32_e32 v21, v6
	;; [unrolled: 1-line block ×3, first 2 shown]
	v_cvt_f32_f16_e32 v8, v8
	v_pack_b32_f16 v21, v21, v20
	v_pack_b32_f16 v20, v23, v22
	global_store_dwordx2 v[18:19], v[20:21], off
	s_waitcnt vmcnt(1)
	v_div_scale_f32 v22, s[4:5], v11, v11, v8
	v_rcp_f32_e32 v23, v22
	v_div_scale_f32 v18, vcc, v8, v11, v8
	v_fma_f32 v19, -v22, v23, 1.0
	v_fmac_f32_e32 v23, v19, v23
	v_mul_f32_e32 v19, v18, v23
	v_fma_f32 v20, -v22, v19, v18
	v_fmac_f32_e32 v19, v20, v23
	v_fma_f32 v18, -v22, v19, v18
	v_div_fmas_f32 v18, v18, v23, v19
	v_div_fixup_f32 v8, v18, v11, v8
	v_min_f32_e32 v8, 0x43e00000, v8
	v_max_f32_e32 v18, 0xc3e00000, v8
	v_and_b32_e32 v19, 0x7fffffff, v18
	v_cmp_gt_u32_e32 vcc, s21, v19
	v_mov_b32_e32 v8, 0x7f
	s_and_saveexec_b64 s[4:5], vcc
	s_cbranch_execz .LBB54_96
; %bb.91:                               ;   in Loop: Header=BB54_65 Depth=1
	v_cmp_lt_u32_e32 vcc, s22, v19
                                        ; implicit-def: $vgpr8
	s_and_saveexec_b64 s[6:7], vcc
	s_xor_b64 s[6:7], exec, s[6:7]
; %bb.92:                               ;   in Loop: Header=BB54_65 Depth=1
	v_bfe_u32 v8, v18, 20, 1
	v_add3_u32 v8, v18, v8, s23
	v_lshrrev_b32_e32 v8, 20, v8
; %bb.93:                               ;   in Loop: Header=BB54_65 Depth=1
	s_andn2_saveexec_b64 s[6:7], s[6:7]
; %bb.94:                               ;   in Loop: Header=BB54_65 Depth=1
	v_add_f32_e64 v8, |v18|, s24
; %bb.95:                               ;   in Loop: Header=BB54_65 Depth=1
	s_or_b64 exec, exec, s[6:7]
.LBB54_96:                              ;   in Loop: Header=BB54_65 Depth=1
	s_or_b64 exec, exec, s[4:5]
	v_fma_mixlo_f16 v9, v36, v9, 0
	v_mul_f16_sdwa v4, v4, v9 dst_sel:DWORD dst_unused:UNUSED_PAD src0_sel:WORD_1 src1_sel:DWORD
	v_cvt_f32_f16_e32 v4, v4
	v_div_scale_f32 v9, s[4:5], v11, v11, v4
	v_rcp_f32_e32 v19, v9
	v_div_scale_f32 v20, vcc, v4, v11, v4
	v_fma_f32 v21, -v9, v19, 1.0
	v_fmac_f32_e32 v19, v21, v19
	v_mul_f32_e32 v21, v20, v19
	v_fma_f32 v22, -v9, v21, v20
	v_fmac_f32_e32 v21, v22, v19
	v_fma_f32 v9, -v9, v21, v20
	v_div_fmas_f32 v9, v9, v19, v21
	v_div_fixup_f32 v4, v9, v11, v4
	v_min_f32_e32 v4, 0x43e00000, v4
	v_max_f32_e32 v4, 0xc3e00000, v4
	v_and_b32_e32 v9, 0x7fffffff, v4
	v_cmp_gt_u32_e32 vcc, s21, v9
	s_and_saveexec_b64 s[4:5], vcc
	s_cbranch_execz .LBB54_102
; %bb.97:                               ;   in Loop: Header=BB54_65 Depth=1
	v_cmp_lt_u32_e32 vcc, s22, v9
                                        ; implicit-def: $vgpr10
	s_and_saveexec_b64 s[6:7], vcc
	s_xor_b64 s[6:7], exec, s[6:7]
; %bb.98:                               ;   in Loop: Header=BB54_65 Depth=1
	v_bfe_u32 v9, v4, 20, 1
	v_add3_u32 v9, v4, v9, s23
	v_lshrrev_b32_e32 v10, 20, v9
; %bb.99:                               ;   in Loop: Header=BB54_65 Depth=1
	s_andn2_saveexec_b64 s[6:7], s[6:7]
; %bb.100:                              ;   in Loop: Header=BB54_65 Depth=1
	v_add_f32_e64 v10, |v4|, s24
; %bb.101:                              ;   in Loop: Header=BB54_65 Depth=1
	s_or_b64 exec, exec, s[6:7]
.LBB54_102:                             ;   in Loop: Header=BB54_65 Depth=1
	s_or_b64 exec, exec, s[4:5]
	v_fma_mixlo_f16 v6, v36, v6, 0
	v_mul_f16_e32 v6, v5, v6
	v_cvt_f32_f16_e32 v9, v6
	v_mov_b32_e32 v6, 0x7f
	v_div_scale_f32 v19, s[4:5], v11, v11, v9
	v_rcp_f32_e32 v20, v19
	v_div_scale_f32 v21, vcc, v9, v11, v9
	v_fma_f32 v22, -v19, v20, 1.0
	v_fmac_f32_e32 v20, v22, v20
	v_mul_f32_e32 v22, v21, v20
	v_fma_f32 v23, -v19, v22, v21
	v_fmac_f32_e32 v22, v23, v20
	v_fma_f32 v19, -v19, v22, v21
	v_div_fmas_f32 v19, v19, v20, v22
	v_div_fixup_f32 v9, v19, v11, v9
	v_min_f32_e32 v9, 0x43e00000, v9
	v_max_f32_e32 v19, 0xc3e00000, v9
	v_and_b32_e32 v20, 0x7fffffff, v19
	v_cmp_gt_u32_e32 vcc, s21, v20
	v_mov_b32_e32 v9, 0x7f
	s_and_saveexec_b64 s[4:5], vcc
	s_cbranch_execz .LBB54_108
; %bb.103:                              ;   in Loop: Header=BB54_65 Depth=1
	v_cmp_lt_u32_e32 vcc, s22, v20
                                        ; implicit-def: $vgpr9
	s_and_saveexec_b64 s[6:7], vcc
	s_xor_b64 s[6:7], exec, s[6:7]
; %bb.104:                              ;   in Loop: Header=BB54_65 Depth=1
	v_bfe_u32 v9, v19, 20, 1
	v_add3_u32 v9, v19, v9, s23
	v_lshrrev_b32_e32 v9, 20, v9
; %bb.105:                              ;   in Loop: Header=BB54_65 Depth=1
	s_andn2_saveexec_b64 s[6:7], s[6:7]
; %bb.106:                              ;   in Loop: Header=BB54_65 Depth=1
	v_add_f32_e64 v9, |v19|, s24
; %bb.107:                              ;   in Loop: Header=BB54_65 Depth=1
	s_or_b64 exec, exec, s[6:7]
.LBB54_108:                             ;   in Loop: Header=BB54_65 Depth=1
	s_or_b64 exec, exec, s[4:5]
	v_fma_mixlo_f16 v7, v36, v7, 0
	v_mul_f16_sdwa v5, v5, v7 dst_sel:DWORD dst_unused:UNUSED_PAD src0_sel:WORD_1 src1_sel:DWORD
	v_cvt_f32_f16_e32 v5, v5
	v_div_scale_f32 v7, s[4:5], v11, v11, v5
	v_rcp_f32_e32 v20, v7
	v_div_scale_f32 v21, vcc, v5, v11, v5
	v_fma_f32 v22, -v7, v20, 1.0
	v_fmac_f32_e32 v20, v22, v20
	v_mul_f32_e32 v22, v21, v20
	v_fma_f32 v23, -v7, v22, v21
	v_fmac_f32_e32 v22, v23, v20
	v_fma_f32 v7, -v7, v22, v21
	v_div_fmas_f32 v7, v7, v20, v22
	v_div_fixup_f32 v5, v7, v11, v5
	v_min_f32_e32 v5, 0x43e00000, v5
	v_max_f32_e32 v5, 0xc3e00000, v5
	v_and_b32_e32 v7, 0x7fffffff, v5
	v_cmp_gt_u32_e32 vcc, s21, v7
	s_and_saveexec_b64 s[4:5], vcc
	s_cbranch_execz .LBB54_114
; %bb.109:                              ;   in Loop: Header=BB54_65 Depth=1
	v_cmp_lt_u32_e32 vcc, s22, v7
                                        ; implicit-def: $vgpr6
	s_and_saveexec_b64 s[6:7], vcc
	s_xor_b64 s[6:7], exec, s[6:7]
; %bb.110:                              ;   in Loop: Header=BB54_65 Depth=1
	v_bfe_u32 v6, v5, 20, 1
	v_add3_u32 v6, v5, v6, s23
	v_lshrrev_b32_e32 v6, 20, v6
; %bb.111:                              ;   in Loop: Header=BB54_65 Depth=1
	s_andn2_saveexec_b64 s[6:7], s[6:7]
; %bb.112:                              ;   in Loop: Header=BB54_65 Depth=1
	v_add_f32_e64 v6, |v5|, s24
; %bb.113:                              ;   in Loop: Header=BB54_65 Depth=1
	s_or_b64 exec, exec, s[6:7]
.LBB54_114:                             ;   in Loop: Header=BB54_65 Depth=1
	s_or_b64 exec, exec, s[4:5]
	v_and_b32_sdwa v7, v19, s25 dst_sel:DWORD dst_unused:UNUSED_PAD src0_sel:BYTE_3 src1_sel:DWORD
	v_lshrrev_b32_e32 v11, 24, v18
	v_lshlrev_b64 v[18:19], 2, v[2:3]
	v_mov_b32_e32 v3, s16
	v_add_co_u32_e32 v18, vcc, s13, v18
	v_addc_co_u32_e32 v19, vcc, v3, v19, vcc
	v_lshlrev_b32_e32 v3, 24, v6
	v_and_or_b32 v6, v9, s26, v7
	v_and_b32_sdwa v4, v4, s25 dst_sel:DWORD dst_unused:UNUSED_PAD src0_sel:BYTE_3 src1_sel:DWORD
	v_and_b32_e32 v5, 0x80000000, v5
	v_lshlrev_b32_e32 v6, 16, v6
	v_or3_b32 v3, v5, v3, v6
	v_and_or_b32 v4, v10, s26, v4
	v_and_b32_e32 v5, 0xff, v8
	v_lshlrev_b32_e32 v4, 8, v4
	v_and_or_b32 v5, v11, s25, v5
	v_or3_b32 v3, v3, v4, v5
	v_add_u32_e32 v4, s20, v0
	v_cmp_gt_u32_e32 vcc, s12, v4
	s_mov_b64 s[6:7], -1
	global_store_dword v[18:19], v3, off
	s_and_saveexec_b64 s[4:5], vcc
	s_cbranch_execz .LBB54_63
; %bb.115:                              ;   in Loop: Header=BB54_65 Depth=1
	v_mov_b32_e32 v5, v1
	v_lshlrev_b64 v[6:7], 3, v[4:5]
	v_mov_b32_e32 v3, s44
	v_add_co_u32_e32 v8, vcc, s33, v6
	v_addc_co_u32_e32 v9, vcc, v3, v7, vcc
	v_mov_b32_e32 v10, s46
	v_add_co_u32_e32 v20, vcc, s45, v6
	v_addc_co_u32_e32 v21, vcc, v10, v7, vcc
	global_load_dwordx2 v[8:9], v[8:9], off
	v_mov_b32_e32 v3, s15
	global_load_dwordx2 v[10:11], v[20:21], off
	v_add_co_u32_e32 v6, vcc, s14, v6
	v_addc_co_u32_e32 v7, vcc, v3, v7, vcc
	v_bfe_u32 v3, v4, 4, 26
	v_mad_u64_u32 v[18:19], s[6:7], v12, v3, 0
	v_mov_b32_e32 v22, v19
	global_load_dwordx2 v[6:7], v[6:7], off
	v_mad_u64_u32 v[22:23], s[6:7], v13, v3, v[22:23]
	v_mov_b32_e32 v19, v22
	v_lshlrev_b64 v[18:19], 2, v[18:19]
	v_mov_b32_e32 v3, s18
	v_add_co_u32_e32 v18, vcc, s17, v18
	v_addc_co_u32_e32 v19, vcc, v3, v19, vcc
	global_load_dword v18, v[18:19], off
	v_mov_b32_e32 v3, 0x7f
	s_waitcnt vmcnt(3)
	v_cvt_f32_f16_e32 v24, v8
	v_cvt_f32_f16_sdwa v25, v8 dst_sel:DWORD dst_unused:UNUSED_PAD src0_sel:WORD_1
	s_waitcnt vmcnt(2)
	v_cvt_f32_f16_e32 v26, v10
	v_cvt_f32_f16_sdwa v27, v10 dst_sel:DWORD dst_unused:UNUSED_PAD src0_sel:WORD_1
	v_cvt_f32_f16_e32 v22, v9
	v_cvt_f32_f16_sdwa v23, v9 dst_sel:DWORD dst_unused:UNUSED_PAD src0_sel:WORD_1
	;; [unrolled: 2-line block ×3, first 2 shown]
	v_pk_add_f32 v[10:11], v[24:25], v[26:27]
	v_cvt_f16_f32_e32 v25, v10
	v_fma_mixlo_f16 v10, v36, v10, 0
	v_pk_add_f32 v[8:9], v[22:23], v[8:9]
	s_waitcnt vmcnt(1)
	v_mul_f16_e32 v10, v6, v10
	v_cvt_f16_f32_e32 v19, v9
	v_cvt_f16_f32_e32 v22, v8
	v_cvt_f32_f16_e32 v10, v10
	v_cvt_f16_f32_e32 v24, v11
	v_pack_b32_f16 v23, v22, v19
	v_pack_b32_f16 v22, v25, v24
	s_waitcnt vmcnt(0)
	v_div_scale_f32 v19, s[6:7], v18, v18, v10
	v_rcp_f32_e32 v24, v19
	global_store_dwordx2 v[20:21], v[22:23], off
	v_div_scale_f32 v20, vcc, v10, v18, v10
	v_fma_f32 v21, -v19, v24, 1.0
	v_fmac_f32_e32 v24, v21, v24
	v_mul_f32_e32 v21, v20, v24
	v_fma_f32 v22, -v19, v21, v20
	v_fmac_f32_e32 v21, v22, v24
	v_fma_f32 v19, -v19, v21, v20
	v_div_fmas_f32 v19, v19, v24, v21
	v_div_fixup_f32 v10, v19, v18, v10
	v_min_f32_e32 v10, 0x43e00000, v10
	v_max_f32_e32 v19, 0xc3e00000, v10
	v_and_b32_e32 v20, 0x7fffffff, v19
	v_cmp_gt_u32_e32 vcc, s21, v20
	v_mov_b32_e32 v10, 0x7f
	s_and_saveexec_b64 s[6:7], vcc
	s_cbranch_execz .LBB54_121
; %bb.116:                              ;   in Loop: Header=BB54_65 Depth=1
	v_cmp_lt_u32_e32 vcc, s22, v20
                                        ; implicit-def: $vgpr10
	s_and_saveexec_b64 s[8:9], vcc
	s_xor_b64 s[8:9], exec, s[8:9]
; %bb.117:                              ;   in Loop: Header=BB54_65 Depth=1
	v_bfe_u32 v10, v19, 20, 1
	v_add3_u32 v10, v19, v10, s23
	v_lshrrev_b32_e32 v10, 20, v10
; %bb.118:                              ;   in Loop: Header=BB54_65 Depth=1
	s_andn2_saveexec_b64 s[8:9], s[8:9]
; %bb.119:                              ;   in Loop: Header=BB54_65 Depth=1
	v_add_f32_e64 v10, |v19|, s24
; %bb.120:                              ;   in Loop: Header=BB54_65 Depth=1
	s_or_b64 exec, exec, s[8:9]
.LBB54_121:                             ;   in Loop: Header=BB54_65 Depth=1
	s_or_b64 exec, exec, s[6:7]
	v_fma_mixlo_f16 v11, v36, v11, 0
	v_mul_f16_sdwa v6, v6, v11 dst_sel:DWORD dst_unused:UNUSED_PAD src0_sel:WORD_1 src1_sel:DWORD
	v_cvt_f32_f16_e32 v6, v6
	v_div_scale_f32 v11, s[6:7], v18, v18, v6
	v_rcp_f32_e32 v20, v11
	v_div_scale_f32 v21, vcc, v6, v18, v6
	v_fma_f32 v22, -v11, v20, 1.0
	v_fmac_f32_e32 v20, v22, v20
	v_mul_f32_e32 v22, v21, v20
	v_fma_f32 v23, -v11, v22, v21
	v_fmac_f32_e32 v22, v23, v20
	v_fma_f32 v11, -v11, v22, v21
	v_div_fmas_f32 v11, v11, v20, v22
	v_div_fixup_f32 v6, v11, v18, v6
	v_min_f32_e32 v6, 0x43e00000, v6
	v_max_f32_e32 v6, 0xc3e00000, v6
	v_and_b32_e32 v11, 0x7fffffff, v6
	v_cmp_gt_u32_e32 vcc, s21, v11
	s_and_saveexec_b64 s[6:7], vcc
	s_cbranch_execz .LBB54_127
; %bb.122:                              ;   in Loop: Header=BB54_65 Depth=1
	v_cmp_lt_u32_e32 vcc, s22, v11
                                        ; implicit-def: $vgpr3
	s_and_saveexec_b64 s[8:9], vcc
	s_xor_b64 s[8:9], exec, s[8:9]
; %bb.123:                              ;   in Loop: Header=BB54_65 Depth=1
	v_bfe_u32 v3, v6, 20, 1
	v_add3_u32 v3, v6, v3, s23
	v_lshrrev_b32_e32 v3, 20, v3
; %bb.124:                              ;   in Loop: Header=BB54_65 Depth=1
	s_andn2_saveexec_b64 s[8:9], s[8:9]
; %bb.125:                              ;   in Loop: Header=BB54_65 Depth=1
	v_add_f32_e64 v3, |v6|, s24
; %bb.126:                              ;   in Loop: Header=BB54_65 Depth=1
	s_or_b64 exec, exec, s[8:9]
.LBB54_127:                             ;   in Loop: Header=BB54_65 Depth=1
	s_or_b64 exec, exec, s[6:7]
	v_fma_mixlo_f16 v8, v36, v8, 0
	v_mul_f16_e32 v8, v7, v8
	v_cvt_f32_f16_e32 v11, v8
	v_mov_b32_e32 v8, 0x7f
	v_div_scale_f32 v20, s[6:7], v18, v18, v11
	v_rcp_f32_e32 v21, v20
	v_div_scale_f32 v22, vcc, v11, v18, v11
	v_fma_f32 v23, -v20, v21, 1.0
	v_fmac_f32_e32 v21, v23, v21
	v_mul_f32_e32 v23, v22, v21
	v_fma_f32 v24, -v20, v23, v22
	v_fmac_f32_e32 v23, v24, v21
	v_fma_f32 v20, -v20, v23, v22
	v_div_fmas_f32 v20, v20, v21, v23
	v_div_fixup_f32 v11, v20, v18, v11
	v_min_f32_e32 v11, 0x43e00000, v11
	v_max_f32_e32 v20, 0xc3e00000, v11
	v_and_b32_e32 v21, 0x7fffffff, v20
	v_cmp_gt_u32_e32 vcc, s21, v21
	v_mov_b32_e32 v11, 0x7f
	s_and_saveexec_b64 s[6:7], vcc
	s_cbranch_execz .LBB54_133
; %bb.128:                              ;   in Loop: Header=BB54_65 Depth=1
	v_cmp_lt_u32_e32 vcc, s22, v21
                                        ; implicit-def: $vgpr11
	s_and_saveexec_b64 s[8:9], vcc
	s_xor_b64 s[8:9], exec, s[8:9]
; %bb.129:                              ;   in Loop: Header=BB54_65 Depth=1
	v_bfe_u32 v11, v20, 20, 1
	v_add3_u32 v11, v20, v11, s23
	v_lshrrev_b32_e32 v11, 20, v11
; %bb.130:                              ;   in Loop: Header=BB54_65 Depth=1
	s_andn2_saveexec_b64 s[8:9], s[8:9]
; %bb.131:                              ;   in Loop: Header=BB54_65 Depth=1
	v_add_f32_e64 v11, |v20|, s24
; %bb.132:                              ;   in Loop: Header=BB54_65 Depth=1
	s_or_b64 exec, exec, s[8:9]
.LBB54_133:                             ;   in Loop: Header=BB54_65 Depth=1
	s_or_b64 exec, exec, s[6:7]
	v_fma_mixlo_f16 v9, v36, v9, 0
	v_mul_f16_sdwa v7, v7, v9 dst_sel:DWORD dst_unused:UNUSED_PAD src0_sel:WORD_1 src1_sel:DWORD
	v_cvt_f32_f16_e32 v7, v7
	v_div_scale_f32 v9, s[6:7], v18, v18, v7
	v_rcp_f32_e32 v21, v9
	v_div_scale_f32 v22, vcc, v7, v18, v7
	v_fma_f32 v23, -v9, v21, 1.0
	v_fmac_f32_e32 v21, v23, v21
	v_mul_f32_e32 v23, v22, v21
	v_fma_f32 v24, -v9, v23, v22
	v_fmac_f32_e32 v23, v24, v21
	v_fma_f32 v9, -v9, v23, v22
	v_div_fmas_f32 v9, v9, v21, v23
	v_div_fixup_f32 v7, v9, v18, v7
	v_min_f32_e32 v7, 0x43e00000, v7
	v_max_f32_e32 v7, 0xc3e00000, v7
	v_and_b32_e32 v9, 0x7fffffff, v7
	v_cmp_gt_u32_e32 vcc, s21, v9
	s_and_saveexec_b64 s[6:7], vcc
	s_cbranch_execz .LBB54_139
; %bb.134:                              ;   in Loop: Header=BB54_65 Depth=1
	v_cmp_lt_u32_e32 vcc, s22, v9
                                        ; implicit-def: $vgpr8
	s_and_saveexec_b64 s[8:9], vcc
	s_xor_b64 s[8:9], exec, s[8:9]
; %bb.135:                              ;   in Loop: Header=BB54_65 Depth=1
	v_bfe_u32 v8, v7, 20, 1
	v_add3_u32 v8, v7, v8, s23
	v_lshrrev_b32_e32 v8, 20, v8
; %bb.136:                              ;   in Loop: Header=BB54_65 Depth=1
	s_andn2_saveexec_b64 s[8:9], s[8:9]
; %bb.137:                              ;   in Loop: Header=BB54_65 Depth=1
	v_add_f32_e64 v8, |v7|, s24
; %bb.138:                              ;   in Loop: Header=BB54_65 Depth=1
	s_or_b64 exec, exec, s[8:9]
.LBB54_139:                             ;   in Loop: Header=BB54_65 Depth=1
	s_or_b64 exec, exec, s[6:7]
	v_and_b32_sdwa v9, v20, s25 dst_sel:DWORD dst_unused:UNUSED_PAD src0_sel:BYTE_3 src1_sel:DWORD
	v_and_b32_sdwa v6, v6, s25 dst_sel:DWORD dst_unused:UNUSED_PAD src0_sel:BYTE_3 src1_sel:DWORD
	v_lshlrev_b64 v[4:5], 2, v[4:5]
	v_and_or_b32 v9, v11, s26, v9
	v_lshrrev_b32_e32 v18, 24, v19
	v_mov_b32_e32 v19, s16
	v_add_co_u32_e32 v4, vcc, s13, v4
	v_lshlrev_b32_e32 v8, 24, v8
	v_and_b32_e32 v7, 0x80000000, v7
	v_lshlrev_b32_e32 v9, 16, v9
	v_and_or_b32 v3, v3, s26, v6
	v_and_b32_e32 v6, 0xff, v10
	v_addc_co_u32_e32 v5, vcc, v19, v5, vcc
	v_or3_b32 v7, v7, v8, v9
	v_lshlrev_b32_e32 v3, 8, v3
	v_and_or_b32 v6, v18, s25, v6
	v_add_u32_e32 v0, s19, v0
	v_or3_b32 v3, v7, v3, v6
	v_cmp_gt_u32_e32 vcc, s12, v0
	s_mov_b64 s[8:9], -1
	global_store_dword v[4:5], v3, off
	s_and_saveexec_b64 s[6:7], vcc
	s_cbranch_execz .LBB54_62
; %bb.140:                              ;   in Loop: Header=BB54_65 Depth=1
	v_lshlrev_b64 v[4:5], 3, v[0:1]
	v_mov_b32_e32 v3, s44
	v_add_co_u32_e32 v6, vcc, s33, v4
	v_addc_co_u32_e32 v7, vcc, v3, v5, vcc
	v_mov_b32_e32 v8, s46
	v_add_co_u32_e32 v18, vcc, s45, v4
	v_addc_co_u32_e32 v19, vcc, v8, v5, vcc
	global_load_dwordx2 v[6:7], v[6:7], off
	v_mov_b32_e32 v3, s15
	global_load_dwordx2 v[8:9], v[18:19], off
	v_add_co_u32_e32 v4, vcc, s14, v4
	v_addc_co_u32_e32 v5, vcc, v3, v5, vcc
	v_bfe_u32 v3, v0, 4, 26
	v_mad_u64_u32 v[10:11], s[8:9], v12, v3, 0
	v_mov_b32_e32 v20, v11
	global_load_dwordx2 v[4:5], v[4:5], off
	v_mad_u64_u32 v[20:21], s[8:9], v13, v3, v[20:21]
	v_mov_b32_e32 v11, v20
	v_lshlrev_b64 v[10:11], 2, v[10:11]
	v_mov_b32_e32 v3, s18
	v_add_co_u32_e32 v10, vcc, s17, v10
	v_addc_co_u32_e32 v11, vcc, v3, v11, vcc
	global_load_dword v10, v[10:11], off
	v_mov_b32_e32 v3, 0x7f
	s_waitcnt vmcnt(3)
	v_cvt_f32_f16_e32 v22, v6
	v_cvt_f32_f16_sdwa v23, v6 dst_sel:DWORD dst_unused:UNUSED_PAD src0_sel:WORD_1
	s_waitcnt vmcnt(2)
	v_cvt_f32_f16_e32 v24, v8
	v_cvt_f32_f16_sdwa v25, v8 dst_sel:DWORD dst_unused:UNUSED_PAD src0_sel:WORD_1
	v_cvt_f32_f16_e32 v20, v7
	v_cvt_f32_f16_sdwa v21, v7 dst_sel:DWORD dst_unused:UNUSED_PAD src0_sel:WORD_1
	;; [unrolled: 2-line block ×3, first 2 shown]
	v_pk_add_f32 v[8:9], v[22:23], v[24:25]
	v_cvt_f16_f32_e32 v23, v8
	v_fma_mixlo_f16 v8, v36, v8, 0
	v_pk_add_f32 v[6:7], v[20:21], v[6:7]
	s_waitcnt vmcnt(1)
	v_mul_f16_e32 v8, v4, v8
	v_cvt_f16_f32_e32 v11, v7
	v_cvt_f16_f32_e32 v20, v6
	v_cvt_f32_f16_e32 v8, v8
	v_cvt_f16_f32_e32 v22, v9
	v_pack_b32_f16 v21, v20, v11
	v_pack_b32_f16 v20, v23, v22
	s_waitcnt vmcnt(0)
	v_div_scale_f32 v11, s[8:9], v10, v10, v8
	v_rcp_f32_e32 v22, v11
	global_store_dwordx2 v[18:19], v[20:21], off
	v_div_scale_f32 v18, vcc, v8, v10, v8
	v_fma_f32 v19, -v11, v22, 1.0
	v_fmac_f32_e32 v22, v19, v22
	v_mul_f32_e32 v19, v18, v22
	v_fma_f32 v20, -v11, v19, v18
	v_fmac_f32_e32 v19, v20, v22
	v_fma_f32 v11, -v11, v19, v18
	v_div_fmas_f32 v11, v11, v22, v19
	v_div_fixup_f32 v8, v11, v10, v8
	v_min_f32_e32 v8, 0x43e00000, v8
	v_max_f32_e32 v11, 0xc3e00000, v8
	v_and_b32_e32 v18, 0x7fffffff, v11
	v_cmp_gt_u32_e32 vcc, s21, v18
	v_mov_b32_e32 v8, 0x7f
	s_and_saveexec_b64 s[8:9], vcc
	s_cbranch_execz .LBB54_146
; %bb.141:                              ;   in Loop: Header=BB54_65 Depth=1
	v_cmp_lt_u32_e32 vcc, s22, v18
                                        ; implicit-def: $vgpr8
	s_and_saveexec_b64 s[10:11], vcc
	s_xor_b64 s[10:11], exec, s[10:11]
; %bb.142:                              ;   in Loop: Header=BB54_65 Depth=1
	v_bfe_u32 v8, v11, 20, 1
	v_add3_u32 v8, v11, v8, s23
	v_lshrrev_b32_e32 v8, 20, v8
; %bb.143:                              ;   in Loop: Header=BB54_65 Depth=1
	s_andn2_saveexec_b64 s[10:11], s[10:11]
; %bb.144:                              ;   in Loop: Header=BB54_65 Depth=1
	v_add_f32_e64 v8, |v11|, s24
; %bb.145:                              ;   in Loop: Header=BB54_65 Depth=1
	s_or_b64 exec, exec, s[10:11]
.LBB54_146:                             ;   in Loop: Header=BB54_65 Depth=1
	s_or_b64 exec, exec, s[8:9]
	v_fma_mixlo_f16 v9, v36, v9, 0
	v_mul_f16_sdwa v4, v4, v9 dst_sel:DWORD dst_unused:UNUSED_PAD src0_sel:WORD_1 src1_sel:DWORD
	v_cvt_f32_f16_e32 v4, v4
	v_div_scale_f32 v9, s[8:9], v10, v10, v4
	v_rcp_f32_e32 v18, v9
	v_div_scale_f32 v19, vcc, v4, v10, v4
	v_fma_f32 v20, -v9, v18, 1.0
	v_fmac_f32_e32 v18, v20, v18
	v_mul_f32_e32 v20, v19, v18
	v_fma_f32 v21, -v9, v20, v19
	v_fmac_f32_e32 v20, v21, v18
	v_fma_f32 v9, -v9, v20, v19
	v_div_fmas_f32 v9, v9, v18, v20
	v_div_fixup_f32 v4, v9, v10, v4
	v_min_f32_e32 v4, 0x43e00000, v4
	v_max_f32_e32 v4, 0xc3e00000, v4
	v_and_b32_e32 v9, 0x7fffffff, v4
	v_cmp_gt_u32_e32 vcc, s21, v9
	s_and_saveexec_b64 s[8:9], vcc
	s_cbranch_execz .LBB54_152
; %bb.147:                              ;   in Loop: Header=BB54_65 Depth=1
	v_cmp_lt_u32_e32 vcc, s22, v9
                                        ; implicit-def: $vgpr3
	s_and_saveexec_b64 s[10:11], vcc
	s_xor_b64 s[10:11], exec, s[10:11]
; %bb.148:                              ;   in Loop: Header=BB54_65 Depth=1
	v_bfe_u32 v3, v4, 20, 1
	v_add3_u32 v3, v4, v3, s23
	v_lshrrev_b32_e32 v3, 20, v3
; %bb.149:                              ;   in Loop: Header=BB54_65 Depth=1
	s_andn2_saveexec_b64 s[10:11], s[10:11]
; %bb.150:                              ;   in Loop: Header=BB54_65 Depth=1
	v_add_f32_e64 v3, |v4|, s24
; %bb.151:                              ;   in Loop: Header=BB54_65 Depth=1
	s_or_b64 exec, exec, s[10:11]
.LBB54_152:                             ;   in Loop: Header=BB54_65 Depth=1
	s_or_b64 exec, exec, s[8:9]
	v_fma_mixlo_f16 v6, v36, v6, 0
	v_mul_f16_e32 v6, v5, v6
	v_cvt_f32_f16_e32 v9, v6
	v_mov_b32_e32 v6, 0x7f
	v_div_scale_f32 v18, s[8:9], v10, v10, v9
	v_rcp_f32_e32 v19, v18
	v_div_scale_f32 v20, vcc, v9, v10, v9
	v_fma_f32 v21, -v18, v19, 1.0
	v_fmac_f32_e32 v19, v21, v19
	v_mul_f32_e32 v21, v20, v19
	v_fma_f32 v22, -v18, v21, v20
	v_fmac_f32_e32 v21, v22, v19
	v_fma_f32 v18, -v18, v21, v20
	v_div_fmas_f32 v18, v18, v19, v21
	v_div_fixup_f32 v9, v18, v10, v9
	v_min_f32_e32 v9, 0x43e00000, v9
	v_max_f32_e32 v18, 0xc3e00000, v9
	v_and_b32_e32 v19, 0x7fffffff, v18
	v_cmp_gt_u32_e32 vcc, s21, v19
	v_mov_b32_e32 v9, 0x7f
	s_and_saveexec_b64 s[8:9], vcc
	s_cbranch_execz .LBB54_158
; %bb.153:                              ;   in Loop: Header=BB54_65 Depth=1
	v_cmp_lt_u32_e32 vcc, s22, v19
                                        ; implicit-def: $vgpr9
	s_and_saveexec_b64 s[10:11], vcc
	s_xor_b64 s[10:11], exec, s[10:11]
; %bb.154:                              ;   in Loop: Header=BB54_65 Depth=1
	v_bfe_u32 v9, v18, 20, 1
	v_add3_u32 v9, v18, v9, s23
	v_lshrrev_b32_e32 v9, 20, v9
; %bb.155:                              ;   in Loop: Header=BB54_65 Depth=1
	s_andn2_saveexec_b64 s[10:11], s[10:11]
; %bb.156:                              ;   in Loop: Header=BB54_65 Depth=1
	v_add_f32_e64 v9, |v18|, s24
; %bb.157:                              ;   in Loop: Header=BB54_65 Depth=1
	s_or_b64 exec, exec, s[10:11]
.LBB54_158:                             ;   in Loop: Header=BB54_65 Depth=1
	s_or_b64 exec, exec, s[8:9]
	v_fma_mixlo_f16 v7, v36, v7, 0
	v_mul_f16_sdwa v5, v5, v7 dst_sel:DWORD dst_unused:UNUSED_PAD src0_sel:WORD_1 src1_sel:DWORD
	v_cvt_f32_f16_e32 v5, v5
	v_div_scale_f32 v7, s[8:9], v10, v10, v5
	v_rcp_f32_e32 v19, v7
	v_div_scale_f32 v20, vcc, v5, v10, v5
	v_fma_f32 v21, -v7, v19, 1.0
	v_fmac_f32_e32 v19, v21, v19
	v_mul_f32_e32 v21, v20, v19
	v_fma_f32 v22, -v7, v21, v20
	v_fmac_f32_e32 v21, v22, v19
	v_fma_f32 v7, -v7, v21, v20
	v_div_fmas_f32 v7, v7, v19, v21
	v_div_fixup_f32 v5, v7, v10, v5
	v_min_f32_e32 v5, 0x43e00000, v5
	v_max_f32_e32 v5, 0xc3e00000, v5
	v_and_b32_e32 v7, 0x7fffffff, v5
	v_cmp_gt_u32_e32 vcc, s21, v7
	s_and_saveexec_b64 s[8:9], vcc
	s_cbranch_execz .LBB54_61
; %bb.159:                              ;   in Loop: Header=BB54_65 Depth=1
	v_cmp_lt_u32_e32 vcc, s22, v7
                                        ; implicit-def: $vgpr6
	s_and_saveexec_b64 s[10:11], vcc
	s_xor_b64 s[10:11], exec, s[10:11]
; %bb.160:                              ;   in Loop: Header=BB54_65 Depth=1
	v_bfe_u32 v6, v5, 20, 1
	v_add3_u32 v6, v5, v6, s23
	v_lshrrev_b32_e32 v6, 20, v6
; %bb.161:                              ;   in Loop: Header=BB54_65 Depth=1
	s_andn2_saveexec_b64 s[10:11], s[10:11]
	s_cbranch_execz .LBB54_60
; %bb.162:                              ;   in Loop: Header=BB54_65 Depth=1
	v_add_f32_e64 v6, |v5|, s24
	s_branch .LBB54_60
.LBB54_163:
	s_endpgm
.LBB54_164:
                                        ; implicit-def: $vgpr4_vgpr5
	s_andn2_b64 vcc, exec, s[24:25]
	s_cbranch_vccz .LBB54_53
	s_branch .LBB54_54
.LBB54_165:
                                        ; implicit-def: $vgpr2_vgpr3
	s_andn2_b64 vcc, exec, s[20:21]
	s_cbranch_vccz .LBB54_58
	s_branch .LBB54_59
	.section	.rodata,"a",@progbits
	.p2align	6, 0x0
	.amdhsa_kernel _ZN4vllm31rms_norm_per_block_quant_kernelIN3c104HalfENS1_13Float8_e4m3fnELb1ELb1ELi64EEEvPT0_PfPKT_S9_PKffiiPS7_l
		.amdhsa_group_segment_fixed_size 4164
		.amdhsa_private_segment_fixed_size 0
		.amdhsa_kernarg_size 328
		.amdhsa_user_sgpr_count 6
		.amdhsa_user_sgpr_private_segment_buffer 1
		.amdhsa_user_sgpr_dispatch_ptr 0
		.amdhsa_user_sgpr_queue_ptr 0
		.amdhsa_user_sgpr_kernarg_segment_ptr 1
		.amdhsa_user_sgpr_dispatch_id 0
		.amdhsa_user_sgpr_flat_scratch_init 0
		.amdhsa_user_sgpr_kernarg_preload_length 0
		.amdhsa_user_sgpr_kernarg_preload_offset 0
		.amdhsa_user_sgpr_private_segment_size 0
		.amdhsa_uses_dynamic_stack 0
		.amdhsa_system_sgpr_private_segment_wavefront_offset 0
		.amdhsa_system_sgpr_workgroup_id_x 1
		.amdhsa_system_sgpr_workgroup_id_y 0
		.amdhsa_system_sgpr_workgroup_id_z 0
		.amdhsa_system_sgpr_workgroup_info 0
		.amdhsa_system_vgpr_workitem_id 0
		.amdhsa_next_free_vgpr 40
		.amdhsa_next_free_sgpr 49
		.amdhsa_accum_offset 40
		.amdhsa_reserve_vcc 1
		.amdhsa_reserve_flat_scratch 0
		.amdhsa_float_round_mode_32 0
		.amdhsa_float_round_mode_16_64 0
		.amdhsa_float_denorm_mode_32 3
		.amdhsa_float_denorm_mode_16_64 3
		.amdhsa_dx10_clamp 1
		.amdhsa_ieee_mode 1
		.amdhsa_fp16_overflow 0
		.amdhsa_tg_split 0
		.amdhsa_exception_fp_ieee_invalid_op 0
		.amdhsa_exception_fp_denorm_src 0
		.amdhsa_exception_fp_ieee_div_zero 0
		.amdhsa_exception_fp_ieee_overflow 0
		.amdhsa_exception_fp_ieee_underflow 0
		.amdhsa_exception_fp_ieee_inexact 0
		.amdhsa_exception_int_div_zero 0
	.end_amdhsa_kernel
	.section	.text._ZN4vllm31rms_norm_per_block_quant_kernelIN3c104HalfENS1_13Float8_e4m3fnELb1ELb1ELi64EEEvPT0_PfPKT_S9_PKffiiPS7_l,"axG",@progbits,_ZN4vllm31rms_norm_per_block_quant_kernelIN3c104HalfENS1_13Float8_e4m3fnELb1ELb1ELi64EEEvPT0_PfPKT_S9_PKffiiPS7_l,comdat
.Lfunc_end54:
	.size	_ZN4vllm31rms_norm_per_block_quant_kernelIN3c104HalfENS1_13Float8_e4m3fnELb1ELb1ELi64EEEvPT0_PfPKT_S9_PKffiiPS7_l, .Lfunc_end54-_ZN4vllm31rms_norm_per_block_quant_kernelIN3c104HalfENS1_13Float8_e4m3fnELb1ELb1ELi64EEEvPT0_PfPKT_S9_PKffiiPS7_l
                                        ; -- End function
	.section	.AMDGPU.csdata,"",@progbits
; Kernel info:
; codeLenInByte = 10892
; NumSgprs: 53
; NumVgprs: 40
; NumAgprs: 0
; TotalNumVgprs: 40
; ScratchSize: 0
; MemoryBound: 0
; FloatMode: 240
; IeeeMode: 1
; LDSByteSize: 4164 bytes/workgroup (compile time only)
; SGPRBlocks: 6
; VGPRBlocks: 4
; NumSGPRsForWavesPerEU: 53
; NumVGPRsForWavesPerEU: 40
; AccumOffset: 40
; Occupancy: 8
; WaveLimiterHint : 0
; COMPUTE_PGM_RSRC2:SCRATCH_EN: 0
; COMPUTE_PGM_RSRC2:USER_SGPR: 6
; COMPUTE_PGM_RSRC2:TRAP_HANDLER: 0
; COMPUTE_PGM_RSRC2:TGID_X_EN: 1
; COMPUTE_PGM_RSRC2:TGID_Y_EN: 0
; COMPUTE_PGM_RSRC2:TGID_Z_EN: 0
; COMPUTE_PGM_RSRC2:TIDIG_COMP_CNT: 0
; COMPUTE_PGM_RSRC3_GFX90A:ACCUM_OFFSET: 9
; COMPUTE_PGM_RSRC3_GFX90A:TG_SPLIT: 0
	.section	.text._ZN4vllm31rms_norm_per_block_quant_kernelIN3c104HalfENS1_15Float8_e4m3fnuzELb1ELb1ELi64EEEvPT0_PfPKT_S9_PKffiiPS7_l,"axG",@progbits,_ZN4vllm31rms_norm_per_block_quant_kernelIN3c104HalfENS1_15Float8_e4m3fnuzELb1ELb1ELi64EEEvPT0_PfPKT_S9_PKffiiPS7_l,comdat
	.protected	_ZN4vllm31rms_norm_per_block_quant_kernelIN3c104HalfENS1_15Float8_e4m3fnuzELb1ELb1ELi64EEEvPT0_PfPKT_S9_PKffiiPS7_l ; -- Begin function _ZN4vllm31rms_norm_per_block_quant_kernelIN3c104HalfENS1_15Float8_e4m3fnuzELb1ELb1ELi64EEEvPT0_PfPKT_S9_PKffiiPS7_l
	.globl	_ZN4vllm31rms_norm_per_block_quant_kernelIN3c104HalfENS1_15Float8_e4m3fnuzELb1ELb1ELi64EEEvPT0_PfPKT_S9_PKffiiPS7_l
	.p2align	8
	.type	_ZN4vllm31rms_norm_per_block_quant_kernelIN3c104HalfENS1_15Float8_e4m3fnuzELb1ELb1ELi64EEEvPT0_PfPKT_S9_PKffiiPS7_l,@function
_ZN4vllm31rms_norm_per_block_quant_kernelIN3c104HalfENS1_15Float8_e4m3fnuzELb1ELb1ELi64EEEvPT0_PfPKT_S9_PKffiiPS7_l: ; @_ZN4vllm31rms_norm_per_block_quant_kernelIN3c104HalfENS1_15Float8_e4m3fnuzELb1ELb1ELi64EEEvPT0_PfPKT_S9_PKffiiPS7_l
; %bb.0:
	s_load_dwordx4 s[16:19], s[4:5], 0x28
	s_load_dwordx8 s[8:15], s[4:5], 0x0
	s_load_dwordx2 s[0:1], s[4:5], 0x38
	s_load_dword s48, s[4:5], 0x48
	s_mov_b32 s7, 0
	s_waitcnt lgkmcnt(0)
	s_ashr_i32 s2, s18, 31
	s_mul_hi_u32 s3, s18, s6
	s_mul_i32 s2, s2, s6
	s_ashr_i32 s21, s17, 31
	s_add_i32 s3, s3, s2
	s_mul_i32 s2, s18, s6
	s_mul_hi_u32 s18, s17, s6
	s_mul_i32 s19, s21, s6
	s_add_i32 s19, s18, s19
	s_lshl_b64 s[2:3], s[2:3], 1
	s_mul_i32 s18, s17, s6
	s_add_u32 s33, s12, s2
	s_addc_u32 s44, s13, s3
	s_lshl_b64 s[2:3], s[18:19], 1
	s_add_u32 s45, s0, s2
	s_addc_u32 s46, s1, s3
	s_ashr_i32 s12, s17, 2
	s_add_u32 s22, s4, 0x48
	s_mov_b32 s20, s17
	v_cmp_gt_u32_e64 s[0:1], s12, v0
	s_addc_u32 s23, s5, 0
	v_mov_b32_e32 v1, 0
	s_and_saveexec_b64 s[2:3], s[0:1]
	s_cbranch_execz .LBB55_10
; %bb.1:
	s_cmp_lt_u32 s6, s48
	s_cselect_b32 s13, 12, 18
	s_add_u32 s24, s22, s13
	s_addc_u32 s25, s23, 0
	v_mov_b32_e32 v3, 0
	global_load_ushort v8, v3, s[24:25]
	s_mov_b64 s[24:25], 0
	v_mov_b32_e32 v9, s44
	v_mov_b32_e32 v10, s46
	;; [unrolled: 1-line block ×4, first 2 shown]
                                        ; implicit-def: $sgpr26_sgpr27
	s_waitcnt vmcnt(0)
	v_mul_lo_u32 v11, v8, 3
	v_lshlrev_b32_e32 v12, 1, v8
	s_branch .LBB55_5
.LBB55_2:                               ;   in Loop: Header=BB55_5 Depth=1
	s_or_b64 exec, exec, s[34:35]
	s_orn2_b64 s[34:35], s[36:37], exec
.LBB55_3:                               ;   in Loop: Header=BB55_5 Depth=1
	s_or_b64 exec, exec, s[30:31]
	s_andn2_b64 s[26:27], s[26:27], exec
	s_and_b64 s[30:31], s[34:35], exec
	s_or_b64 s[26:27], s[26:27], s[30:31]
.LBB55_4:                               ;   in Loop: Header=BB55_5 Depth=1
	s_or_b64 exec, exec, s[28:29]
	s_and_b64 s[28:29], exec, s[26:27]
	s_or_b64 s[24:25], s[28:29], s[24:25]
	s_andn2_b64 exec, exec, s[24:25]
	s_cbranch_execz .LBB55_9
.LBB55_5:                               ; =>This Inner Loop Header: Depth=1
	v_lshlrev_b64 v[4:5], 3, v[2:3]
	v_add_co_u32_e32 v6, vcc, s33, v4
	v_addc_co_u32_e32 v7, vcc, v9, v5, vcc
	v_add_co_u32_e32 v4, vcc, s45, v4
	v_addc_co_u32_e32 v5, vcc, v10, v5, vcc
	global_load_dwordx2 v[6:7], v[6:7], off
	s_or_b64 s[26:27], s[26:27], exec
	global_load_dwordx2 v[4:5], v[4:5], off
	s_waitcnt vmcnt(1)
	v_cvt_f32_f16_e32 v14, v6
	v_cvt_f32_f16_sdwa v15, v6 dst_sel:DWORD dst_unused:UNUSED_PAD src0_sel:WORD_1
	s_waitcnt vmcnt(0)
	v_cvt_f32_f16_e32 v16, v4
	v_cvt_f32_f16_sdwa v17, v4 dst_sel:DWORD dst_unused:UNUSED_PAD src0_sel:WORD_1
	v_cvt_f32_f16_e32 v6, v7
	v_cvt_f32_f16_sdwa v7, v7 dst_sel:DWORD dst_unused:UNUSED_PAD src0_sel:WORD_1
	;; [unrolled: 2-line block ×3, first 2 shown]
	v_pk_add_f32 v[14:15], v[14:15], v[16:17]
	v_pk_mul_f32 v[14:15], v[14:15], v[14:15]
	v_add_f32_e32 v1, v1, v14
	v_pk_add_f32 v[6:7], v[6:7], v[18:19]
	v_pk_mul_f32 v[6:7], v[6:7], v[6:7]
	v_add_f32_e32 v1, v1, v15
	v_add_u32_e32 v4, v2, v8
	v_add_f32_e32 v1, v1, v6
	v_cmp_gt_u32_e32 vcc, s12, v4
	v_add_f32_e32 v1, v1, v7
	s_and_saveexec_b64 s[28:29], vcc
	s_cbranch_execz .LBB55_4
; %bb.6:                                ;   in Loop: Header=BB55_5 Depth=1
	v_mov_b32_e32 v5, v3
	v_lshlrev_b64 v[6:7], 3, v[4:5]
	v_add_co_u32_e32 v14, vcc, s33, v6
	v_addc_co_u32_e32 v15, vcc, v9, v7, vcc
	v_add_co_u32_e32 v6, vcc, s45, v6
	v_addc_co_u32_e32 v7, vcc, v10, v7, vcc
	global_load_dwordx2 v[14:15], v[14:15], off
	s_mov_b64 s[34:35], -1
	global_load_dwordx2 v[6:7], v[6:7], off
	s_waitcnt vmcnt(1)
	v_cvt_f32_f16_e32 v16, v14
	v_cvt_f32_f16_sdwa v17, v14 dst_sel:DWORD dst_unused:UNUSED_PAD src0_sel:WORD_1
	s_waitcnt vmcnt(0)
	v_cvt_f32_f16_e32 v18, v6
	v_cvt_f32_f16_sdwa v19, v6 dst_sel:DWORD dst_unused:UNUSED_PAD src0_sel:WORD_1
	v_cvt_f32_f16_e32 v14, v15
	v_cvt_f32_f16_sdwa v15, v15 dst_sel:DWORD dst_unused:UNUSED_PAD src0_sel:WORD_1
	;; [unrolled: 2-line block ×3, first 2 shown]
	v_pk_add_f32 v[16:17], v[16:17], v[18:19]
	v_pk_mul_f32 v[16:17], v[16:17], v[16:17]
	v_add_f32_e32 v1, v1, v16
	v_pk_add_f32 v[14:15], v[14:15], v[20:21]
	v_pk_mul_f32 v[14:15], v[14:15], v[14:15]
	v_add_f32_e32 v1, v1, v17
	v_add_u32_e32 v6, v12, v2
	v_add_f32_e32 v1, v1, v14
	v_cmp_gt_u32_e32 vcc, s12, v6
	v_add_f32_e32 v1, v1, v15
	s_and_saveexec_b64 s[30:31], vcc
	s_cbranch_execz .LBB55_3
; %bb.7:                                ;   in Loop: Header=BB55_5 Depth=1
	v_mov_b32_e32 v7, v3
	v_lshlrev_b64 v[6:7], 3, v[6:7]
	v_mov_b32_e32 v5, s44
	v_add_co_u32_e32 v14, vcc, s33, v6
	v_addc_co_u32_e32 v15, vcc, v5, v7, vcc
	v_mov_b32_e32 v5, s46
	v_add_co_u32_e32 v6, vcc, s45, v6
	v_addc_co_u32_e32 v7, vcc, v5, v7, vcc
	global_load_dwordx2 v[14:15], v[14:15], off
	v_add_u32_e32 v2, v11, v2
	global_load_dwordx2 v[6:7], v[6:7], off
	v_cmp_gt_u32_e32 vcc, s12, v2
	s_mov_b64 s[36:37], -1
	s_waitcnt vmcnt(1)
	v_cvt_f32_f16_e32 v16, v14
	v_cvt_f32_f16_sdwa v17, v14 dst_sel:DWORD dst_unused:UNUSED_PAD src0_sel:WORD_1
	s_waitcnt vmcnt(0)
	v_cvt_f32_f16_e32 v18, v6
	v_cvt_f32_f16_sdwa v19, v6 dst_sel:DWORD dst_unused:UNUSED_PAD src0_sel:WORD_1
	v_cvt_f32_f16_e32 v14, v15
	v_cvt_f32_f16_sdwa v15, v15 dst_sel:DWORD dst_unused:UNUSED_PAD src0_sel:WORD_1
	;; [unrolled: 2-line block ×3, first 2 shown]
	v_pk_add_f32 v[16:17], v[16:17], v[18:19]
	v_pk_add_f32 v[6:7], v[14:15], v[6:7]
	v_pk_mul_f32 v[14:15], v[16:17], v[16:17]
	v_add_f32_e32 v1, v1, v14
	v_pk_mul_f32 v[6:7], v[6:7], v[6:7]
	v_add_f32_e32 v1, v1, v15
	v_add_f32_e32 v1, v1, v6
	;; [unrolled: 1-line block ×3, first 2 shown]
	s_and_saveexec_b64 s[34:35], vcc
	s_xor_b64 s[34:35], exec, s[34:35]
	s_cbranch_execz .LBB55_2
; %bb.8:                                ;   in Loop: Header=BB55_5 Depth=1
	v_lshlrev_b64 v[6:7], 3, v[2:3]
	v_mov_b32_e32 v2, s44
	v_add_co_u32_e32 v14, vcc, s33, v6
	v_addc_co_u32_e32 v15, vcc, v2, v7, vcc
	v_mov_b32_e32 v2, s46
	v_add_co_u32_e32 v6, vcc, s45, v6
	v_addc_co_u32_e32 v7, vcc, v2, v7, vcc
	global_load_dwordx2 v[14:15], v[14:15], off
	v_add_u32_e32 v2, v8, v8
	global_load_dwordx2 v[6:7], v[6:7], off
	v_add_u32_e32 v2, v2, v8
	v_add_u32_e32 v2, v2, v4
	v_cmp_le_u32_e32 vcc, s12, v2
	s_orn2_b64 s[36:37], vcc, exec
	s_waitcnt vmcnt(1)
	v_cvt_f32_f16_e32 v16, v14
	v_cvt_f32_f16_sdwa v17, v14 dst_sel:DWORD dst_unused:UNUSED_PAD src0_sel:WORD_1
	s_waitcnt vmcnt(0)
	v_cvt_f32_f16_e32 v18, v6
	v_cvt_f32_f16_sdwa v19, v6 dst_sel:DWORD dst_unused:UNUSED_PAD src0_sel:WORD_1
	v_cvt_f32_f16_e32 v14, v15
	v_cvt_f32_f16_sdwa v15, v15 dst_sel:DWORD dst_unused:UNUSED_PAD src0_sel:WORD_1
	;; [unrolled: 2-line block ×3, first 2 shown]
	v_pk_add_f32 v[4:5], v[16:17], v[18:19]
	v_pk_mul_f32 v[4:5], v[4:5], v[4:5]
	v_add_f32_e32 v1, v1, v4
	v_pk_add_f32 v[6:7], v[14:15], v[6:7]
	v_pk_mul_f32 v[6:7], v[6:7], v[6:7]
	v_add_f32_e32 v1, v1, v5
	v_add_f32_e32 v1, v1, v6
	;; [unrolled: 1-line block ×3, first 2 shown]
	s_branch .LBB55_2
.LBB55_9:
	s_or_b64 exec, exec, s[24:25]
.LBB55_10:
	s_or_b64 exec, exec, s[2:3]
	v_mbcnt_lo_u32_b32 v2, -1, 0
	v_mbcnt_hi_u32_b32 v2, -1, v2
	v_and_b32_e32 v3, 63, v2
	v_cmp_ne_u32_e32 vcc, 63, v3
	s_load_dword s2, s[22:23], 0xc
	v_addc_co_u32_e32 v4, vcc, 0, v2, vcc
	v_lshlrev_b32_e32 v4, 2, v4
	ds_bpermute_b32 v4, v4, v1
	s_waitcnt lgkmcnt(0)
	s_and_b32 s13, s2, 0xffff
	v_and_b32_e32 v5, 0x3c0, v0
	v_sub_u32_e64 v5, s13, v5 clamp
	v_add_u32_e32 v6, 1, v2
	v_add_f32_e32 v4, v1, v4
	v_cmp_lt_u32_e32 vcc, v6, v5
	v_cndmask_b32_e32 v1, v1, v4, vcc
	v_cmp_gt_u32_e32 vcc, 62, v3
	v_cndmask_b32_e64 v4, 0, 1, vcc
	v_lshlrev_b32_e32 v4, 1, v4
	v_add_lshl_u32 v4, v4, v2, 2
	ds_bpermute_b32 v4, v4, v1
	v_add_u32_e32 v6, 2, v2
	v_cmp_lt_u32_e32 vcc, v6, v5
	v_add_u32_e32 v6, 4, v2
	s_waitcnt lgkmcnt(0)
	v_add_f32_e32 v4, v1, v4
	v_cndmask_b32_e32 v1, v1, v4, vcc
	v_cmp_gt_u32_e32 vcc, 60, v3
	v_cndmask_b32_e64 v4, 0, 1, vcc
	v_lshlrev_b32_e32 v4, 2, v4
	v_add_lshl_u32 v4, v4, v2, 2
	ds_bpermute_b32 v4, v4, v1
	v_cmp_lt_u32_e32 vcc, v6, v5
	v_add_u32_e32 v6, 8, v2
	s_waitcnt lgkmcnt(0)
	v_add_f32_e32 v4, v1, v4
	v_cndmask_b32_e32 v1, v1, v4, vcc
	v_cmp_gt_u32_e32 vcc, 56, v3
	v_cndmask_b32_e64 v4, 0, 1, vcc
	v_lshlrev_b32_e32 v4, 3, v4
	v_add_lshl_u32 v4, v4, v2, 2
	ds_bpermute_b32 v4, v4, v1
	;; [unrolled: 10-line block ×3, first 2 shown]
	v_cmp_lt_u32_e32 vcc, v6, v5
	s_waitcnt lgkmcnt(0)
	v_add_f32_e32 v4, v1, v4
	v_cndmask_b32_e32 v1, v1, v4, vcc
	v_cmp_gt_u32_e32 vcc, 32, v3
	v_cndmask_b32_e64 v3, 0, 1, vcc
	v_lshlrev_b32_e32 v3, 5, v3
	v_add_lshl_u32 v3, v3, v2, 2
	ds_bpermute_b32 v3, v3, v1
	v_add_u32_e32 v4, 32, v2
	v_cmp_lt_u32_e32 vcc, v4, v5
	s_waitcnt lgkmcnt(0)
	v_add_f32_e32 v3, v1, v3
	v_cndmask_b32_e32 v1, v1, v3, vcc
	v_cmp_eq_u32_e32 vcc, 0, v2
	s_and_saveexec_b64 s[2:3], vcc
	s_cbranch_execz .LBB55_12
; %bb.11:
	v_lshrrev_b32_e32 v3, 4, v0
	v_and_b32_e32 v3, 60, v3
	ds_write_b32 v3, v1 offset:4096
.LBB55_12:
	s_or_b64 exec, exec, s[2:3]
	v_cmp_gt_u32_e32 vcc, 16, v0
	s_waitcnt lgkmcnt(0)
	s_barrier
	s_and_saveexec_b64 s[24:25], vcc
	s_cbranch_execz .LBB55_14
; %bb.13:
	v_lshlrev_b32_e32 v1, 2, v2
	ds_read_b32 v1, v1 offset:4096
	v_and_b32_e32 v3, 15, v2
	v_cmp_ne_u32_e32 vcc, 15, v3
	v_addc_co_u32_e32 v4, vcc, 0, v2, vcc
	v_lshlrev_b32_e32 v4, 2, v4
	s_waitcnt lgkmcnt(0)
	ds_bpermute_b32 v4, v4, v1
	s_add_i32 s13, s13, 63
	s_lshr_b32 s13, s13, 6
	v_add_u32_e32 v5, 1, v3
	v_cmp_gt_u32_e64 s[2:3], 14, v3
	v_cmp_gt_u32_e32 vcc, s13, v5
	v_cndmask_b32_e64 v5, 0, 1, s[2:3]
	s_waitcnt lgkmcnt(0)
	v_add_f32_e32 v4, v1, v4
	v_lshlrev_b32_e32 v5, 1, v5
	v_cndmask_b32_e32 v4, v1, v4, vcc
	v_add_lshl_u32 v5, v5, v2, 2
	ds_bpermute_b32 v5, v5, v4
	v_add_u32_e32 v6, 2, v3
	v_cmp_gt_u32_e64 s[2:3], s13, v6
	v_add_u32_e32 v6, 4, v3
	s_waitcnt lgkmcnt(0)
	v_add_f32_e32 v5, v4, v5
	v_cndmask_b32_e64 v4, v4, v5, s[2:3]
	v_cmp_gt_u32_e64 s[2:3], 12, v3
	v_cndmask_b32_e64 v5, 0, 1, s[2:3]
	v_lshlrev_b32_e32 v5, 2, v5
	v_add_lshl_u32 v5, v5, v2, 2
	ds_bpermute_b32 v5, v5, v4
	v_cmp_gt_u32_e64 s[2:3], s13, v6
	s_waitcnt lgkmcnt(0)
	v_add_f32_e32 v5, v4, v5
	v_cndmask_b32_e64 v4, v4, v5, s[2:3]
	v_cmp_gt_u32_e64 s[2:3], 8, v3
	v_cndmask_b32_e64 v5, 0, 1, s[2:3]
	v_lshlrev_b32_e32 v5, 3, v5
	v_add_lshl_u32 v2, v5, v2, 2
	ds_bpermute_b32 v2, v2, v4
	v_add_u32_e32 v3, 8, v3
	v_cmp_gt_u32_e64 s[2:3], s13, v3
	s_waitcnt lgkmcnt(0)
	v_add_f32_e32 v2, v4, v2
	v_cndmask_b32_e64 v2, v4, v2, s[2:3]
	v_cndmask_b32_e32 v1, v1, v2, vcc
.LBB55_14:
	s_or_b64 exec, exec, s[24:25]
	v_cmp_eq_u32_e32 vcc, 0, v0
	s_and_saveexec_b64 s[2:3], vcc
	s_cbranch_execz .LBB55_16
; %bb.15:
	v_cvt_f32_i32_e32 v2, s20
	s_mov_b32 s13, 0x800000
	v_div_scale_f32 v3, s[24:25], v2, v2, v1
	v_rcp_f32_e32 v4, v3
	v_div_scale_f32 v5, vcc, v1, v2, v1
	v_fma_f32 v6, -v3, v4, 1.0
	v_fmac_f32_e32 v4, v6, v4
	v_mul_f32_e32 v6, v5, v4
	v_fma_f32 v7, -v3, v6, v5
	v_fmac_f32_e32 v6, v7, v4
	v_fma_f32 v3, -v3, v6, v5
	v_div_fmas_f32 v3, v3, v4, v6
	v_div_fixup_f32 v1, v3, v2, v1
	v_add_f32_e32 v1, s16, v1
	v_mul_f32_e32 v2, 0x4b800000, v1
	v_cmp_gt_f32_e32 vcc, s13, v1
	v_cndmask_b32_e32 v1, v1, v2, vcc
	v_rsq_f32_e32 v1, v1
	v_mul_f32_e32 v2, 0x45800000, v1
	v_cndmask_b32_e32 v1, v1, v2, vcc
	v_mov_b32_e32 v2, 0
	ds_write_b32 v2, v1 offset:4160
.LBB55_16:
	s_or_b64 exec, exec, s[2:3]
	s_ashr_i32 s2, s20, 31
	s_lshr_b32 s2, s2, 26
	s_add_i32 s3, s20, s2
	s_ashr_i32 s2, s3, 6
	s_cmp_lt_u32 s6, s48
	s_cselect_b32 s13, 12, 18
	s_add_u32 s16, s22, s13
	v_mov_b32_e32 v5, 0
	s_addc_u32 s17, s23, 0
	s_waitcnt lgkmcnt(0)
	s_barrier
	global_load_ushort v1, v5, s[16:17]
	ds_read_b32 v36, v5 offset:4160
	s_abs_i32 s13, s2
	v_cvt_f32_u32_e32 v2, s13
	s_sub_i32 s16, 0, s13
	s_ashr_i32 s3, s3, 31
	v_mov_b32_e32 v10, s12
	v_rcp_iflag_f32_e32 v2, v2
	v_mul_f32_e32 v2, 0x4f7ffffe, v2
	v_cvt_u32_f32_e32 v2, v2
	v_readfirstlane_b32 s17, v2
	s_mul_i32 s16, s16, s17
	s_mul_hi_u32 s16, s17, s16
	s_add_i32 s17, s17, s16
	s_waitcnt vmcnt(0)
	v_readfirstlane_b32 s47, v1
	s_mul_hi_u32 s16, s47, s17
	s_mul_i32 s17, s16, s13
	s_sub_i32 s17, s47, s17
	s_add_i32 s22, s16, 1
	s_sub_i32 s23, s17, s13
	s_cmp_ge_u32 s17, s13
	s_cselect_b32 s16, s22, s16
	s_cselect_b32 s17, s23, s17
	s_add_i32 s22, s16, 1
	s_cmp_ge_u32 s17, s13
	s_cselect_b32 s13, s22, s16
	s_xor_b32 s13, s13, s3
	s_sub_i32 s16, s13, s3
	s_abs_i32 s3, s16
	v_cvt_f32_u32_e32 v1, s3
	s_sub_i32 s22, 0, s3
	s_ashr_i32 s17, s16, 31
	s_ashr_i32 s13, s12, 31
	v_rcp_iflag_f32_e32 v1, v1
	v_mov_b32_e32 v11, s13
	v_mul_f32_e32 v1, 0x4f7ffffe, v1
	v_cvt_u32_f32_e32 v1, v1
	v_mul_lo_u32 v2, s22, v1
	v_mul_hi_u32 v2, v1, v2
	v_add_u32_e32 v1, v1, v2
	v_mul_hi_u32 v1, v0, v1
	v_mul_lo_u32 v2, v1, s3
	v_sub_u32_e32 v2, v0, v2
	v_add_u32_e32 v3, 1, v1
	v_cmp_le_u32_e32 vcc, s3, v2
	v_cndmask_b32_e32 v1, v1, v3, vcc
	v_subrev_u32_e32 v3, s3, v2
	v_cndmask_b32_e32 v2, v2, v3, vcc
	v_add_u32_e32 v3, 1, v1
	v_cmp_le_u32_e32 vcc, s3, v2
	v_cndmask_b32_e32 v1, v1, v3, vcc
	v_xor_b32_e32 v1, s17, v1
	v_subrev_u32_e32 v2, s17, v1
	v_mul_lo_u32 v1, v2, s16
	v_ashrrev_i32_e32 v3, 31, v2
	v_sub_u32_e32 v4, v0, v1
	v_lshlrev_b64 v[8:9], 4, v[2:3]
	v_add_co_u32_e32 v6, vcc, v8, v4
	v_addc_co_u32_e32 v7, vcc, 0, v9, vcc
	v_add_co_u32_e32 v8, vcc, 16, v8
	v_addc_co_u32_e32 v9, vcc, 0, v9, vcc
	v_cmp_gt_i64_e32 vcc, s[12:13], v[8:9]
	v_cndmask_b32_e32 v8, v10, v8, vcc
	v_cndmask_b32_e32 v9, v11, v9, vcc
	v_ashrrev_i32_e32 v11, 31, v8
	v_mov_b32_e32 v10, v8
	v_cmp_lt_i64_e32 vcc, v[6:7], v[10:11]
	s_and_saveexec_b64 s[22:23], vcc
	s_cbranch_execz .LBB55_26
; %bb.17:
	v_lshlrev_b64 v[12:13], 7, v[2:3]
	v_lshlrev_b64 v[14:15], 3, v[4:5]
	v_add_co_u32_e32 v12, vcc, v12, v14
	v_addc_co_u32_e32 v1, vcc, v13, v15, vcc
	s_lshl_b64 s[24:25], s[16:17], 5
	s_mul_hi_i32 s3, s16, 3
	s_mul_i32 s13, s16, 3
	s_lshl_b64 s[26:27], s[16:17], 1
	s_lshl_b64 s[30:31], s[16:17], 3
	s_mov_b64 s[28:29], 0
	v_mov_b32_e32 v5, 0
	v_mov_b32_e32 v13, s44
	v_mov_b32_e32 v24, s15
	v_mov_b32_e32 v25, s46
	v_mov_b32_e32 v26, s17
	v_pk_mov_b32 v[14:15], v[6:7], v[6:7] op_sel:[0,1]
                                        ; implicit-def: $sgpr34_sgpr35
	s_branch .LBB55_21
.LBB55_18:                              ;   in Loop: Header=BB55_21 Depth=1
	s_or_b64 exec, exec, s[40:41]
	s_orn2_b64 s[40:41], s[42:43], exec
.LBB55_19:                              ;   in Loop: Header=BB55_21 Depth=1
	s_or_b64 exec, exec, s[38:39]
	s_andn2_b64 s[34:35], s[34:35], exec
	s_and_b64 s[38:39], s[40:41], exec
	s_or_b64 s[34:35], s[34:35], s[38:39]
.LBB55_20:                              ;   in Loop: Header=BB55_21 Depth=1
	s_or_b64 exec, exec, s[36:37]
	s_and_b64 s[36:37], exec, s[34:35]
	s_or_b64 s[28:29], s[36:37], s[28:29]
	s_andn2_b64 exec, exec, s[28:29]
	s_cbranch_execz .LBB55_25
.LBB55_21:                              ; =>This Inner Loop Header: Depth=1
	v_add_co_u32_e32 v18, vcc, s33, v12
	v_addc_co_u32_e32 v19, vcc, v13, v1, vcc
	v_add_co_u32_e32 v22, vcc, s45, v12
	v_addc_co_u32_e32 v23, vcc, v25, v1, vcc
	global_load_dwordx2 v[16:17], v[18:19], off
	global_load_dwordx2 v[28:29], v[22:23], off
	v_add_co_u32_e32 v20, vcc, s14, v12
	v_addc_co_u32_e32 v21, vcc, v24, v1, vcc
	global_load_dwordx2 v[30:31], v[20:21], off
	s_or_b64 s[34:35], s[34:35], exec
	s_waitcnt vmcnt(2)
	v_cvt_f32_f16_e32 v27, v16
	v_cvt_f32_f16_sdwa v16, v16 dst_sel:DWORD dst_unused:UNUSED_PAD src0_sel:WORD_1
	s_waitcnt vmcnt(1)
	v_cvt_f32_f16_e32 v33, v28
	v_cvt_f32_f16_sdwa v28, v28 dst_sel:DWORD dst_unused:UNUSED_PAD src0_sel:WORD_1
	v_cvt_f32_f16_e32 v32, v17
	v_cvt_f32_f16_sdwa v17, v17 dst_sel:DWORD dst_unused:UNUSED_PAD src0_sel:WORD_1
	;; [unrolled: 2-line block ×3, first 2 shown]
	v_add_f32_e32 v27, v27, v33
	v_add_f32_e32 v16, v16, v28
	;; [unrolled: 1-line block ×4, first 2 shown]
	s_waitcnt lgkmcnt(0)
	v_fma_mixlo_f16 v27, v36, v27, 0
	v_fma_mixlo_f16 v16, v36, v16, 0
	;; [unrolled: 1-line block ×4, first 2 shown]
	s_waitcnt vmcnt(0)
	v_mul_f16_e32 v27, v30, v27
	v_mul_f16_sdwa v16, v30, v16 dst_sel:DWORD dst_unused:UNUSED_PAD src0_sel:WORD_1 src1_sel:DWORD
	v_mul_f16_e32 v28, v31, v28
	v_mul_f16_sdwa v17, v31, v17 dst_sel:DWORD dst_unused:UNUSED_PAD src0_sel:WORD_1 src1_sel:DWORD
	v_cvt_f32_f16_e64 v27, |v27|
	v_cvt_f32_f16_e64 v29, |v16|
	;; [unrolled: 1-line block ×4, first 2 shown]
	v_add_co_u32_e32 v16, vcc, s16, v14
	v_addc_co_u32_e32 v17, vcc, v15, v26, vcc
	v_max3_f32 v5, v5, v27, v29
	v_cmp_lt_i64_e32 vcc, v[16:17], v[10:11]
	v_max3_f32 v5, v5, v28, v30
	s_and_saveexec_b64 s[36:37], vcc
	s_cbranch_execz .LBB55_20
; %bb.22:                               ;   in Loop: Header=BB55_21 Depth=1
	v_mov_b32_e32 v27, s31
	v_add_co_u32_e32 v18, vcc, s30, v18
	v_addc_co_u32_e32 v19, vcc, v19, v27, vcc
	v_add_co_u32_e32 v22, vcc, s30, v22
	v_addc_co_u32_e32 v23, vcc, v23, v27, vcc
	global_load_dwordx2 v[28:29], v[18:19], off
	global_load_dwordx2 v[30:31], v[22:23], off
	v_add_co_u32_e32 v20, vcc, s30, v20
	v_addc_co_u32_e32 v21, vcc, v21, v27, vcc
	global_load_dwordx2 v[32:33], v[20:21], off
	v_mov_b32_e32 v27, s27
	s_mov_b64 s[40:41], -1
	s_waitcnt vmcnt(2)
	v_cvt_f32_f16_e32 v34, v28
	v_cvt_f32_f16_sdwa v28, v28 dst_sel:DWORD dst_unused:UNUSED_PAD src0_sel:WORD_1
	s_waitcnt vmcnt(1)
	v_cvt_f32_f16_e32 v37, v30
	v_cvt_f32_f16_sdwa v30, v30 dst_sel:DWORD dst_unused:UNUSED_PAD src0_sel:WORD_1
	v_cvt_f32_f16_e32 v35, v29
	v_cvt_f32_f16_sdwa v29, v29 dst_sel:DWORD dst_unused:UNUSED_PAD src0_sel:WORD_1
	;; [unrolled: 2-line block ×3, first 2 shown]
	v_add_f32_e32 v34, v34, v37
	v_add_f32_e32 v28, v28, v30
	;; [unrolled: 1-line block ×4, first 2 shown]
	v_fma_mixlo_f16 v31, v36, v34, 0
	v_fma_mixlo_f16 v28, v36, v28, 0
	;; [unrolled: 1-line block ×4, first 2 shown]
	s_waitcnt vmcnt(0)
	v_mul_f16_e32 v31, v32, v31
	v_mul_f16_sdwa v28, v32, v28 dst_sel:DWORD dst_unused:UNUSED_PAD src0_sel:WORD_1 src1_sel:DWORD
	v_mul_f16_e32 v30, v33, v30
	v_mul_f16_sdwa v29, v33, v29 dst_sel:DWORD dst_unused:UNUSED_PAD src0_sel:WORD_1 src1_sel:DWORD
	v_cvt_f32_f16_e64 v31, |v31|
	v_cvt_f32_f16_e64 v32, |v28|
	;; [unrolled: 1-line block ×4, first 2 shown]
	v_add_co_u32_e32 v28, vcc, s26, v14
	v_addc_co_u32_e32 v29, vcc, v27, v15, vcc
	v_max3_f32 v5, v5, v31, v32
	v_cmp_lt_i64_e32 vcc, v[28:29], v[10:11]
	v_max3_f32 v5, v5, v30, v33
	s_and_saveexec_b64 s[38:39], vcc
	s_cbranch_execz .LBB55_19
; %bb.23:                               ;   in Loop: Header=BB55_21 Depth=1
	v_mov_b32_e32 v27, s31
	v_add_co_u32_e32 v18, vcc, s30, v18
	v_addc_co_u32_e32 v19, vcc, v19, v27, vcc
	v_add_co_u32_e32 v22, vcc, s30, v22
	v_addc_co_u32_e32 v23, vcc, v23, v27, vcc
	global_load_dwordx2 v[28:29], v[18:19], off
	global_load_dwordx2 v[30:31], v[22:23], off
	v_add_co_u32_e32 v20, vcc, s30, v20
	v_addc_co_u32_e32 v21, vcc, v21, v27, vcc
	global_load_dwordx2 v[32:33], v[20:21], off
	v_mov_b32_e32 v27, s3
	v_add_co_u32_e32 v14, vcc, s13, v14
	v_addc_co_u32_e32 v15, vcc, v27, v15, vcc
	v_cmp_lt_i64_e32 vcc, v[14:15], v[10:11]
	s_mov_b64 s[42:43], -1
                                        ; implicit-def: $vgpr14_vgpr15
	s_waitcnt vmcnt(2)
	v_cvt_f32_f16_e32 v34, v28
	v_cvt_f32_f16_sdwa v28, v28 dst_sel:DWORD dst_unused:UNUSED_PAD src0_sel:WORD_1
	s_waitcnt vmcnt(1)
	v_cvt_f32_f16_e32 v37, v30
	v_cvt_f32_f16_sdwa v30, v30 dst_sel:DWORD dst_unused:UNUSED_PAD src0_sel:WORD_1
	v_cvt_f32_f16_e32 v35, v29
	v_cvt_f32_f16_sdwa v29, v29 dst_sel:DWORD dst_unused:UNUSED_PAD src0_sel:WORD_1
	;; [unrolled: 2-line block ×3, first 2 shown]
	v_add_f32_e32 v34, v34, v37
	v_add_f32_e32 v28, v28, v30
	;; [unrolled: 1-line block ×4, first 2 shown]
	v_fma_mixlo_f16 v31, v36, v34, 0
	v_fma_mixlo_f16 v28, v36, v28, 0
	;; [unrolled: 1-line block ×4, first 2 shown]
	s_waitcnt vmcnt(0)
	v_mul_f16_e32 v31, v32, v31
	v_mul_f16_sdwa v28, v32, v28 dst_sel:DWORD dst_unused:UNUSED_PAD src0_sel:WORD_1 src1_sel:DWORD
	v_mul_f16_e32 v30, v33, v30
	v_mul_f16_sdwa v29, v33, v29 dst_sel:DWORD dst_unused:UNUSED_PAD src0_sel:WORD_1 src1_sel:DWORD
	v_cvt_f32_f16_e64 v31, |v31|
	v_cvt_f32_f16_e64 v28, |v28|
	;; [unrolled: 1-line block ×4, first 2 shown]
	v_max3_f32 v5, v5, v31, v28
	v_max3_f32 v5, v5, v30, v29
	s_and_saveexec_b64 s[40:41], vcc
	s_xor_b64 s[40:41], exec, s[40:41]
	s_cbranch_execz .LBB55_18
; %bb.24:                               ;   in Loop: Header=BB55_21 Depth=1
	v_mov_b32_e32 v27, s31
	v_add_co_u32_e32 v14, vcc, s30, v18
	v_addc_co_u32_e32 v15, vcc, v19, v27, vcc
	v_add_co_u32_e32 v18, vcc, s30, v22
	v_addc_co_u32_e32 v19, vcc, v23, v27, vcc
	global_load_dwordx2 v[14:15], v[14:15], off
	v_add_co_u32_e32 v20, vcc, s30, v20
	global_load_dwordx2 v[18:19], v[18:19], off
	v_addc_co_u32_e32 v21, vcc, v21, v27, vcc
	global_load_dwordx2 v[20:21], v[20:21], off
	s_add_u32 s42, s16, s16
	s_addc_u32 s43, s17, s17
	v_mov_b32_e32 v22, s25
	v_add_co_u32_e32 v12, vcc, s24, v12
	s_add_u32 s42, s42, s16
	v_addc_co_u32_e32 v1, vcc, v1, v22, vcc
	s_addc_u32 s43, s43, s17
	v_mov_b32_e32 v22, s43
	s_waitcnt vmcnt(2)
	v_cvt_f32_f16_e32 v23, v14
	v_cvt_f32_f16_sdwa v14, v14 dst_sel:DWORD dst_unused:UNUSED_PAD src0_sel:WORD_1
	v_cvt_f32_f16_e32 v27, v15
	s_waitcnt vmcnt(1)
	v_cvt_f32_f16_e32 v28, v18
	v_cvt_f32_f16_sdwa v18, v18 dst_sel:DWORD dst_unused:UNUSED_PAD src0_sel:WORD_1
	v_cvt_f32_f16_sdwa v15, v15 dst_sel:DWORD dst_unused:UNUSED_PAD src0_sel:WORD_1
	v_cvt_f32_f16_e32 v29, v19
	v_cvt_f32_f16_sdwa v19, v19 dst_sel:DWORD dst_unused:UNUSED_PAD src0_sel:WORD_1
	v_add_f32_e32 v23, v23, v28
	v_add_f32_e32 v14, v14, v18
	;; [unrolled: 1-line block ×4, first 2 shown]
	v_fma_mixlo_f16 v19, v36, v23, 0
	v_fma_mixlo_f16 v14, v36, v14, 0
	;; [unrolled: 1-line block ×4, first 2 shown]
	s_waitcnt vmcnt(0)
	v_mul_f16_e32 v19, v20, v19
	v_mul_f16_sdwa v14, v20, v14 dst_sel:DWORD dst_unused:UNUSED_PAD src0_sel:WORD_1 src1_sel:DWORD
	v_mul_f16_e32 v18, v21, v18
	v_mul_f16_sdwa v15, v21, v15 dst_sel:DWORD dst_unused:UNUSED_PAD src0_sel:WORD_1 src1_sel:DWORD
	v_cvt_f32_f16_e64 v19, |v19|
	v_cvt_f32_f16_e64 v20, |v14|
	;; [unrolled: 1-line block ×4, first 2 shown]
	v_add_co_u32_e32 v14, vcc, s42, v16
	v_addc_co_u32_e32 v15, vcc, v22, v17, vcc
	v_cmp_ge_i64_e32 vcc, v[14:15], v[10:11]
	v_max3_f32 v5, v5, v19, v20
	v_max3_f32 v5, v5, v18, v21
	s_orn2_b64 s[42:43], vcc, exec
	s_branch .LBB55_18
.LBB55_25:
	s_or_b64 exec, exec, s[28:29]
.LBB55_26:
	s_or_b64 exec, exec, s[22:23]
	s_lshr_b32 s13, s47, 6
	v_cvt_f32_u32_e32 v10, s13
	v_lshlrev_b32_e32 v1, 2, v0
	ds_write_b32 v1, v5
	s_sub_i32 s23, 0, s13
	v_rcp_iflag_f32_e32 v5, v10
	s_add_i32 s3, s2, s13
	s_add_i32 s3, s3, -1
	s_ashr_i32 s22, s3, 31
	v_mul_f32_e32 v5, 0x4f7ffffe, v5
	v_cvt_u32_f32_e32 v5, v5
	s_abs_i32 s3, s3
	s_waitcnt lgkmcnt(0)
	s_barrier
	v_readfirstlane_b32 s24, v5
	s_mul_i32 s23, s23, s24
	s_mul_hi_u32 s23, s24, s23
	s_add_i32 s24, s24, s23
	s_mul_hi_u32 s23, s3, s24
	s_mul_i32 s24, s23, s13
	s_sub_i32 s3, s3, s24
	s_add_i32 s24, s23, 1
	s_sub_i32 s25, s3, s13
	s_cmp_ge_u32 s3, s13
	s_cselect_b32 s23, s24, s23
	s_cselect_b32 s3, s25, s3
	s_add_i32 s24, s23, 1
	s_cmp_ge_u32 s3, s13
	s_cselect_b32 s3, s24, s23
	s_xor_b32 s3, s3, s22
	s_sub_i32 s22, s3, s22
	s_ashr_i32 s23, s22, 31
	v_cmp_lt_i64_e64 s[24:25], s[22:23], 1
	s_and_b64 vcc, exec, s[24:25]
	s_cbranch_vccnz .LBB55_48
; %bb.27:
	v_and_b32_e32 v12, 63, v0
	v_add_co_u32_e32 v14, vcc, 32, v12
	v_addc_co_u32_e64 v15, s[24:25], 0, 0, vcc
	v_add_co_u32_e32 v16, vcc, 16, v12
	v_addc_co_u32_e64 v17, s[24:25], 0, 0, vcc
	;; [unrolled: 2-line block ×4, first 2 shown]
	v_add_co_u32_e32 v22, vcc, 2, v12
	v_lshrrev_b32_e32 v10, 6, v0
	v_addc_co_u32_e64 v23, s[24:25], 0, 0, vcc
	v_add_co_u32_e32 v24, vcc, 1, v12
	v_addc_co_u32_e64 v25, s[24:25], 0, 0, vcc
	v_mul_lo_u32 v5, s16, v10
	v_lshlrev_b32_e32 v5, 2, v5
	v_lshlrev_b32_e32 v26, 2, v12
	s_movk_i32 s24, 0x100
	v_mov_b32_e32 v11, 0
	v_add3_u32 v5, v5, v26, s24
	s_mul_i32 s24, s16, s13
	s_ashr_i32 s3, s2, 31
	v_mov_b32_e32 v13, v11
	s_lshl_b32 s36, s24, 2
	s_mov_b64 s[24:25], 0
	v_mov_b32_e32 v37, s13
	s_mov_b64 s[26:27], src_shared_base
	s_branch .LBB55_30
.LBB55_28:                              ;   in Loop: Header=BB55_30 Depth=1
	s_or_b64 exec, exec, s[30:31]
	v_mov_b32_e32 v27, s27
	flat_load_dword v26, v[26:27] glc
	s_waitcnt vmcnt(0)
.LBB55_29:                              ;   in Loop: Header=BB55_30 Depth=1
	s_or_b64 exec, exec, s[28:29]
	s_add_u32 s24, s24, 1
	s_addc_u32 s25, s25, 0
	s_cmp_eq_u64 s[24:25], s[22:23]
	v_add_u32_e32 v5, s36, v5
	s_cbranch_scc1 .LBB55_48
.LBB55_30:                              ; =>This Loop Header: Depth=1
                                        ;     Child Loop BB55_33 Depth 2
	v_mad_u64_u32 v[30:31], s[28:29], s24, v37, v[10:11]
	s_mul_i32 s26, s25, s13
	v_add_u32_e32 v31, s26, v31
	v_cmp_gt_i64_e32 vcc, s[2:3], v[30:31]
	s_and_saveexec_b64 s[28:29], vcc
	s_cbranch_execz .LBB55_29
; %bb.31:                               ;   in Loop: Header=BB55_30 Depth=1
	v_pk_mov_b32 v[32:33], s[16:17], s[16:17] op_sel:[0,1]
	v_mul_lo_u32 v29, v31, s16
	v_mul_lo_u32 v38, v30, s17
	v_mad_u64_u32 v[32:33], s[30:31], v30, s16, v[32:33]
	v_add3_u32 v33, v29, v33, v38
	v_mov_b32_e32 v28, s21
	v_cmp_gt_i64_e32 vcc, s[20:21], v[32:33]
	s_waitcnt lgkmcnt(0)
	v_mad_u64_u32 v[26:27], s[30:31], v30, s16, v[12:13]
	v_cndmask_b32_e32 v33, v28, v33, vcc
	v_mov_b32_e32 v28, s20
	v_add3_u32 v27, v29, v27, v38
	v_cndmask_b32_e32 v32, v28, v32, vcc
	v_add_co_u32_e32 v34, vcc, 64, v26
	v_addc_co_u32_e32 v35, vcc, 0, v27, vcc
	v_cmp_lt_i64_e32 vcc, v[34:35], v[32:33]
	v_lshlrev_b32_e32 v28, 2, v26
	s_and_saveexec_b64 s[30:31], vcc
	s_cbranch_execz .LBB55_34
; %bb.32:                               ;   in Loop: Header=BB55_30 Depth=1
	ds_read_b32 v31, v28
	s_mov_b64 s[34:35], 0
	v_mov_b32_e32 v27, v5
.LBB55_33:                              ;   Parent Loop BB55_30 Depth=1
                                        ; =>  This Inner Loop Header: Depth=2
	ds_read_b32 v39, v27
	v_add_co_u32_e32 v34, vcc, 64, v34
	v_addc_co_u32_e32 v35, vcc, 0, v35, vcc
	s_waitcnt lgkmcnt(1)
	v_max_f32_e32 v31, v31, v31
	v_cmp_ge_i64_e32 vcc, v[34:35], v[32:33]
	s_waitcnt lgkmcnt(0)
	v_max_f32_e32 v39, v39, v39
	v_add_u32_e32 v27, 0x100, v27
	s_or_b64 s[34:35], vcc, s[34:35]
	v_max_f32_e32 v31, v31, v39
	ds_write_b32 v28, v31
	s_andn2_b64 exec, exec, s[34:35]
	s_cbranch_execnz .LBB55_33
.LBB55_34:                              ;   in Loop: Header=BB55_30 Depth=1
	s_or_b64 exec, exec, s[30:31]
	v_mad_u64_u32 v[30:31], s[30:31], v30, s16, 0
	v_add3_u32 v27, v31, v38, v29
	v_sub_co_u32_e32 v30, vcc, v32, v30
	v_subb_co_u32_e32 v31, vcc, v33, v27, vcc
	v_cmp_gt_i64_e32 vcc, 64, v[30:31]
	v_cndmask_b32_e32 v31, 0, v31, vcc
	v_cndmask_b32_e32 v30, 64, v30, vcc
	v_cmp_lt_i64_e32 vcc, v[14:15], v[30:31]
	s_and_saveexec_b64 s[30:31], vcc
	s_cbranch_execnz .LBB55_46
; %bb.35:                               ;   in Loop: Header=BB55_30 Depth=1
	s_or_b64 exec, exec, s[30:31]
	v_cmp_lt_i64_e32 vcc, v[16:17], v[30:31]
	s_and_saveexec_b64 s[30:31], vcc
	s_cbranch_execnz .LBB55_47
.LBB55_36:                              ;   in Loop: Header=BB55_30 Depth=1
	s_or_b64 exec, exec, s[30:31]
	v_cmp_lt_i64_e32 vcc, v[18:19], v[30:31]
	s_and_saveexec_b64 s[30:31], vcc
	s_cbranch_execz .LBB55_38
.LBB55_37:                              ;   in Loop: Header=BB55_30 Depth=1
	v_mov_b32_e32 v29, s27
	v_add_u32_e32 v32, 32, v28
	v_mov_b32_e32 v33, s27
	flat_load_dword v27, v[28:29] glc
	s_waitcnt vmcnt(0)
	flat_load_dword v34, v[32:33] glc
	s_waitcnt vmcnt(0) lgkmcnt(0)
	v_max_f32_e32 v27, v27, v27
	v_max_f32_e32 v32, v34, v34
	;; [unrolled: 1-line block ×3, first 2 shown]
	flat_store_dword v[28:29], v27
	s_waitcnt vmcnt(0)
.LBB55_38:                              ;   in Loop: Header=BB55_30 Depth=1
	s_or_b64 exec, exec, s[30:31]
	v_cmp_ge_i64_e32 vcc, v[20:21], v[30:31]
	s_and_saveexec_b64 s[30:31], vcc
	s_xor_b64 s[30:31], exec, s[30:31]
; %bb.39:                               ;   in Loop: Header=BB55_30 Depth=1
                                        ; implicit-def: $vgpr28
; %bb.40:                               ;   in Loop: Header=BB55_30 Depth=1
	s_andn2_saveexec_b64 s[30:31], s[30:31]
	s_cbranch_execz .LBB55_42
; %bb.41:                               ;   in Loop: Header=BB55_30 Depth=1
	v_mov_b32_e32 v29, s27
	v_add_u32_e32 v32, 16, v28
	v_mov_b32_e32 v33, s27
	flat_load_dword v27, v[28:29] glc
	s_waitcnt vmcnt(0)
	flat_load_dword v34, v[32:33] glc
	s_waitcnt vmcnt(0) lgkmcnt(0)
	v_max_f32_e32 v27, v27, v27
	v_max_f32_e32 v32, v34, v34
	;; [unrolled: 1-line block ×3, first 2 shown]
	flat_store_dword v[28:29], v27
	s_waitcnt vmcnt(0)
.LBB55_42:                              ;   in Loop: Header=BB55_30 Depth=1
	s_or_b64 exec, exec, s[30:31]
	v_cmp_lt_i64_e32 vcc, v[22:23], v[30:31]
	v_lshlrev_b32_e32 v26, 2, v26
	s_and_saveexec_b64 s[30:31], vcc
	s_cbranch_execz .LBB55_44
; %bb.43:                               ;   in Loop: Header=BB55_30 Depth=1
	v_mov_b32_e32 v27, s27
	v_add_u32_e32 v28, 8, v26
	v_mov_b32_e32 v29, s27
	flat_load_dword v32, v[26:27] glc
	s_waitcnt vmcnt(0)
	flat_load_dword v33, v[28:29] glc
	s_waitcnt vmcnt(0) lgkmcnt(0)
	v_max_f32_e32 v28, v32, v32
	v_max_f32_e32 v29, v33, v33
	;; [unrolled: 1-line block ×3, first 2 shown]
	flat_store_dword v[26:27], v28
	s_waitcnt vmcnt(0)
.LBB55_44:                              ;   in Loop: Header=BB55_30 Depth=1
	s_or_b64 exec, exec, s[30:31]
	v_cmp_lt_i64_e32 vcc, v[24:25], v[30:31]
	s_and_saveexec_b64 s[30:31], vcc
	s_cbranch_execz .LBB55_28
; %bb.45:                               ;   in Loop: Header=BB55_30 Depth=1
	v_mov_b32_e32 v27, s27
	v_add_u32_e32 v28, 4, v26
	v_mov_b32_e32 v29, s27
	flat_load_dword v30, v[26:27] glc
	s_waitcnt vmcnt(0)
	flat_load_dword v31, v[28:29] glc
	s_waitcnt vmcnt(0) lgkmcnt(0)
	v_max_f32_e32 v28, v30, v30
	v_max_f32_e32 v29, v31, v31
	v_max_f32_e32 v28, v28, v29
	flat_store_dword v[26:27], v28
	s_waitcnt vmcnt(0)
	s_branch .LBB55_28
.LBB55_46:                              ;   in Loop: Header=BB55_30 Depth=1
	v_mov_b32_e32 v29, s27
	v_add_u32_e32 v32, 0x80, v28
	v_mov_b32_e32 v33, s27
	flat_load_dword v27, v[28:29] glc
	s_waitcnt vmcnt(0)
	flat_load_dword v34, v[32:33] glc
	s_waitcnt vmcnt(0) lgkmcnt(0)
	v_max_f32_e32 v27, v27, v27
	v_max_f32_e32 v32, v34, v34
	;; [unrolled: 1-line block ×3, first 2 shown]
	flat_store_dword v[28:29], v27
	s_waitcnt vmcnt(0)
	s_or_b64 exec, exec, s[30:31]
	v_cmp_lt_i64_e32 vcc, v[16:17], v[30:31]
	s_and_saveexec_b64 s[30:31], vcc
	s_cbranch_execz .LBB55_36
.LBB55_47:                              ;   in Loop: Header=BB55_30 Depth=1
	v_mov_b32_e32 v29, s27
	v_add_u32_e32 v32, 64, v28
	v_mov_b32_e32 v33, s27
	flat_load_dword v27, v[28:29] glc
	s_waitcnt vmcnt(0)
	flat_load_dword v34, v[32:33] glc
	s_waitcnt vmcnt(0) lgkmcnt(0)
	v_max_f32_e32 v27, v27, v27
	v_max_f32_e32 v32, v34, v34
	;; [unrolled: 1-line block ×3, first 2 shown]
	flat_store_dword v[28:29], v27
	s_waitcnt vmcnt(0)
	s_or_b64 exec, exec, s[30:31]
	v_cmp_lt_i64_e32 vcc, v[18:19], v[30:31]
	s_and_saveexec_b64 s[30:31], vcc
	s_cbranch_execnz .LBB55_37
	s_branch .LBB55_38
.LBB55_48:
	s_load_dwordx2 s[16:17], s[4:5], 0x40
	v_cmp_eq_u32_e32 vcc, 0, v4
	v_cmp_lt_i64_e64 s[2:3], v[6:7], v[8:9]
	s_and_b64 s[2:3], vcc, s[2:3]
	s_waitcnt lgkmcnt(0)
	s_barrier
	s_and_saveexec_b64 s[20:21], s[2:3]
	s_cbranch_execz .LBB55_55
; %bb.49:
	s_load_dwordx2 s[2:3], s[4:5], 0x20
	ds_read_b32 v1, v1
	s_waitcnt lgkmcnt(0)
	s_cmp_eq_u64 s[2:3], 0
	s_cbranch_scc1 .LBB55_51
; %bb.50:
	s_load_dword s2, s[2:3], 0x0
	v_max_f32_e32 v1, v1, v1
	s_waitcnt lgkmcnt(0)
	v_max_f32_e64 v4, s2, s2
	v_min_f32_e32 v1, v1, v4
.LBB55_51:
	s_add_u32 s3, s16, s48
	s_addc_u32 s4, s17, 0
	s_add_u32 s22, s3, -1
	s_addc_u32 s23, s4, -1
	s_or_b64 s[4:5], s[22:23], s[16:17]
	s_mov_b32 s2, 0
	s_mov_b32 s3, s5
	s_cmp_lg_u64 s[2:3], 0
	s_mov_b64 s[24:25], -1
	s_cbranch_scc0 .LBB55_196
; %bb.52:
	s_ashr_i32 s2, s17, 31
	s_add_u32 s4, s16, s2
	s_mov_b32 s3, s2
	s_addc_u32 s5, s17, s2
	s_xor_b64 s[26:27], s[4:5], s[2:3]
	v_cvt_f32_u32_e32 v4, s26
	v_cvt_f32_u32_e32 v5, s27
	s_sub_u32 s2, 0, s26
	s_subb_u32 s3, 0, s27
	v_madmk_f32 v4, v5, 0x4f800000, v4
	v_rcp_f32_e32 v4, v4
	v_mul_f32_e32 v4, 0x5f7ffffc, v4
	v_mul_f32_e32 v5, 0x2f800000, v4
	v_trunc_f32_e32 v5, v5
	v_madmk_f32 v4, v5, 0xcf800000, v4
	v_cvt_u32_f32_e32 v5, v5
	v_cvt_u32_f32_e32 v4, v4
	v_readfirstlane_b32 s4, v5
	v_readfirstlane_b32 s5, v4
	s_mul_i32 s13, s2, s4
	s_mul_hi_u32 s29, s2, s5
	s_mul_i32 s28, s3, s5
	s_add_i32 s13, s29, s13
	s_add_i32 s13, s13, s28
	s_mul_i32 s30, s2, s5
	s_mul_hi_u32 s28, s5, s13
	s_mul_i32 s29, s5, s13
	s_mul_hi_u32 s5, s5, s30
	s_add_u32 s5, s5, s29
	s_addc_u32 s28, 0, s28
	s_mul_hi_u32 s31, s4, s30
	s_mul_i32 s30, s4, s30
	s_add_u32 s5, s5, s30
	s_mul_hi_u32 s29, s4, s13
	s_addc_u32 s5, s28, s31
	s_addc_u32 s28, s29, 0
	s_mul_i32 s13, s4, s13
	s_add_u32 s5, s5, s13
	s_addc_u32 s13, 0, s28
	v_add_co_u32_e32 v4, vcc, s5, v4
	s_cmp_lg_u64 vcc, 0
	s_addc_u32 s4, s4, s13
	v_readfirstlane_b32 s13, v4
	s_mul_i32 s5, s2, s4
	s_mul_hi_u32 s28, s2, s13
	s_add_i32 s5, s28, s5
	s_mul_i32 s3, s3, s13
	s_add_i32 s5, s5, s3
	s_mul_i32 s2, s2, s13
	s_mul_hi_u32 s28, s4, s2
	s_mul_i32 s29, s4, s2
	s_mul_i32 s31, s13, s5
	s_mul_hi_u32 s2, s13, s2
	s_mul_hi_u32 s30, s13, s5
	s_add_u32 s2, s2, s31
	s_addc_u32 s13, 0, s30
	s_add_u32 s2, s2, s29
	s_mul_hi_u32 s3, s4, s5
	s_addc_u32 s2, s13, s28
	s_addc_u32 s3, s3, 0
	s_mul_i32 s5, s4, s5
	s_add_u32 s2, s2, s5
	s_addc_u32 s3, 0, s3
	v_add_co_u32_e32 v4, vcc, s2, v4
	s_cmp_lg_u64 vcc, 0
	s_addc_u32 s4, s4, s3
	s_ashr_i32 s28, s23, 31
	s_add_u32 s2, s22, s28
	s_mov_b32 s29, s28
	s_addc_u32 s3, s23, s28
	s_xor_b64 s[30:31], s[2:3], s[28:29]
	v_readfirstlane_b32 s5, v4
	s_mul_i32 s3, s30, s4
	s_mul_hi_u32 s13, s30, s5
	s_mul_hi_u32 s2, s30, s4
	s_add_u32 s3, s13, s3
	s_addc_u32 s2, 0, s2
	s_mul_hi_u32 s29, s31, s5
	s_mul_i32 s5, s31, s5
	s_add_u32 s3, s3, s5
	s_mul_hi_u32 s13, s31, s4
	s_addc_u32 s2, s2, s29
	s_addc_u32 s3, s13, 0
	s_mul_i32 s4, s31, s4
	s_add_u32 s2, s2, s4
	s_addc_u32 s3, 0, s3
	s_mul_i32 s3, s26, s3
	s_mul_hi_u32 s4, s26, s2
	s_add_i32 s3, s4, s3
	s_mul_i32 s4, s27, s2
	s_mul_i32 s2, s26, s2
	s_add_i32 s13, s3, s4
	v_mov_b32_e32 v4, s2
	s_sub_i32 s3, s31, s13
	v_sub_co_u32_e32 v4, vcc, s30, v4
	s_cmp_lg_u64 vcc, 0
	s_subb_u32 s29, s3, s27
	v_subrev_co_u32_e64 v5, s[2:3], s26, v4
	s_cmp_lg_u64 s[2:3], 0
	s_subb_u32 s30, s29, 0
	s_cmp_ge_u32 s30, s27
	s_cselect_b32 s34, -1, 0
	v_cmp_le_u32_e64 s[4:5], s26, v5
	s_cmp_eq_u32 s30, s27
	v_cndmask_b32_e64 v6, 0, -1, s[4:5]
	v_mov_b32_e32 v7, s34
	s_cselect_b64 s[4:5], -1, 0
	s_cmp_lg_u64 s[2:3], 0
	v_cndmask_b32_e64 v6, v7, v6, s[4:5]
	s_subb_u32 s4, s29, s27
	v_subrev_co_u32_e64 v7, s[2:3], s26, v5
	s_cmp_lg_u64 s[2:3], 0
	s_subb_u32 s4, s4, 0
	v_cmp_ne_u32_e64 s[2:3], 0, v6
	v_cndmask_b32_e64 v5, v5, v7, s[2:3]
	v_mov_b32_e32 v6, s30
	v_mov_b32_e32 v7, s4
	s_cmp_lg_u64 vcc, 0
	v_cndmask_b32_e64 v6, v6, v7, s[2:3]
	s_subb_u32 s2, s31, s13
	s_cmp_ge_u32 s2, s27
	s_cselect_b32 s3, -1, 0
	v_cmp_le_u32_e32 vcc, s26, v4
	s_cmp_eq_u32 s2, s27
	v_cndmask_b32_e64 v7, 0, -1, vcc
	v_mov_b32_e32 v8, s3
	s_cselect_b64 vcc, -1, 0
	v_cndmask_b32_e32 v7, v8, v7, vcc
	v_cmp_ne_u32_e32 vcc, 0, v7
	v_mov_b32_e32 v8, s2
	v_cndmask_b32_e32 v4, v4, v5, vcc
	v_cndmask_b32_e32 v6, v8, v6, vcc
	v_xor_b32_e32 v4, s28, v4
	v_xor_b32_e32 v5, s28, v6
	v_mov_b32_e32 v6, s28
	v_subrev_co_u32_e32 v4, vcc, s28, v4
	v_subb_co_u32_e32 v5, vcc, v5, v6, vcc
	s_cbranch_execnz .LBB55_54
.LBB55_53:
	v_cvt_f32_u32_e32 v4, s16
	s_sub_i32 s2, 0, s16
	v_rcp_iflag_f32_e32 v4, v4
	v_mul_f32_e32 v4, 0x4f7ffffe, v4
	v_cvt_u32_f32_e32 v4, v4
	v_mul_lo_u32 v5, s2, v4
	v_mul_hi_u32 v5, v4, v5
	v_add_u32_e32 v4, v4, v5
	v_mul_hi_u32 v4, s22, v4
	v_mul_lo_u32 v4, v4, s16
	v_sub_u32_e32 v4, s22, v4
	v_subrev_u32_e32 v5, s16, v4
	v_cmp_le_u32_e32 vcc, s16, v4
	v_cndmask_b32_e32 v4, v4, v5, vcc
	v_subrev_u32_e32 v5, s16, v4
	v_cmp_le_u32_e32 vcc, s16, v4
	v_cndmask_b32_e32 v4, v4, v5, vcc
	v_mov_b32_e32 v5, 0
.LBB55_54:
	s_mov_b32 s4, 0x43600000
	v_div_scale_f32 v6, s[2:3], s4, s4, v1
	v_rcp_f32_e32 v7, v6
	v_div_scale_f32 v8, vcc, v1, s4, v1
	v_fma_f32 v9, -v6, v7, 1.0
	v_fmac_f32_e32 v7, v9, v7
	v_mul_f32_e32 v9, v8, v7
	v_fma_f32 v10, -v6, v9, v8
	v_fmac_f32_e32 v9, v10, v7
	v_fma_f32 v6, -v6, v9, v8
	v_div_fmas_f32 v6, v6, v7, v9
	v_div_fixup_f32 v1, v6, s4, v1
	v_mov_b32_e32 v6, s23
	v_sub_co_u32_e32 v4, vcc, s22, v4
	v_subb_co_u32_e32 v5, vcc, v6, v5, vcc
	v_mul_lo_u32 v5, v5, v2
	v_mul_lo_u32 v6, v4, v3
	v_mad_u64_u32 v[2:3], s[2:3], v4, v2, 0
	s_lshl_b64 s[2:3], s[6:7], 2
	v_add3_u32 v3, v3, v6, v5
	s_add_u32 s2, s2, s10
	v_lshlrev_b64 v[2:3], 2, v[2:3]
	s_addc_u32 s3, s3, s11
	v_mov_b32_e32 v4, s3
	v_add_co_u32_e32 v2, vcc, s2, v2
	v_max_f32_e32 v1, 0x37124925, v1
	v_addc_co_u32_e32 v3, vcc, v4, v3, vcc
	global_store_dword v[2:3], v1, off
.LBB55_55:
	s_or_b64 exec, exec, s[20:21]
	s_barrier
	s_and_saveexec_b64 s[2:3], s[0:1]
	s_cbranch_execz .LBB55_195
; %bb.56:
	s_add_u32 s1, s16, s48
	s_addc_u32 s2, s17, 0
	s_add_u32 s4, s1, -1
	s_addc_u32 s5, s2, -1
	s_or_b64 s[2:3], s[4:5], s[16:17]
	s_mov_b32 s0, 0
	s_mov_b32 s1, s3
	s_cmp_lg_u64 s[0:1], 0
	s_mov_b64 s[20:21], -1
	s_cbranch_scc0 .LBB55_197
; %bb.57:
	s_ashr_i32 s0, s17, 31
	s_add_u32 s2, s16, s0
	s_mov_b32 s1, s0
	s_addc_u32 s3, s17, s0
	s_xor_b64 s[22:23], s[2:3], s[0:1]
	v_cvt_f32_u32_e32 v1, s22
	v_cvt_f32_u32_e32 v2, s23
	s_sub_u32 s0, 0, s22
	s_subb_u32 s1, 0, s23
	v_madmk_f32 v1, v2, 0x4f800000, v1
	v_rcp_f32_e32 v1, v1
	v_mul_f32_e32 v1, 0x5f7ffffc, v1
	v_mul_f32_e32 v2, 0x2f800000, v1
	v_trunc_f32_e32 v2, v2
	v_madmk_f32 v1, v2, 0xcf800000, v1
	v_cvt_u32_f32_e32 v2, v2
	v_cvt_u32_f32_e32 v1, v1
	v_readfirstlane_b32 s2, v2
	v_readfirstlane_b32 s3, v1
	s_mul_i32 s13, s0, s2
	s_mul_hi_u32 s24, s0, s3
	s_mul_i32 s17, s1, s3
	s_add_i32 s13, s24, s13
	s_add_i32 s13, s13, s17
	s_mul_i32 s25, s0, s3
	s_mul_hi_u32 s17, s3, s13
	s_mul_i32 s24, s3, s13
	s_mul_hi_u32 s3, s3, s25
	s_add_u32 s3, s3, s24
	s_addc_u32 s17, 0, s17
	s_mul_hi_u32 s26, s2, s25
	s_mul_i32 s25, s2, s25
	s_add_u32 s3, s3, s25
	s_mul_hi_u32 s24, s2, s13
	s_addc_u32 s3, s17, s26
	s_addc_u32 s17, s24, 0
	s_mul_i32 s13, s2, s13
	s_add_u32 s3, s3, s13
	s_addc_u32 s13, 0, s17
	v_add_co_u32_e32 v1, vcc, s3, v1
	s_cmp_lg_u64 vcc, 0
	s_addc_u32 s2, s2, s13
	v_readfirstlane_b32 s13, v1
	s_mul_i32 s3, s0, s2
	s_mul_hi_u32 s17, s0, s13
	s_add_i32 s3, s17, s3
	s_mul_i32 s1, s1, s13
	s_add_i32 s3, s3, s1
	s_mul_i32 s0, s0, s13
	s_mul_hi_u32 s17, s2, s0
	s_mul_i32 s24, s2, s0
	s_mul_i32 s26, s13, s3
	s_mul_hi_u32 s0, s13, s0
	s_mul_hi_u32 s25, s13, s3
	s_add_u32 s0, s0, s26
	s_addc_u32 s13, 0, s25
	s_add_u32 s0, s0, s24
	s_mul_hi_u32 s1, s2, s3
	s_addc_u32 s0, s13, s17
	s_addc_u32 s1, s1, 0
	s_mul_i32 s3, s2, s3
	s_add_u32 s0, s0, s3
	s_addc_u32 s1, 0, s1
	v_add_co_u32_e32 v1, vcc, s0, v1
	s_cmp_lg_u64 vcc, 0
	s_addc_u32 s2, s2, s1
	s_ashr_i32 s24, s5, 31
	s_add_u32 s0, s4, s24
	s_mov_b32 s25, s24
	s_addc_u32 s1, s5, s24
	s_xor_b64 s[26:27], s[0:1], s[24:25]
	v_readfirstlane_b32 s3, v1
	s_mul_i32 s1, s26, s2
	s_mul_hi_u32 s13, s26, s3
	s_mul_hi_u32 s0, s26, s2
	s_add_u32 s1, s13, s1
	s_addc_u32 s0, 0, s0
	s_mul_hi_u32 s17, s27, s3
	s_mul_i32 s3, s27, s3
	s_add_u32 s1, s1, s3
	s_mul_hi_u32 s13, s27, s2
	s_addc_u32 s0, s0, s17
	s_addc_u32 s1, s13, 0
	s_mul_i32 s2, s27, s2
	s_add_u32 s0, s0, s2
	s_addc_u32 s1, 0, s1
	s_mul_i32 s1, s22, s1
	s_mul_hi_u32 s2, s22, s0
	s_add_i32 s1, s2, s1
	s_mul_i32 s2, s23, s0
	s_mul_i32 s0, s22, s0
	s_add_i32 s13, s1, s2
	v_mov_b32_e32 v1, s0
	s_sub_i32 s1, s27, s13
	v_sub_co_u32_e32 v1, vcc, s26, v1
	s_cmp_lg_u64 vcc, 0
	s_subb_u32 s17, s1, s23
	v_subrev_co_u32_e64 v2, s[0:1], s22, v1
	s_cmp_lg_u64 s[0:1], 0
	s_subb_u32 s25, s17, 0
	s_cmp_ge_u32 s25, s23
	s_cselect_b32 s26, -1, 0
	v_cmp_le_u32_e64 s[2:3], s22, v2
	s_cmp_eq_u32 s25, s23
	v_cndmask_b32_e64 v3, 0, -1, s[2:3]
	v_mov_b32_e32 v4, s26
	s_cselect_b64 s[2:3], -1, 0
	s_cmp_lg_u64 s[0:1], 0
	v_cndmask_b32_e64 v3, v4, v3, s[2:3]
	s_subb_u32 s2, s17, s23
	v_subrev_co_u32_e64 v4, s[0:1], s22, v2
	s_cmp_lg_u64 s[0:1], 0
	s_subb_u32 s2, s2, 0
	v_cmp_ne_u32_e64 s[0:1], 0, v3
	v_cndmask_b32_e64 v2, v2, v4, s[0:1]
	v_mov_b32_e32 v3, s25
	v_mov_b32_e32 v4, s2
	s_cmp_lg_u64 vcc, 0
	v_cndmask_b32_e64 v3, v3, v4, s[0:1]
	s_subb_u32 s0, s27, s13
	s_cmp_ge_u32 s0, s23
	s_cselect_b32 s1, -1, 0
	v_cmp_le_u32_e32 vcc, s22, v1
	s_cmp_eq_u32 s0, s23
	v_cndmask_b32_e64 v4, 0, -1, vcc
	v_mov_b32_e32 v5, s1
	s_cselect_b64 vcc, -1, 0
	v_cndmask_b32_e32 v4, v5, v4, vcc
	v_cmp_ne_u32_e32 vcc, 0, v4
	v_mov_b32_e32 v5, s0
	v_cndmask_b32_e32 v1, v1, v2, vcc
	v_cndmask_b32_e32 v3, v5, v3, vcc
	v_xor_b32_e32 v1, s24, v1
	v_xor_b32_e32 v3, s24, v3
	v_mov_b32_e32 v4, s24
	v_subrev_co_u32_e32 v2, vcc, s24, v1
	v_subb_co_u32_e32 v3, vcc, v3, v4, vcc
	s_cbranch_execnz .LBB55_59
.LBB55_58:
	v_cvt_f32_u32_e32 v1, s16
	s_sub_i32 s0, 0, s16
	v_mov_b32_e32 v3, 0
	v_rcp_iflag_f32_e32 v1, v1
	v_mul_f32_e32 v1, 0x4f7ffffe, v1
	v_cvt_u32_f32_e32 v1, v1
	v_mul_lo_u32 v2, s0, v1
	v_mul_hi_u32 v2, v1, v2
	v_add_u32_e32 v1, v1, v2
	v_mul_hi_u32 v1, s4, v1
	v_mul_lo_u32 v1, v1, s16
	v_sub_u32_e32 v1, s4, v1
	v_subrev_u32_e32 v2, s16, v1
	v_cmp_le_u32_e32 vcc, s16, v1
	v_cndmask_b32_e32 v1, v1, v2, vcc
	v_subrev_u32_e32 v2, s16, v1
	v_cmp_le_u32_e32 vcc, s16, v1
	v_cndmask_b32_e32 v2, v1, v2, vcc
.LBB55_59:
	s_add_u32 s13, s8, s18
	s_addc_u32 s18, s9, s19
	s_lshl_b64 s[0:1], s[6:7], 2
	s_add_u32 s19, s10, s0
	s_addc_u32 s20, s11, s1
	v_mov_b32_e32 v1, s5
	v_sub_co_u32_e32 v12, vcc, s4, v2
	v_subb_co_u32_e32 v13, vcc, v1, v3, vcc
	s_mul_i32 s21, s47, 3
	s_lshl_b32 s22, s47, 1
	s_mov_b64 s[0:1], 0
	v_mov_b32_e32 v1, 0
	v_mov_b32_e32 v14, s44
	;; [unrolled: 1-line block ×5, first 2 shown]
	s_mov_b32 s23, 0x43800000
	s_mov_b32 s24, 0x3bffffff
	;; [unrolled: 1-line block ×4, first 2 shown]
	s_movk_i32 s27, 0x80
	s_mov_b32 s28, 0x4020c0c
	s_branch .LBB55_65
.LBB55_60:                              ;   in Loop: Header=BB55_65 Depth=1
	s_or_b64 exec, exec, s[16:17]
.LBB55_61:                              ;   in Loop: Header=BB55_65 Depth=1
	s_or_b64 exec, exec, s[8:9]
	v_lshlrev_b64 v[10:11], 2, v[0:1]
	v_mov_b32_e32 v0, s18
	v_add_co_u32_e32 v10, vcc, s13, v10
	v_addc_co_u32_e32 v11, vcc, v0, v11, vcc
	v_lshlrev_b32_e32 v0, 16, v6
	v_lshlrev_b32_e32 v3, 8, v3
	v_perm_b32 v0, v4, v0, s28
	v_and_b32_e32 v3, 0xff00, v3
	v_and_b32_e32 v4, 0xff, v8
	s_add_i32 s8, s47, s47
	v_or3_b32 v0, v0, v3, v4
	s_add_i32 s8, s8, s47
	global_store_dword v[10:11], v0, off
	v_add_u32_e32 v0, s8, v2
	v_cmp_le_u32_e32 vcc, s12, v0
	s_orn2_b64 s[8:9], vcc, exec
.LBB55_62:                              ;   in Loop: Header=BB55_65 Depth=1
	s_or_b64 exec, exec, s[6:7]
	s_orn2_b64 s[6:7], s[8:9], exec
.LBB55_63:                              ;   in Loop: Header=BB55_65 Depth=1
	s_or_b64 exec, exec, s[4:5]
	s_orn2_b64 s[4:5], s[6:7], exec
.LBB55_64:                              ;   in Loop: Header=BB55_65 Depth=1
	s_or_b64 exec, exec, s[2:3]
	s_and_b64 s[2:3], exec, s[4:5]
	s_or_b64 s[0:1], s[2:3], s[0:1]
	s_andn2_b64 exec, exec, s[0:1]
	s_cbranch_execz .LBB55_195
.LBB55_65:                              ; =>This Inner Loop Header: Depth=1
	v_lshlrev_b64 v[2:3], 3, v[0:1]
	v_add_co_u32_e32 v4, vcc, s33, v2
	v_addc_co_u32_e32 v5, vcc, v14, v3, vcc
	v_add_co_u32_e32 v10, vcc, s45, v2
	v_addc_co_u32_e32 v11, vcc, v16, v3, vcc
	global_load_dwordx2 v[4:5], v[4:5], off
	v_bfe_u32 v19, v0, 4, 26
	global_load_dwordx2 v[6:7], v[10:11], off
	v_add_co_u32_e32 v2, vcc, s14, v2
	v_mad_u64_u32 v[8:9], s[2:3], v12, v19, 0
	v_addc_co_u32_e32 v3, vcc, v15, v3, vcc
	v_mov_b32_e32 v18, v9
	global_load_dwordx2 v[2:3], v[2:3], off
	v_mad_u64_u32 v[18:19], s[2:3], v13, v19, v[18:19]
	v_mov_b32_e32 v9, v18
	v_lshlrev_b64 v[8:9], 2, v[8:9]
	v_add_co_u32_e32 v8, vcc, s19, v8
	v_addc_co_u32_e32 v9, vcc, v17, v9, vcc
	global_load_dword v9, v[8:9], off
	v_mov_b32_e32 v8, 0x80
	s_waitcnt vmcnt(3)
	v_cvt_f32_f16_e32 v20, v4
	v_cvt_f32_f16_sdwa v21, v4 dst_sel:DWORD dst_unused:UNUSED_PAD src0_sel:WORD_1
	s_waitcnt vmcnt(2)
	v_cvt_f32_f16_e32 v22, v6
	v_cvt_f32_f16_sdwa v23, v6 dst_sel:DWORD dst_unused:UNUSED_PAD src0_sel:WORD_1
	v_cvt_f32_f16_e32 v18, v5
	v_cvt_f32_f16_sdwa v19, v5 dst_sel:DWORD dst_unused:UNUSED_PAD src0_sel:WORD_1
	;; [unrolled: 2-line block ×3, first 2 shown]
	v_pk_add_f32 v[6:7], v[20:21], v[22:23]
	v_cvt_f16_f32_e32 v21, v6
	v_fma_mixlo_f16 v6, v36, v6, 0
	v_pk_add_f32 v[4:5], v[18:19], v[4:5]
	s_waitcnt vmcnt(1)
	v_mul_f16_e32 v6, v2, v6
	v_cvt_f16_f32_e32 v18, v5
	v_cvt_f16_f32_e32 v19, v4
	;; [unrolled: 1-line block ×3, first 2 shown]
	v_cvt_f32_f16_e32 v6, v6
	v_pack_b32_f16 v19, v19, v18
	v_pack_b32_f16 v18, v21, v20
	s_waitcnt vmcnt(0)
	v_div_scale_f32 v20, s[2:3], v9, v9, v6
	v_rcp_f32_e32 v21, v20
	global_store_dwordx2 v[10:11], v[18:19], off
	v_div_scale_f32 v10, vcc, v6, v9, v6
	v_fma_f32 v11, -v20, v21, 1.0
	v_fmac_f32_e32 v21, v11, v21
	v_mul_f32_e32 v11, v10, v21
	v_fma_f32 v18, -v20, v11, v10
	v_fmac_f32_e32 v11, v18, v21
	v_fma_f32 v10, -v20, v11, v10
	v_div_fmas_f32 v10, v10, v21, v11
	v_div_fixup_f32 v6, v10, v9, v6
	v_min_f32_e32 v6, 0x43600000, v6
	v_max_f32_e32 v10, 0xc3600000, v6
	v_and_b32_e32 v11, 0x7fffffff, v10
	v_cmp_gt_u32_e32 vcc, s23, v11
	v_mov_b32_e32 v6, 0x80
	s_and_saveexec_b64 s[2:3], vcc
	s_cbranch_execz .LBB55_71
; %bb.66:                               ;   in Loop: Header=BB55_65 Depth=1
	v_cmp_lt_u32_e32 vcc, s24, v11
	s_mov_b64 s[4:5], 0
                                        ; implicit-def: $vgpr11
	s_and_saveexec_b64 s[6:7], vcc
	s_xor_b64 s[6:7], exec, s[6:7]
	s_cbranch_execnz .LBB55_162
; %bb.67:                               ;   in Loop: Header=BB55_65 Depth=1
	s_or_saveexec_b64 s[6:7], s[6:7]
                                        ; implicit-def: $sgpr8
	s_xor_b64 exec, exec, s[6:7]
	s_cbranch_execnz .LBB55_163
.LBB55_68:                              ;   in Loop: Header=BB55_65 Depth=1
	s_or_b64 exec, exec, s[6:7]
	v_mov_b32_e32 v6, s8
	s_and_saveexec_b64 s[6:7], s[4:5]
.LBB55_69:                              ;   in Loop: Header=BB55_65 Depth=1
	v_lshrrev_b32_e32 v6, 24, v10
	v_and_or_b32 v6, v6, s27, v11
.LBB55_70:                              ;   in Loop: Header=BB55_65 Depth=1
	s_or_b64 exec, exec, s[6:7]
.LBB55_71:                              ;   in Loop: Header=BB55_65 Depth=1
	s_or_b64 exec, exec, s[2:3]
	v_fma_mixlo_f16 v7, v36, v7, 0
	v_mul_f16_sdwa v2, v2, v7 dst_sel:DWORD dst_unused:UNUSED_PAD src0_sel:WORD_1 src1_sel:DWORD
	v_cvt_f32_f16_e32 v2, v2
	v_div_scale_f32 v7, s[2:3], v9, v9, v2
	v_rcp_f32_e32 v10, v7
	v_div_scale_f32 v11, vcc, v2, v9, v2
	v_fma_f32 v18, -v7, v10, 1.0
	v_fmac_f32_e32 v10, v18, v10
	v_mul_f32_e32 v18, v11, v10
	v_fma_f32 v19, -v7, v18, v11
	v_fmac_f32_e32 v18, v19, v10
	v_fma_f32 v7, -v7, v18, v11
	v_div_fmas_f32 v7, v7, v10, v18
	v_div_fixup_f32 v2, v7, v9, v2
	v_min_f32_e32 v2, 0x43600000, v2
	v_max_f32_e32 v2, 0xc3600000, v2
	v_and_b32_e32 v7, 0x7fffffff, v2
	v_cmp_gt_u32_e32 vcc, s23, v7
	s_and_saveexec_b64 s[2:3], vcc
	s_cbranch_execz .LBB55_77
; %bb.72:                               ;   in Loop: Header=BB55_65 Depth=1
	v_cmp_lt_u32_e32 vcc, s24, v7
	s_mov_b64 s[4:5], 0
                                        ; implicit-def: $vgpr7
	s_and_saveexec_b64 s[6:7], vcc
	s_xor_b64 s[6:7], exec, s[6:7]
	s_cbranch_execnz .LBB55_164
; %bb.73:                               ;   in Loop: Header=BB55_65 Depth=1
	s_or_saveexec_b64 s[6:7], s[6:7]
                                        ; implicit-def: $sgpr8
	s_xor_b64 exec, exec, s[6:7]
	s_cbranch_execnz .LBB55_165
.LBB55_74:                              ;   in Loop: Header=BB55_65 Depth=1
	s_or_b64 exec, exec, s[6:7]
	v_mov_b32_e32 v8, s8
	s_and_saveexec_b64 s[6:7], s[4:5]
.LBB55_75:                              ;   in Loop: Header=BB55_65 Depth=1
	v_lshrrev_b32_e32 v2, 24, v2
	v_and_or_b32 v8, v2, s27, v7
.LBB55_76:                              ;   in Loop: Header=BB55_65 Depth=1
	s_or_b64 exec, exec, s[6:7]
.LBB55_77:                              ;   in Loop: Header=BB55_65 Depth=1
	s_or_b64 exec, exec, s[2:3]
	v_fma_mixlo_f16 v2, v36, v4, 0
	v_mul_f16_e32 v2, v3, v2
	v_cvt_f32_f16_e32 v4, v2
	v_mov_b32_e32 v2, 0x80
	v_div_scale_f32 v7, s[2:3], v9, v9, v4
	v_rcp_f32_e32 v10, v7
	v_div_scale_f32 v11, vcc, v4, v9, v4
	v_fma_f32 v18, -v7, v10, 1.0
	v_fmac_f32_e32 v10, v18, v10
	v_mul_f32_e32 v18, v11, v10
	v_fma_f32 v19, -v7, v18, v11
	v_fmac_f32_e32 v18, v19, v10
	v_fma_f32 v7, -v7, v18, v11
	v_div_fmas_f32 v7, v7, v10, v18
	v_div_fixup_f32 v4, v7, v9, v4
	v_min_f32_e32 v4, 0x43600000, v4
	v_max_f32_e32 v7, 0xc3600000, v4
	v_and_b32_e32 v10, 0x7fffffff, v7
	v_cmp_gt_u32_e32 vcc, s23, v10
	v_mov_b32_e32 v4, 0x80
	s_and_saveexec_b64 s[2:3], vcc
	s_cbranch_execz .LBB55_83
; %bb.78:                               ;   in Loop: Header=BB55_65 Depth=1
	v_cmp_lt_u32_e32 vcc, s24, v10
	s_mov_b64 s[4:5], 0
                                        ; implicit-def: $vgpr10
	s_and_saveexec_b64 s[6:7], vcc
	s_xor_b64 s[6:7], exec, s[6:7]
	s_cbranch_execnz .LBB55_166
; %bb.79:                               ;   in Loop: Header=BB55_65 Depth=1
	s_or_saveexec_b64 s[6:7], s[6:7]
                                        ; implicit-def: $sgpr8
	s_xor_b64 exec, exec, s[6:7]
	s_cbranch_execnz .LBB55_167
.LBB55_80:                              ;   in Loop: Header=BB55_65 Depth=1
	s_or_b64 exec, exec, s[6:7]
	v_mov_b32_e32 v4, s8
	s_and_saveexec_b64 s[6:7], s[4:5]
.LBB55_81:                              ;   in Loop: Header=BB55_65 Depth=1
	v_lshrrev_b32_e32 v4, 24, v7
	v_and_or_b32 v4, v4, s27, v10
.LBB55_82:                              ;   in Loop: Header=BB55_65 Depth=1
	s_or_b64 exec, exec, s[6:7]
.LBB55_83:                              ;   in Loop: Header=BB55_65 Depth=1
	s_or_b64 exec, exec, s[2:3]
	v_fma_mixlo_f16 v5, v36, v5, 0
	v_mul_f16_sdwa v3, v3, v5 dst_sel:DWORD dst_unused:UNUSED_PAD src0_sel:WORD_1 src1_sel:DWORD
	v_cvt_f32_f16_e32 v3, v3
	v_div_scale_f32 v5, s[2:3], v9, v9, v3
	v_rcp_f32_e32 v7, v5
	v_div_scale_f32 v10, vcc, v3, v9, v3
	v_fma_f32 v11, -v5, v7, 1.0
	v_fmac_f32_e32 v7, v11, v7
	v_mul_f32_e32 v11, v10, v7
	v_fma_f32 v18, -v5, v11, v10
	v_fmac_f32_e32 v11, v18, v7
	v_fma_f32 v5, -v5, v11, v10
	v_div_fmas_f32 v5, v5, v7, v11
	v_div_fixup_f32 v3, v5, v9, v3
	v_min_f32_e32 v3, 0x43600000, v3
	v_max_f32_e32 v3, 0xc3600000, v3
	v_and_b32_e32 v5, 0x7fffffff, v3
	v_cmp_gt_u32_e32 vcc, s23, v5
	s_and_saveexec_b64 s[2:3], vcc
	s_cbranch_execz .LBB55_89
; %bb.84:                               ;   in Loop: Header=BB55_65 Depth=1
	v_cmp_lt_u32_e32 vcc, s24, v5
	s_mov_b64 s[4:5], 0
                                        ; implicit-def: $vgpr5
	s_and_saveexec_b64 s[6:7], vcc
	s_xor_b64 s[6:7], exec, s[6:7]
	s_cbranch_execnz .LBB55_168
; %bb.85:                               ;   in Loop: Header=BB55_65 Depth=1
	s_or_saveexec_b64 s[6:7], s[6:7]
                                        ; implicit-def: $sgpr8
	s_xor_b64 exec, exec, s[6:7]
	s_cbranch_execnz .LBB55_169
.LBB55_86:                              ;   in Loop: Header=BB55_65 Depth=1
	s_or_b64 exec, exec, s[6:7]
	v_mov_b32_e32 v2, s8
	s_and_saveexec_b64 s[6:7], s[4:5]
.LBB55_87:                              ;   in Loop: Header=BB55_65 Depth=1
	v_lshrrev_b32_e32 v2, 24, v3
	v_and_or_b32 v2, v2, s27, v5
.LBB55_88:                              ;   in Loop: Header=BB55_65 Depth=1
	s_or_b64 exec, exec, s[6:7]
.LBB55_89:                              ;   in Loop: Header=BB55_65 Depth=1
	s_or_b64 exec, exec, s[2:3]
	v_lshlrev_b64 v[10:11], 2, v[0:1]
	v_mov_b32_e32 v3, s18
	v_add_co_u32_e32 v10, vcc, s13, v10
	v_addc_co_u32_e32 v11, vcc, v3, v11, vcc
	v_lshlrev_b32_e32 v3, 16, v4
	v_perm_b32 v2, v2, v3, s28
	v_lshlrev_b32_e32 v3, 8, v8
	v_and_b32_e32 v3, 0xff00, v3
	v_and_b32_e32 v4, 0xff, v6
	v_or3_b32 v2, v2, v3, v4
	global_store_dword v[10:11], v2, off
	v_add_u32_e32 v2, s47, v0
	v_cmp_gt_u32_e32 vcc, s12, v2
	s_mov_b64 s[4:5], -1
	s_and_saveexec_b64 s[2:3], vcc
	s_cbranch_execz .LBB55_64
; %bb.90:                               ;   in Loop: Header=BB55_65 Depth=1
	v_mov_b32_e32 v3, v1
	v_lshlrev_b64 v[4:5], 3, v[2:3]
	v_mov_b32_e32 v7, s44
	v_add_co_u32_e32 v6, vcc, s33, v4
	v_addc_co_u32_e32 v7, vcc, v7, v5, vcc
	v_mov_b32_e32 v8, s46
	v_add_co_u32_e32 v18, vcc, s45, v4
	v_addc_co_u32_e32 v19, vcc, v8, v5, vcc
	global_load_dwordx2 v[6:7], v[6:7], off
	v_mov_b32_e32 v10, s15
	global_load_dwordx2 v[8:9], v[18:19], off
	v_add_co_u32_e32 v4, vcc, s14, v4
	v_bfe_u32 v21, v2, 4, 26
	v_addc_co_u32_e32 v5, vcc, v10, v5, vcc
	v_mad_u64_u32 v[10:11], s[4:5], v12, v21, 0
	v_mov_b32_e32 v20, v11
	global_load_dwordx2 v[4:5], v[4:5], off
	v_mad_u64_u32 v[20:21], s[4:5], v13, v21, v[20:21]
	v_mov_b32_e32 v11, v20
	v_lshlrev_b64 v[10:11], 2, v[10:11]
	v_mov_b32_e32 v20, s20
	v_add_co_u32_e32 v10, vcc, s19, v10
	v_addc_co_u32_e32 v11, vcc, v20, v11, vcc
	global_load_dword v11, v[10:11], off
	v_mov_b32_e32 v10, 0x80
	s_waitcnt vmcnt(3)
	v_cvt_f32_f16_e32 v22, v6
	v_cvt_f32_f16_sdwa v23, v6 dst_sel:DWORD dst_unused:UNUSED_PAD src0_sel:WORD_1
	s_waitcnt vmcnt(2)
	v_cvt_f32_f16_e32 v24, v8
	v_cvt_f32_f16_sdwa v25, v8 dst_sel:DWORD dst_unused:UNUSED_PAD src0_sel:WORD_1
	v_cvt_f32_f16_e32 v20, v7
	v_cvt_f32_f16_sdwa v21, v7 dst_sel:DWORD dst_unused:UNUSED_PAD src0_sel:WORD_1
	;; [unrolled: 2-line block ×3, first 2 shown]
	v_pk_add_f32 v[8:9], v[22:23], v[24:25]
	v_cvt_f16_f32_e32 v23, v8
	v_fma_mixlo_f16 v8, v36, v8, 0
	v_pk_add_f32 v[6:7], v[20:21], v[6:7]
	s_waitcnt vmcnt(1)
	v_mul_f16_e32 v8, v4, v8
	v_cvt_f16_f32_e32 v20, v7
	v_cvt_f16_f32_e32 v21, v6
	;; [unrolled: 1-line block ×3, first 2 shown]
	v_cvt_f32_f16_e32 v8, v8
	v_pack_b32_f16 v21, v21, v20
	v_pack_b32_f16 v20, v23, v22
	global_store_dwordx2 v[18:19], v[20:21], off
	s_waitcnt vmcnt(1)
	v_div_scale_f32 v22, s[4:5], v11, v11, v8
	v_rcp_f32_e32 v23, v22
	v_div_scale_f32 v18, vcc, v8, v11, v8
	v_fma_f32 v19, -v22, v23, 1.0
	v_fmac_f32_e32 v23, v19, v23
	v_mul_f32_e32 v19, v18, v23
	v_fma_f32 v20, -v22, v19, v18
	v_fmac_f32_e32 v19, v20, v23
	v_fma_f32 v18, -v22, v19, v18
	v_div_fmas_f32 v18, v18, v23, v19
	v_div_fixup_f32 v8, v18, v11, v8
	v_min_f32_e32 v8, 0x43600000, v8
	v_max_f32_e32 v18, 0xc3600000, v8
	v_and_b32_e32 v19, 0x7fffffff, v18
	v_cmp_gt_u32_e32 vcc, s23, v19
	v_mov_b32_e32 v8, 0x80
	s_and_saveexec_b64 s[4:5], vcc
	s_cbranch_execz .LBB55_96
; %bb.91:                               ;   in Loop: Header=BB55_65 Depth=1
	v_cmp_lt_u32_e32 vcc, s24, v19
	s_mov_b64 s[6:7], 0
                                        ; implicit-def: $vgpr19
	s_and_saveexec_b64 s[8:9], vcc
	s_xor_b64 s[8:9], exec, s[8:9]
	s_cbranch_execnz .LBB55_170
; %bb.92:                               ;   in Loop: Header=BB55_65 Depth=1
	s_or_saveexec_b64 s[8:9], s[8:9]
                                        ; implicit-def: $sgpr10
	s_xor_b64 exec, exec, s[8:9]
	s_cbranch_execnz .LBB55_171
.LBB55_93:                              ;   in Loop: Header=BB55_65 Depth=1
	s_or_b64 exec, exec, s[8:9]
	v_mov_b32_e32 v8, s10
	s_and_saveexec_b64 s[8:9], s[6:7]
.LBB55_94:                              ;   in Loop: Header=BB55_65 Depth=1
	v_lshrrev_b32_e32 v8, 24, v18
	v_and_or_b32 v8, v8, s27, v19
.LBB55_95:                              ;   in Loop: Header=BB55_65 Depth=1
	s_or_b64 exec, exec, s[8:9]
.LBB55_96:                              ;   in Loop: Header=BB55_65 Depth=1
	s_or_b64 exec, exec, s[4:5]
	v_fma_mixlo_f16 v9, v36, v9, 0
	v_mul_f16_sdwa v4, v4, v9 dst_sel:DWORD dst_unused:UNUSED_PAD src0_sel:WORD_1 src1_sel:DWORD
	v_cvt_f32_f16_e32 v4, v4
	v_div_scale_f32 v9, s[4:5], v11, v11, v4
	v_rcp_f32_e32 v18, v9
	v_div_scale_f32 v19, vcc, v4, v11, v4
	v_fma_f32 v20, -v9, v18, 1.0
	v_fmac_f32_e32 v18, v20, v18
	v_mul_f32_e32 v20, v19, v18
	v_fma_f32 v21, -v9, v20, v19
	v_fmac_f32_e32 v20, v21, v18
	v_fma_f32 v9, -v9, v20, v19
	v_div_fmas_f32 v9, v9, v18, v20
	v_div_fixup_f32 v4, v9, v11, v4
	v_min_f32_e32 v4, 0x43600000, v4
	v_max_f32_e32 v4, 0xc3600000, v4
	v_and_b32_e32 v9, 0x7fffffff, v4
	v_cmp_gt_u32_e32 vcc, s23, v9
	s_and_saveexec_b64 s[4:5], vcc
	s_cbranch_execz .LBB55_102
; %bb.97:                               ;   in Loop: Header=BB55_65 Depth=1
	v_cmp_lt_u32_e32 vcc, s24, v9
	s_mov_b64 s[6:7], 0
                                        ; implicit-def: $vgpr9
	s_and_saveexec_b64 s[8:9], vcc
	s_xor_b64 s[8:9], exec, s[8:9]
	s_cbranch_execnz .LBB55_172
; %bb.98:                               ;   in Loop: Header=BB55_65 Depth=1
	s_or_saveexec_b64 s[8:9], s[8:9]
                                        ; implicit-def: $sgpr10
	s_xor_b64 exec, exec, s[8:9]
	s_cbranch_execnz .LBB55_173
.LBB55_99:                              ;   in Loop: Header=BB55_65 Depth=1
	s_or_b64 exec, exec, s[8:9]
	v_mov_b32_e32 v10, s10
	s_and_saveexec_b64 s[8:9], s[6:7]
.LBB55_100:                             ;   in Loop: Header=BB55_65 Depth=1
	v_lshrrev_b32_e32 v4, 24, v4
	v_and_or_b32 v10, v4, s27, v9
.LBB55_101:                             ;   in Loop: Header=BB55_65 Depth=1
	s_or_b64 exec, exec, s[8:9]
.LBB55_102:                             ;   in Loop: Header=BB55_65 Depth=1
	s_or_b64 exec, exec, s[4:5]
	v_fma_mixlo_f16 v4, v36, v6, 0
	v_mul_f16_e32 v4, v5, v4
	v_cvt_f32_f16_e32 v6, v4
	v_mov_b32_e32 v4, 0x80
	v_div_scale_f32 v9, s[4:5], v11, v11, v6
	v_rcp_f32_e32 v18, v9
	v_div_scale_f32 v19, vcc, v6, v11, v6
	v_fma_f32 v20, -v9, v18, 1.0
	v_fmac_f32_e32 v18, v20, v18
	v_mul_f32_e32 v20, v19, v18
	v_fma_f32 v21, -v9, v20, v19
	v_fmac_f32_e32 v20, v21, v18
	v_fma_f32 v9, -v9, v20, v19
	v_div_fmas_f32 v9, v9, v18, v20
	v_div_fixup_f32 v6, v9, v11, v6
	v_min_f32_e32 v6, 0x43600000, v6
	v_max_f32_e32 v9, 0xc3600000, v6
	v_and_b32_e32 v18, 0x7fffffff, v9
	v_cmp_gt_u32_e32 vcc, s23, v18
	v_mov_b32_e32 v6, 0x80
	s_and_saveexec_b64 s[4:5], vcc
	s_cbranch_execz .LBB55_108
; %bb.103:                              ;   in Loop: Header=BB55_65 Depth=1
	v_cmp_lt_u32_e32 vcc, s24, v18
	s_mov_b64 s[6:7], 0
                                        ; implicit-def: $vgpr18
	s_and_saveexec_b64 s[8:9], vcc
	s_xor_b64 s[8:9], exec, s[8:9]
	s_cbranch_execnz .LBB55_174
; %bb.104:                              ;   in Loop: Header=BB55_65 Depth=1
	s_or_saveexec_b64 s[8:9], s[8:9]
                                        ; implicit-def: $sgpr10
	s_xor_b64 exec, exec, s[8:9]
	s_cbranch_execnz .LBB55_175
.LBB55_105:                             ;   in Loop: Header=BB55_65 Depth=1
	s_or_b64 exec, exec, s[8:9]
	v_mov_b32_e32 v6, s10
	s_and_saveexec_b64 s[8:9], s[6:7]
.LBB55_106:                             ;   in Loop: Header=BB55_65 Depth=1
	v_lshrrev_b32_e32 v6, 24, v9
	v_and_or_b32 v6, v6, s27, v18
.LBB55_107:                             ;   in Loop: Header=BB55_65 Depth=1
	s_or_b64 exec, exec, s[8:9]
.LBB55_108:                             ;   in Loop: Header=BB55_65 Depth=1
	s_or_b64 exec, exec, s[4:5]
	v_fma_mixlo_f16 v7, v36, v7, 0
	v_mul_f16_sdwa v5, v5, v7 dst_sel:DWORD dst_unused:UNUSED_PAD src0_sel:WORD_1 src1_sel:DWORD
	v_cvt_f32_f16_e32 v5, v5
	v_div_scale_f32 v7, s[4:5], v11, v11, v5
	v_rcp_f32_e32 v9, v7
	v_div_scale_f32 v18, vcc, v5, v11, v5
	v_fma_f32 v19, -v7, v9, 1.0
	v_fmac_f32_e32 v9, v19, v9
	v_mul_f32_e32 v19, v18, v9
	v_fma_f32 v20, -v7, v19, v18
	v_fmac_f32_e32 v19, v20, v9
	v_fma_f32 v7, -v7, v19, v18
	v_div_fmas_f32 v7, v7, v9, v19
	v_div_fixup_f32 v5, v7, v11, v5
	v_min_f32_e32 v5, 0x43600000, v5
	v_max_f32_e32 v5, 0xc3600000, v5
	v_and_b32_e32 v7, 0x7fffffff, v5
	v_cmp_gt_u32_e32 vcc, s23, v7
	s_and_saveexec_b64 s[4:5], vcc
	s_cbranch_execz .LBB55_114
; %bb.109:                              ;   in Loop: Header=BB55_65 Depth=1
	v_cmp_lt_u32_e32 vcc, s24, v7
	s_mov_b64 s[6:7], 0
                                        ; implicit-def: $vgpr7
	s_and_saveexec_b64 s[8:9], vcc
	s_xor_b64 s[8:9], exec, s[8:9]
	s_cbranch_execnz .LBB55_176
; %bb.110:                              ;   in Loop: Header=BB55_65 Depth=1
	s_or_saveexec_b64 s[8:9], s[8:9]
                                        ; implicit-def: $sgpr10
	s_xor_b64 exec, exec, s[8:9]
	s_cbranch_execnz .LBB55_177
.LBB55_111:                             ;   in Loop: Header=BB55_65 Depth=1
	s_or_b64 exec, exec, s[8:9]
	v_mov_b32_e32 v4, s10
	s_and_saveexec_b64 s[8:9], s[6:7]
.LBB55_112:                             ;   in Loop: Header=BB55_65 Depth=1
	v_lshrrev_b32_e32 v4, 24, v5
	v_and_or_b32 v4, v4, s27, v7
.LBB55_113:                             ;   in Loop: Header=BB55_65 Depth=1
	s_or_b64 exec, exec, s[8:9]
.LBB55_114:                             ;   in Loop: Header=BB55_65 Depth=1
	s_or_b64 exec, exec, s[4:5]
	v_lshlrev_b64 v[18:19], 2, v[2:3]
	v_mov_b32_e32 v3, s18
	v_add_co_u32_e32 v18, vcc, s13, v18
	v_addc_co_u32_e32 v19, vcc, v3, v19, vcc
	v_lshlrev_b32_e32 v3, 16, v6
	v_perm_b32 v3, v4, v3, s28
	v_lshlrev_b32_e32 v4, 8, v10
	v_and_b32_e32 v4, 0xff00, v4
	v_and_b32_e32 v5, 0xff, v8
	v_or3_b32 v3, v3, v4, v5
	v_add_u32_e32 v4, s22, v0
	v_cmp_gt_u32_e32 vcc, s12, v4
	s_mov_b64 s[6:7], -1
	global_store_dword v[18:19], v3, off
	s_and_saveexec_b64 s[4:5], vcc
	s_cbranch_execz .LBB55_63
; %bb.115:                              ;   in Loop: Header=BB55_65 Depth=1
	v_mov_b32_e32 v5, v1
	v_lshlrev_b64 v[6:7], 3, v[4:5]
	v_mov_b32_e32 v3, s44
	v_add_co_u32_e32 v8, vcc, s33, v6
	v_addc_co_u32_e32 v9, vcc, v3, v7, vcc
	v_mov_b32_e32 v10, s46
	v_add_co_u32_e32 v20, vcc, s45, v6
	v_addc_co_u32_e32 v21, vcc, v10, v7, vcc
	global_load_dwordx2 v[8:9], v[8:9], off
	v_mov_b32_e32 v3, s15
	global_load_dwordx2 v[10:11], v[20:21], off
	v_add_co_u32_e32 v6, vcc, s14, v6
	v_addc_co_u32_e32 v7, vcc, v3, v7, vcc
	v_bfe_u32 v3, v4, 4, 26
	v_mad_u64_u32 v[18:19], s[6:7], v12, v3, 0
	v_mov_b32_e32 v22, v19
	global_load_dwordx2 v[6:7], v[6:7], off
	v_mad_u64_u32 v[22:23], s[6:7], v13, v3, v[22:23]
	v_mov_b32_e32 v19, v22
	v_lshlrev_b64 v[18:19], 2, v[18:19]
	v_mov_b32_e32 v3, s20
	v_add_co_u32_e32 v18, vcc, s19, v18
	v_addc_co_u32_e32 v19, vcc, v3, v19, vcc
	global_load_dword v18, v[18:19], off
	v_mov_b32_e32 v3, 0x80
	s_waitcnt vmcnt(3)
	v_cvt_f32_f16_e32 v24, v8
	v_cvt_f32_f16_sdwa v25, v8 dst_sel:DWORD dst_unused:UNUSED_PAD src0_sel:WORD_1
	s_waitcnt vmcnt(2)
	v_cvt_f32_f16_e32 v26, v10
	v_cvt_f32_f16_sdwa v27, v10 dst_sel:DWORD dst_unused:UNUSED_PAD src0_sel:WORD_1
	v_cvt_f32_f16_e32 v22, v9
	v_cvt_f32_f16_sdwa v23, v9 dst_sel:DWORD dst_unused:UNUSED_PAD src0_sel:WORD_1
	;; [unrolled: 2-line block ×3, first 2 shown]
	v_pk_add_f32 v[10:11], v[24:25], v[26:27]
	v_cvt_f16_f32_e32 v25, v10
	v_fma_mixlo_f16 v10, v36, v10, 0
	v_pk_add_f32 v[8:9], v[22:23], v[8:9]
	s_waitcnt vmcnt(1)
	v_mul_f16_e32 v10, v6, v10
	v_cvt_f16_f32_e32 v19, v9
	v_cvt_f16_f32_e32 v22, v8
	v_cvt_f32_f16_e32 v10, v10
	v_cvt_f16_f32_e32 v24, v11
	v_pack_b32_f16 v23, v22, v19
	v_pack_b32_f16 v22, v25, v24
	s_waitcnt vmcnt(0)
	v_div_scale_f32 v19, s[6:7], v18, v18, v10
	v_rcp_f32_e32 v24, v19
	global_store_dwordx2 v[20:21], v[22:23], off
	v_div_scale_f32 v20, vcc, v10, v18, v10
	v_fma_f32 v21, -v19, v24, 1.0
	v_fmac_f32_e32 v24, v21, v24
	v_mul_f32_e32 v21, v20, v24
	v_fma_f32 v22, -v19, v21, v20
	v_fmac_f32_e32 v21, v22, v24
	v_fma_f32 v19, -v19, v21, v20
	v_div_fmas_f32 v19, v19, v24, v21
	v_div_fixup_f32 v10, v19, v18, v10
	v_min_f32_e32 v10, 0x43600000, v10
	v_max_f32_e32 v19, 0xc3600000, v10
	v_and_b32_e32 v20, 0x7fffffff, v19
	v_cmp_gt_u32_e32 vcc, s23, v20
	v_mov_b32_e32 v10, 0x80
	s_and_saveexec_b64 s[6:7], vcc
	s_cbranch_execz .LBB55_121
; %bb.116:                              ;   in Loop: Header=BB55_65 Depth=1
	v_cmp_lt_u32_e32 vcc, s24, v20
	s_mov_b64 s[8:9], 0
                                        ; implicit-def: $vgpr20
	s_and_saveexec_b64 s[10:11], vcc
	s_xor_b64 s[10:11], exec, s[10:11]
	s_cbranch_execnz .LBB55_178
; %bb.117:                              ;   in Loop: Header=BB55_65 Depth=1
	s_or_saveexec_b64 s[10:11], s[10:11]
                                        ; implicit-def: $sgpr16
	s_xor_b64 exec, exec, s[10:11]
	s_cbranch_execnz .LBB55_179
.LBB55_118:                             ;   in Loop: Header=BB55_65 Depth=1
	s_or_b64 exec, exec, s[10:11]
	v_mov_b32_e32 v10, s16
	s_and_saveexec_b64 s[10:11], s[8:9]
.LBB55_119:                             ;   in Loop: Header=BB55_65 Depth=1
	v_lshrrev_b32_e32 v10, 24, v19
	v_and_or_b32 v10, v10, s27, v20
.LBB55_120:                             ;   in Loop: Header=BB55_65 Depth=1
	s_or_b64 exec, exec, s[10:11]
.LBB55_121:                             ;   in Loop: Header=BB55_65 Depth=1
	s_or_b64 exec, exec, s[6:7]
	v_fma_mixlo_f16 v11, v36, v11, 0
	v_mul_f16_sdwa v6, v6, v11 dst_sel:DWORD dst_unused:UNUSED_PAD src0_sel:WORD_1 src1_sel:DWORD
	v_cvt_f32_f16_e32 v6, v6
	v_div_scale_f32 v11, s[6:7], v18, v18, v6
	v_rcp_f32_e32 v19, v11
	v_div_scale_f32 v20, vcc, v6, v18, v6
	v_fma_f32 v21, -v11, v19, 1.0
	v_fmac_f32_e32 v19, v21, v19
	v_mul_f32_e32 v21, v20, v19
	v_fma_f32 v22, -v11, v21, v20
	v_fmac_f32_e32 v21, v22, v19
	v_fma_f32 v11, -v11, v21, v20
	v_div_fmas_f32 v11, v11, v19, v21
	v_div_fixup_f32 v6, v11, v18, v6
	v_min_f32_e32 v6, 0x43600000, v6
	v_max_f32_e32 v6, 0xc3600000, v6
	v_and_b32_e32 v11, 0x7fffffff, v6
	v_cmp_gt_u32_e32 vcc, s23, v11
	s_and_saveexec_b64 s[6:7], vcc
	s_cbranch_execz .LBB55_127
; %bb.122:                              ;   in Loop: Header=BB55_65 Depth=1
	v_cmp_lt_u32_e32 vcc, s24, v11
	s_mov_b64 s[8:9], 0
                                        ; implicit-def: $vgpr11
	s_and_saveexec_b64 s[10:11], vcc
	s_xor_b64 s[10:11], exec, s[10:11]
	s_cbranch_execnz .LBB55_180
; %bb.123:                              ;   in Loop: Header=BB55_65 Depth=1
	s_or_saveexec_b64 s[10:11], s[10:11]
                                        ; implicit-def: $sgpr16
	s_xor_b64 exec, exec, s[10:11]
	s_cbranch_execnz .LBB55_181
.LBB55_124:                             ;   in Loop: Header=BB55_65 Depth=1
	s_or_b64 exec, exec, s[10:11]
	v_mov_b32_e32 v3, s16
	s_and_saveexec_b64 s[10:11], s[8:9]
.LBB55_125:                             ;   in Loop: Header=BB55_65 Depth=1
	v_lshrrev_b32_e32 v3, 24, v6
	v_and_or_b32 v3, v3, s27, v11
.LBB55_126:                             ;   in Loop: Header=BB55_65 Depth=1
	s_or_b64 exec, exec, s[10:11]
.LBB55_127:                             ;   in Loop: Header=BB55_65 Depth=1
	s_or_b64 exec, exec, s[6:7]
	v_fma_mixlo_f16 v6, v36, v8, 0
	v_mul_f16_e32 v6, v7, v6
	v_cvt_f32_f16_e32 v8, v6
	v_mov_b32_e32 v6, 0x80
	v_div_scale_f32 v11, s[6:7], v18, v18, v8
	v_rcp_f32_e32 v19, v11
	v_div_scale_f32 v20, vcc, v8, v18, v8
	v_fma_f32 v21, -v11, v19, 1.0
	v_fmac_f32_e32 v19, v21, v19
	v_mul_f32_e32 v21, v20, v19
	v_fma_f32 v22, -v11, v21, v20
	v_fmac_f32_e32 v21, v22, v19
	v_fma_f32 v11, -v11, v21, v20
	v_div_fmas_f32 v11, v11, v19, v21
	v_div_fixup_f32 v8, v11, v18, v8
	v_min_f32_e32 v8, 0x43600000, v8
	v_max_f32_e32 v11, 0xc3600000, v8
	v_and_b32_e32 v19, 0x7fffffff, v11
	v_cmp_gt_u32_e32 vcc, s23, v19
	v_mov_b32_e32 v8, 0x80
	s_and_saveexec_b64 s[6:7], vcc
	s_cbranch_execz .LBB55_133
; %bb.128:                              ;   in Loop: Header=BB55_65 Depth=1
	v_cmp_lt_u32_e32 vcc, s24, v19
	s_mov_b64 s[8:9], 0
                                        ; implicit-def: $vgpr19
	s_and_saveexec_b64 s[10:11], vcc
	s_xor_b64 s[10:11], exec, s[10:11]
	s_cbranch_execnz .LBB55_182
; %bb.129:                              ;   in Loop: Header=BB55_65 Depth=1
	s_or_saveexec_b64 s[10:11], s[10:11]
                                        ; implicit-def: $sgpr16
	s_xor_b64 exec, exec, s[10:11]
	s_cbranch_execnz .LBB55_183
.LBB55_130:                             ;   in Loop: Header=BB55_65 Depth=1
	s_or_b64 exec, exec, s[10:11]
	v_mov_b32_e32 v8, s16
	s_and_saveexec_b64 s[10:11], s[8:9]
.LBB55_131:                             ;   in Loop: Header=BB55_65 Depth=1
	v_lshrrev_b32_e32 v8, 24, v11
	v_and_or_b32 v8, v8, s27, v19
.LBB55_132:                             ;   in Loop: Header=BB55_65 Depth=1
	s_or_b64 exec, exec, s[10:11]
.LBB55_133:                             ;   in Loop: Header=BB55_65 Depth=1
	s_or_b64 exec, exec, s[6:7]
	v_fma_mixlo_f16 v9, v36, v9, 0
	v_mul_f16_sdwa v7, v7, v9 dst_sel:DWORD dst_unused:UNUSED_PAD src0_sel:WORD_1 src1_sel:DWORD
	v_cvt_f32_f16_e32 v7, v7
	v_div_scale_f32 v9, s[6:7], v18, v18, v7
	v_rcp_f32_e32 v11, v9
	v_div_scale_f32 v19, vcc, v7, v18, v7
	v_fma_f32 v20, -v9, v11, 1.0
	v_fmac_f32_e32 v11, v20, v11
	v_mul_f32_e32 v20, v19, v11
	v_fma_f32 v21, -v9, v20, v19
	v_fmac_f32_e32 v20, v21, v11
	v_fma_f32 v9, -v9, v20, v19
	v_div_fmas_f32 v9, v9, v11, v20
	v_div_fixup_f32 v7, v9, v18, v7
	v_min_f32_e32 v7, 0x43600000, v7
	v_max_f32_e32 v7, 0xc3600000, v7
	v_and_b32_e32 v9, 0x7fffffff, v7
	v_cmp_gt_u32_e32 vcc, s23, v9
	s_and_saveexec_b64 s[6:7], vcc
	s_cbranch_execz .LBB55_139
; %bb.134:                              ;   in Loop: Header=BB55_65 Depth=1
	v_cmp_lt_u32_e32 vcc, s24, v9
	s_mov_b64 s[8:9], 0
                                        ; implicit-def: $vgpr9
	s_and_saveexec_b64 s[10:11], vcc
	s_xor_b64 s[10:11], exec, s[10:11]
	s_cbranch_execnz .LBB55_184
; %bb.135:                              ;   in Loop: Header=BB55_65 Depth=1
	s_or_saveexec_b64 s[10:11], s[10:11]
                                        ; implicit-def: $sgpr16
	s_xor_b64 exec, exec, s[10:11]
	s_cbranch_execnz .LBB55_185
.LBB55_136:                             ;   in Loop: Header=BB55_65 Depth=1
	s_or_b64 exec, exec, s[10:11]
	v_mov_b32_e32 v6, s16
	s_and_saveexec_b64 s[10:11], s[8:9]
.LBB55_137:                             ;   in Loop: Header=BB55_65 Depth=1
	v_lshrrev_b32_e32 v6, 24, v7
	v_and_or_b32 v6, v6, s27, v9
.LBB55_138:                             ;   in Loop: Header=BB55_65 Depth=1
	s_or_b64 exec, exec, s[10:11]
.LBB55_139:                             ;   in Loop: Header=BB55_65 Depth=1
	s_or_b64 exec, exec, s[6:7]
	v_lshlrev_b64 v[4:5], 2, v[4:5]
	v_mov_b32_e32 v7, s18
	v_add_co_u32_e32 v4, vcc, s13, v4
	v_addc_co_u32_e32 v5, vcc, v7, v5, vcc
	v_lshlrev_b32_e32 v7, 16, v8
	v_lshlrev_b32_e32 v3, 8, v3
	v_perm_b32 v6, v6, v7, s28
	v_and_b32_e32 v3, 0xff00, v3
	v_and_b32_e32 v7, 0xff, v10
	v_add_u32_e32 v0, s21, v0
	v_or3_b32 v3, v6, v3, v7
	v_cmp_gt_u32_e32 vcc, s12, v0
	s_mov_b64 s[8:9], -1
	global_store_dword v[4:5], v3, off
	s_and_saveexec_b64 s[6:7], vcc
	s_cbranch_execz .LBB55_62
; %bb.140:                              ;   in Loop: Header=BB55_65 Depth=1
	v_lshlrev_b64 v[4:5], 3, v[0:1]
	v_mov_b32_e32 v3, s44
	v_add_co_u32_e32 v6, vcc, s33, v4
	v_addc_co_u32_e32 v7, vcc, v3, v5, vcc
	v_mov_b32_e32 v8, s46
	v_add_co_u32_e32 v18, vcc, s45, v4
	v_addc_co_u32_e32 v19, vcc, v8, v5, vcc
	global_load_dwordx2 v[6:7], v[6:7], off
	v_mov_b32_e32 v3, s15
	global_load_dwordx2 v[8:9], v[18:19], off
	v_add_co_u32_e32 v4, vcc, s14, v4
	v_addc_co_u32_e32 v5, vcc, v3, v5, vcc
	v_bfe_u32 v3, v0, 4, 26
	v_mad_u64_u32 v[10:11], s[8:9], v12, v3, 0
	v_mov_b32_e32 v20, v11
	global_load_dwordx2 v[4:5], v[4:5], off
	v_mad_u64_u32 v[20:21], s[8:9], v13, v3, v[20:21]
	v_mov_b32_e32 v11, v20
	v_lshlrev_b64 v[10:11], 2, v[10:11]
	v_mov_b32_e32 v3, s20
	v_add_co_u32_e32 v10, vcc, s19, v10
	v_addc_co_u32_e32 v11, vcc, v3, v11, vcc
	global_load_dword v10, v[10:11], off
	v_mov_b32_e32 v3, 0x80
	s_waitcnt vmcnt(3)
	v_cvt_f32_f16_e32 v22, v6
	v_cvt_f32_f16_sdwa v23, v6 dst_sel:DWORD dst_unused:UNUSED_PAD src0_sel:WORD_1
	s_waitcnt vmcnt(2)
	v_cvt_f32_f16_e32 v24, v8
	v_cvt_f32_f16_sdwa v25, v8 dst_sel:DWORD dst_unused:UNUSED_PAD src0_sel:WORD_1
	v_cvt_f32_f16_e32 v20, v7
	v_cvt_f32_f16_sdwa v21, v7 dst_sel:DWORD dst_unused:UNUSED_PAD src0_sel:WORD_1
	;; [unrolled: 2-line block ×3, first 2 shown]
	v_pk_add_f32 v[8:9], v[22:23], v[24:25]
	v_cvt_f16_f32_e32 v23, v8
	v_fma_mixlo_f16 v8, v36, v8, 0
	v_pk_add_f32 v[6:7], v[20:21], v[6:7]
	s_waitcnt vmcnt(1)
	v_mul_f16_e32 v8, v4, v8
	v_cvt_f16_f32_e32 v11, v7
	v_cvt_f16_f32_e32 v20, v6
	v_cvt_f32_f16_e32 v8, v8
	v_cvt_f16_f32_e32 v22, v9
	v_pack_b32_f16 v21, v20, v11
	v_pack_b32_f16 v20, v23, v22
	s_waitcnt vmcnt(0)
	v_div_scale_f32 v11, s[8:9], v10, v10, v8
	v_rcp_f32_e32 v22, v11
	global_store_dwordx2 v[18:19], v[20:21], off
	v_div_scale_f32 v18, vcc, v8, v10, v8
	v_fma_f32 v19, -v11, v22, 1.0
	v_fmac_f32_e32 v22, v19, v22
	v_mul_f32_e32 v19, v18, v22
	v_fma_f32 v20, -v11, v19, v18
	v_fmac_f32_e32 v19, v20, v22
	v_fma_f32 v11, -v11, v19, v18
	v_div_fmas_f32 v11, v11, v22, v19
	v_div_fixup_f32 v8, v11, v10, v8
	v_min_f32_e32 v8, 0x43600000, v8
	v_max_f32_e32 v11, 0xc3600000, v8
	v_and_b32_e32 v18, 0x7fffffff, v11
	v_cmp_gt_u32_e32 vcc, s23, v18
	v_mov_b32_e32 v8, 0x80
	s_and_saveexec_b64 s[8:9], vcc
	s_cbranch_execz .LBB55_146
; %bb.141:                              ;   in Loop: Header=BB55_65 Depth=1
	v_cmp_lt_u32_e32 vcc, s24, v18
	s_mov_b64 s[10:11], 0
                                        ; implicit-def: $vgpr18
	s_and_saveexec_b64 s[16:17], vcc
	s_xor_b64 s[16:17], exec, s[16:17]
	s_cbranch_execnz .LBB55_186
; %bb.142:                              ;   in Loop: Header=BB55_65 Depth=1
	s_or_saveexec_b64 s[16:17], s[16:17]
                                        ; implicit-def: $sgpr29
	s_xor_b64 exec, exec, s[16:17]
	s_cbranch_execnz .LBB55_187
.LBB55_143:                             ;   in Loop: Header=BB55_65 Depth=1
	s_or_b64 exec, exec, s[16:17]
	v_mov_b32_e32 v8, s29
	s_and_saveexec_b64 s[16:17], s[10:11]
.LBB55_144:                             ;   in Loop: Header=BB55_65 Depth=1
	v_lshrrev_b32_e32 v8, 24, v11
	v_and_or_b32 v8, v8, s27, v18
.LBB55_145:                             ;   in Loop: Header=BB55_65 Depth=1
	s_or_b64 exec, exec, s[16:17]
.LBB55_146:                             ;   in Loop: Header=BB55_65 Depth=1
	s_or_b64 exec, exec, s[8:9]
	v_fma_mixlo_f16 v9, v36, v9, 0
	v_mul_f16_sdwa v4, v4, v9 dst_sel:DWORD dst_unused:UNUSED_PAD src0_sel:WORD_1 src1_sel:DWORD
	v_cvt_f32_f16_e32 v4, v4
	v_div_scale_f32 v9, s[8:9], v10, v10, v4
	v_rcp_f32_e32 v11, v9
	v_div_scale_f32 v18, vcc, v4, v10, v4
	v_fma_f32 v19, -v9, v11, 1.0
	v_fmac_f32_e32 v11, v19, v11
	v_mul_f32_e32 v19, v18, v11
	v_fma_f32 v20, -v9, v19, v18
	v_fmac_f32_e32 v19, v20, v11
	v_fma_f32 v9, -v9, v19, v18
	v_div_fmas_f32 v9, v9, v11, v19
	v_div_fixup_f32 v4, v9, v10, v4
	v_min_f32_e32 v4, 0x43600000, v4
	v_max_f32_e32 v4, 0xc3600000, v4
	v_and_b32_e32 v9, 0x7fffffff, v4
	v_cmp_gt_u32_e32 vcc, s23, v9
	s_and_saveexec_b64 s[8:9], vcc
	s_cbranch_execz .LBB55_152
; %bb.147:                              ;   in Loop: Header=BB55_65 Depth=1
	v_cmp_lt_u32_e32 vcc, s24, v9
	s_mov_b64 s[10:11], 0
                                        ; implicit-def: $vgpr9
	s_and_saveexec_b64 s[16:17], vcc
	s_xor_b64 s[16:17], exec, s[16:17]
	s_cbranch_execnz .LBB55_188
; %bb.148:                              ;   in Loop: Header=BB55_65 Depth=1
	s_or_saveexec_b64 s[16:17], s[16:17]
                                        ; implicit-def: $sgpr29
	s_xor_b64 exec, exec, s[16:17]
	s_cbranch_execnz .LBB55_189
.LBB55_149:                             ;   in Loop: Header=BB55_65 Depth=1
	s_or_b64 exec, exec, s[16:17]
	v_mov_b32_e32 v3, s29
	s_and_saveexec_b64 s[16:17], s[10:11]
.LBB55_150:                             ;   in Loop: Header=BB55_65 Depth=1
	v_lshrrev_b32_e32 v3, 24, v4
	v_and_or_b32 v3, v3, s27, v9
.LBB55_151:                             ;   in Loop: Header=BB55_65 Depth=1
	s_or_b64 exec, exec, s[16:17]
.LBB55_152:                             ;   in Loop: Header=BB55_65 Depth=1
	s_or_b64 exec, exec, s[8:9]
	v_fma_mixlo_f16 v4, v36, v6, 0
	v_mul_f16_e32 v4, v5, v4
	v_cvt_f32_f16_e32 v6, v4
	v_mov_b32_e32 v4, 0x80
	v_div_scale_f32 v9, s[8:9], v10, v10, v6
	v_rcp_f32_e32 v11, v9
	v_div_scale_f32 v18, vcc, v6, v10, v6
	v_fma_f32 v19, -v9, v11, 1.0
	v_fmac_f32_e32 v11, v19, v11
	v_mul_f32_e32 v19, v18, v11
	v_fma_f32 v20, -v9, v19, v18
	v_fmac_f32_e32 v19, v20, v11
	v_fma_f32 v9, -v9, v19, v18
	v_div_fmas_f32 v9, v9, v11, v19
	v_div_fixup_f32 v6, v9, v10, v6
	v_min_f32_e32 v6, 0x43600000, v6
	v_max_f32_e32 v9, 0xc3600000, v6
	v_and_b32_e32 v11, 0x7fffffff, v9
	v_cmp_gt_u32_e32 vcc, s23, v11
	v_mov_b32_e32 v6, 0x80
	s_and_saveexec_b64 s[8:9], vcc
	s_cbranch_execz .LBB55_158
; %bb.153:                              ;   in Loop: Header=BB55_65 Depth=1
	v_cmp_lt_u32_e32 vcc, s24, v11
	s_mov_b64 s[10:11], 0
                                        ; implicit-def: $vgpr11
	s_and_saveexec_b64 s[16:17], vcc
	s_xor_b64 s[16:17], exec, s[16:17]
	s_cbranch_execnz .LBB55_190
; %bb.154:                              ;   in Loop: Header=BB55_65 Depth=1
	s_or_saveexec_b64 s[16:17], s[16:17]
                                        ; implicit-def: $sgpr29
	s_xor_b64 exec, exec, s[16:17]
	s_cbranch_execnz .LBB55_191
.LBB55_155:                             ;   in Loop: Header=BB55_65 Depth=1
	s_or_b64 exec, exec, s[16:17]
	v_mov_b32_e32 v6, s29
	s_and_saveexec_b64 s[16:17], s[10:11]
.LBB55_156:                             ;   in Loop: Header=BB55_65 Depth=1
	v_lshrrev_b32_e32 v6, 24, v9
	v_and_or_b32 v6, v6, s27, v11
.LBB55_157:                             ;   in Loop: Header=BB55_65 Depth=1
	s_or_b64 exec, exec, s[16:17]
.LBB55_158:                             ;   in Loop: Header=BB55_65 Depth=1
	s_or_b64 exec, exec, s[8:9]
	v_fma_mixlo_f16 v7, v36, v7, 0
	v_mul_f16_sdwa v5, v5, v7 dst_sel:DWORD dst_unused:UNUSED_PAD src0_sel:WORD_1 src1_sel:DWORD
	v_cvt_f32_f16_e32 v5, v5
	v_div_scale_f32 v7, s[8:9], v10, v10, v5
	v_rcp_f32_e32 v9, v7
	v_div_scale_f32 v11, vcc, v5, v10, v5
	v_fma_f32 v18, -v7, v9, 1.0
	v_fmac_f32_e32 v9, v18, v9
	v_mul_f32_e32 v18, v11, v9
	v_fma_f32 v19, -v7, v18, v11
	v_fmac_f32_e32 v18, v19, v9
	v_fma_f32 v7, -v7, v18, v11
	v_div_fmas_f32 v7, v7, v9, v18
	v_div_fixup_f32 v5, v7, v10, v5
	v_min_f32_e32 v5, 0x43600000, v5
	v_max_f32_e32 v5, 0xc3600000, v5
	v_and_b32_e32 v7, 0x7fffffff, v5
	v_cmp_gt_u32_e32 vcc, s23, v7
	s_and_saveexec_b64 s[8:9], vcc
	s_cbranch_execz .LBB55_61
; %bb.159:                              ;   in Loop: Header=BB55_65 Depth=1
	v_cmp_lt_u32_e32 vcc, s24, v7
	s_mov_b64 s[10:11], 0
                                        ; implicit-def: $vgpr7
	s_and_saveexec_b64 s[16:17], vcc
	s_xor_b64 s[16:17], exec, s[16:17]
	s_cbranch_execnz .LBB55_192
; %bb.160:                              ;   in Loop: Header=BB55_65 Depth=1
	s_or_saveexec_b64 s[16:17], s[16:17]
                                        ; implicit-def: $sgpr29
	s_xor_b64 exec, exec, s[16:17]
	s_cbranch_execnz .LBB55_193
.LBB55_161:                             ;   in Loop: Header=BB55_65 Depth=1
	s_or_b64 exec, exec, s[16:17]
	v_mov_b32_e32 v4, s29
	s_and_saveexec_b64 s[16:17], s[10:11]
	s_cbranch_execz .LBB55_60
	s_branch .LBB55_194
.LBB55_162:                             ;   in Loop: Header=BB55_65 Depth=1
	v_bfe_u32 v6, v10, 20, 1
	v_add3_u32 v6, v10, v6, s25
	s_mov_b64 s[4:5], exec
	v_lshrrev_b32_e32 v11, 20, v6
	s_or_saveexec_b64 s[6:7], s[6:7]
                                        ; implicit-def: $sgpr8
	s_xor_b64 exec, exec, s[6:7]
	s_cbranch_execz .LBB55_68
.LBB55_163:                             ;   in Loop: Header=BB55_65 Depth=1
	v_add_f32_e64 v6, |v10|, s26
	v_and_b32_e32 v11, 0xff, v6
	v_cmp_ne_u32_e32 vcc, 0, v11
	s_andn2_b64 s[4:5], s[4:5], exec
	s_and_b64 s[10:11], vcc, exec
	s_mov_b32 s8, 0
	s_or_b64 s[4:5], s[4:5], s[10:11]
	s_or_b64 exec, exec, s[6:7]
	v_mov_b32_e32 v6, s8
	s_and_saveexec_b64 s[6:7], s[4:5]
	s_cbranch_execnz .LBB55_69
	s_branch .LBB55_70
.LBB55_164:                             ;   in Loop: Header=BB55_65 Depth=1
	v_bfe_u32 v7, v2, 20, 1
	v_add3_u32 v7, v2, v7, s25
	s_mov_b64 s[4:5], exec
	v_lshrrev_b32_e32 v7, 20, v7
	s_or_saveexec_b64 s[6:7], s[6:7]
                                        ; implicit-def: $sgpr8
	s_xor_b64 exec, exec, s[6:7]
	s_cbranch_execz .LBB55_74
.LBB55_165:                             ;   in Loop: Header=BB55_65 Depth=1
	v_add_f32_e64 v7, |v2|, s26
	v_and_b32_e32 v7, 0xff, v7
	v_cmp_ne_u32_e32 vcc, 0, v7
	s_andn2_b64 s[4:5], s[4:5], exec
	s_and_b64 s[10:11], vcc, exec
	s_mov_b32 s8, 0
	s_or_b64 s[4:5], s[4:5], s[10:11]
	s_or_b64 exec, exec, s[6:7]
	v_mov_b32_e32 v8, s8
	s_and_saveexec_b64 s[6:7], s[4:5]
	s_cbranch_execnz .LBB55_75
	s_branch .LBB55_76
.LBB55_166:                             ;   in Loop: Header=BB55_65 Depth=1
	v_bfe_u32 v4, v7, 20, 1
	v_add3_u32 v4, v7, v4, s25
	s_mov_b64 s[4:5], exec
	v_lshrrev_b32_e32 v10, 20, v4
	s_or_saveexec_b64 s[6:7], s[6:7]
                                        ; implicit-def: $sgpr8
	s_xor_b64 exec, exec, s[6:7]
	s_cbranch_execz .LBB55_80
.LBB55_167:                             ;   in Loop: Header=BB55_65 Depth=1
	v_add_f32_e64 v4, |v7|, s26
	v_and_b32_e32 v10, 0xff, v4
	v_cmp_ne_u32_e32 vcc, 0, v10
	s_andn2_b64 s[4:5], s[4:5], exec
	s_and_b64 s[10:11], vcc, exec
	s_mov_b32 s8, 0
	s_or_b64 s[4:5], s[4:5], s[10:11]
	s_or_b64 exec, exec, s[6:7]
	v_mov_b32_e32 v4, s8
	s_and_saveexec_b64 s[6:7], s[4:5]
	s_cbranch_execnz .LBB55_81
	s_branch .LBB55_82
.LBB55_168:                             ;   in Loop: Header=BB55_65 Depth=1
	v_bfe_u32 v2, v3, 20, 1
	v_add3_u32 v2, v3, v2, s25
	s_mov_b64 s[4:5], exec
	v_lshrrev_b32_e32 v5, 20, v2
	s_or_saveexec_b64 s[6:7], s[6:7]
                                        ; implicit-def: $sgpr8
	s_xor_b64 exec, exec, s[6:7]
	s_cbranch_execz .LBB55_86
.LBB55_169:                             ;   in Loop: Header=BB55_65 Depth=1
	v_add_f32_e64 v2, |v3|, s26
	v_and_b32_e32 v5, 0xff, v2
	v_cmp_ne_u32_e32 vcc, 0, v5
	s_andn2_b64 s[4:5], s[4:5], exec
	s_and_b64 s[10:11], vcc, exec
	s_mov_b32 s8, 0
	s_or_b64 s[4:5], s[4:5], s[10:11]
	s_or_b64 exec, exec, s[6:7]
	v_mov_b32_e32 v2, s8
	s_and_saveexec_b64 s[6:7], s[4:5]
	s_cbranch_execnz .LBB55_87
	s_branch .LBB55_88
.LBB55_170:                             ;   in Loop: Header=BB55_65 Depth=1
	v_bfe_u32 v8, v18, 20, 1
	v_add3_u32 v8, v18, v8, s25
	s_mov_b64 s[6:7], exec
	v_lshrrev_b32_e32 v19, 20, v8
	s_or_saveexec_b64 s[8:9], s[8:9]
                                        ; implicit-def: $sgpr10
	s_xor_b64 exec, exec, s[8:9]
	s_cbranch_execz .LBB55_93
.LBB55_171:                             ;   in Loop: Header=BB55_65 Depth=1
	v_add_f32_e64 v8, |v18|, s26
	v_and_b32_e32 v19, 0xff, v8
	v_cmp_ne_u32_e32 vcc, 0, v19
	s_andn2_b64 s[6:7], s[6:7], exec
	s_and_b64 s[16:17], vcc, exec
	s_mov_b32 s10, 0
	s_or_b64 s[6:7], s[6:7], s[16:17]
	s_or_b64 exec, exec, s[8:9]
	v_mov_b32_e32 v8, s10
	s_and_saveexec_b64 s[8:9], s[6:7]
	s_cbranch_execnz .LBB55_94
	s_branch .LBB55_95
.LBB55_172:                             ;   in Loop: Header=BB55_65 Depth=1
	v_bfe_u32 v9, v4, 20, 1
	v_add3_u32 v9, v4, v9, s25
	s_mov_b64 s[6:7], exec
	v_lshrrev_b32_e32 v9, 20, v9
	s_or_saveexec_b64 s[8:9], s[8:9]
                                        ; implicit-def: $sgpr10
	s_xor_b64 exec, exec, s[8:9]
	s_cbranch_execz .LBB55_99
.LBB55_173:                             ;   in Loop: Header=BB55_65 Depth=1
	v_add_f32_e64 v9, |v4|, s26
	v_and_b32_e32 v9, 0xff, v9
	v_cmp_ne_u32_e32 vcc, 0, v9
	s_andn2_b64 s[6:7], s[6:7], exec
	s_and_b64 s[16:17], vcc, exec
	s_mov_b32 s10, 0
	s_or_b64 s[6:7], s[6:7], s[16:17]
	s_or_b64 exec, exec, s[8:9]
	v_mov_b32_e32 v10, s10
	s_and_saveexec_b64 s[8:9], s[6:7]
	s_cbranch_execnz .LBB55_100
	s_branch .LBB55_101
.LBB55_174:                             ;   in Loop: Header=BB55_65 Depth=1
	v_bfe_u32 v6, v9, 20, 1
	v_add3_u32 v6, v9, v6, s25
	s_mov_b64 s[6:7], exec
	v_lshrrev_b32_e32 v18, 20, v6
	s_or_saveexec_b64 s[8:9], s[8:9]
                                        ; implicit-def: $sgpr10
	s_xor_b64 exec, exec, s[8:9]
	s_cbranch_execz .LBB55_105
.LBB55_175:                             ;   in Loop: Header=BB55_65 Depth=1
	v_add_f32_e64 v6, |v9|, s26
	v_and_b32_e32 v18, 0xff, v6
	v_cmp_ne_u32_e32 vcc, 0, v18
	s_andn2_b64 s[6:7], s[6:7], exec
	s_and_b64 s[16:17], vcc, exec
	s_mov_b32 s10, 0
	s_or_b64 s[6:7], s[6:7], s[16:17]
	s_or_b64 exec, exec, s[8:9]
	v_mov_b32_e32 v6, s10
	s_and_saveexec_b64 s[8:9], s[6:7]
	s_cbranch_execnz .LBB55_106
	s_branch .LBB55_107
.LBB55_176:                             ;   in Loop: Header=BB55_65 Depth=1
	v_bfe_u32 v4, v5, 20, 1
	v_add3_u32 v4, v5, v4, s25
	s_mov_b64 s[6:7], exec
	v_lshrrev_b32_e32 v7, 20, v4
	s_or_saveexec_b64 s[8:9], s[8:9]
                                        ; implicit-def: $sgpr10
	s_xor_b64 exec, exec, s[8:9]
	s_cbranch_execz .LBB55_111
.LBB55_177:                             ;   in Loop: Header=BB55_65 Depth=1
	v_add_f32_e64 v4, |v5|, s26
	v_and_b32_e32 v7, 0xff, v4
	v_cmp_ne_u32_e32 vcc, 0, v7
	s_andn2_b64 s[6:7], s[6:7], exec
	s_and_b64 s[16:17], vcc, exec
	s_mov_b32 s10, 0
	s_or_b64 s[6:7], s[6:7], s[16:17]
	s_or_b64 exec, exec, s[8:9]
	v_mov_b32_e32 v4, s10
	s_and_saveexec_b64 s[8:9], s[6:7]
	s_cbranch_execnz .LBB55_112
	s_branch .LBB55_113
.LBB55_178:                             ;   in Loop: Header=BB55_65 Depth=1
	v_bfe_u32 v10, v19, 20, 1
	v_add3_u32 v10, v19, v10, s25
	s_mov_b64 s[8:9], exec
	v_lshrrev_b32_e32 v20, 20, v10
	s_or_saveexec_b64 s[10:11], s[10:11]
                                        ; implicit-def: $sgpr16
	s_xor_b64 exec, exec, s[10:11]
	s_cbranch_execz .LBB55_118
.LBB55_179:                             ;   in Loop: Header=BB55_65 Depth=1
	v_add_f32_e64 v10, |v19|, s26
	v_and_b32_e32 v20, 0xff, v10
	v_cmp_ne_u32_e32 vcc, 0, v20
	s_andn2_b64 s[8:9], s[8:9], exec
	s_and_b64 s[30:31], vcc, exec
	s_mov_b32 s16, 0
	s_or_b64 s[8:9], s[8:9], s[30:31]
	s_or_b64 exec, exec, s[10:11]
	v_mov_b32_e32 v10, s16
	s_and_saveexec_b64 s[10:11], s[8:9]
	s_cbranch_execnz .LBB55_119
	s_branch .LBB55_120
.LBB55_180:                             ;   in Loop: Header=BB55_65 Depth=1
	v_bfe_u32 v3, v6, 20, 1
	v_add3_u32 v3, v6, v3, s25
	s_mov_b64 s[8:9], exec
	v_lshrrev_b32_e32 v11, 20, v3
	s_or_saveexec_b64 s[10:11], s[10:11]
                                        ; implicit-def: $sgpr16
	s_xor_b64 exec, exec, s[10:11]
	s_cbranch_execz .LBB55_124
.LBB55_181:                             ;   in Loop: Header=BB55_65 Depth=1
	v_add_f32_e64 v3, |v6|, s26
	v_and_b32_e32 v11, 0xff, v3
	v_cmp_ne_u32_e32 vcc, 0, v11
	s_andn2_b64 s[8:9], s[8:9], exec
	s_and_b64 s[30:31], vcc, exec
	s_mov_b32 s16, 0
	s_or_b64 s[8:9], s[8:9], s[30:31]
	s_or_b64 exec, exec, s[10:11]
	v_mov_b32_e32 v3, s16
	s_and_saveexec_b64 s[10:11], s[8:9]
	s_cbranch_execnz .LBB55_125
	s_branch .LBB55_126
.LBB55_182:                             ;   in Loop: Header=BB55_65 Depth=1
	v_bfe_u32 v8, v11, 20, 1
	v_add3_u32 v8, v11, v8, s25
	s_mov_b64 s[8:9], exec
	v_lshrrev_b32_e32 v19, 20, v8
	s_or_saveexec_b64 s[10:11], s[10:11]
                                        ; implicit-def: $sgpr16
	s_xor_b64 exec, exec, s[10:11]
	s_cbranch_execz .LBB55_130
.LBB55_183:                             ;   in Loop: Header=BB55_65 Depth=1
	v_add_f32_e64 v8, |v11|, s26
	v_and_b32_e32 v19, 0xff, v8
	v_cmp_ne_u32_e32 vcc, 0, v19
	s_andn2_b64 s[8:9], s[8:9], exec
	s_and_b64 s[30:31], vcc, exec
	s_mov_b32 s16, 0
	s_or_b64 s[8:9], s[8:9], s[30:31]
	s_or_b64 exec, exec, s[10:11]
	v_mov_b32_e32 v8, s16
	s_and_saveexec_b64 s[10:11], s[8:9]
	s_cbranch_execnz .LBB55_131
	s_branch .LBB55_132
.LBB55_184:                             ;   in Loop: Header=BB55_65 Depth=1
	v_bfe_u32 v6, v7, 20, 1
	v_add3_u32 v6, v7, v6, s25
	s_mov_b64 s[8:9], exec
	v_lshrrev_b32_e32 v9, 20, v6
	s_or_saveexec_b64 s[10:11], s[10:11]
                                        ; implicit-def: $sgpr16
	s_xor_b64 exec, exec, s[10:11]
	s_cbranch_execz .LBB55_136
.LBB55_185:                             ;   in Loop: Header=BB55_65 Depth=1
	v_add_f32_e64 v6, |v7|, s26
	v_and_b32_e32 v9, 0xff, v6
	v_cmp_ne_u32_e32 vcc, 0, v9
	s_andn2_b64 s[8:9], s[8:9], exec
	s_and_b64 s[30:31], vcc, exec
	s_mov_b32 s16, 0
	s_or_b64 s[8:9], s[8:9], s[30:31]
	s_or_b64 exec, exec, s[10:11]
	v_mov_b32_e32 v6, s16
	s_and_saveexec_b64 s[10:11], s[8:9]
	s_cbranch_execnz .LBB55_137
	s_branch .LBB55_138
.LBB55_186:                             ;   in Loop: Header=BB55_65 Depth=1
	v_bfe_u32 v8, v11, 20, 1
	v_add3_u32 v8, v11, v8, s25
	s_mov_b64 s[10:11], exec
	v_lshrrev_b32_e32 v18, 20, v8
	s_or_saveexec_b64 s[16:17], s[16:17]
                                        ; implicit-def: $sgpr29
	s_xor_b64 exec, exec, s[16:17]
	s_cbranch_execz .LBB55_143
.LBB55_187:                             ;   in Loop: Header=BB55_65 Depth=1
	v_add_f32_e64 v8, |v11|, s26
	v_and_b32_e32 v18, 0xff, v8
	v_cmp_ne_u32_e32 vcc, 0, v18
	s_andn2_b64 s[10:11], s[10:11], exec
	s_and_b64 s[30:31], vcc, exec
	s_mov_b32 s29, 0
	s_or_b64 s[10:11], s[10:11], s[30:31]
	s_or_b64 exec, exec, s[16:17]
	v_mov_b32_e32 v8, s29
	s_and_saveexec_b64 s[16:17], s[10:11]
	s_cbranch_execnz .LBB55_144
	s_branch .LBB55_145
.LBB55_188:                             ;   in Loop: Header=BB55_65 Depth=1
	v_bfe_u32 v3, v4, 20, 1
	v_add3_u32 v3, v4, v3, s25
	s_mov_b64 s[10:11], exec
	v_lshrrev_b32_e32 v9, 20, v3
	s_or_saveexec_b64 s[16:17], s[16:17]
                                        ; implicit-def: $sgpr29
	s_xor_b64 exec, exec, s[16:17]
	s_cbranch_execz .LBB55_149
.LBB55_189:                             ;   in Loop: Header=BB55_65 Depth=1
	v_add_f32_e64 v3, |v4|, s26
	v_and_b32_e32 v9, 0xff, v3
	v_cmp_ne_u32_e32 vcc, 0, v9
	s_andn2_b64 s[10:11], s[10:11], exec
	s_and_b64 s[30:31], vcc, exec
	s_mov_b32 s29, 0
	s_or_b64 s[10:11], s[10:11], s[30:31]
	s_or_b64 exec, exec, s[16:17]
	v_mov_b32_e32 v3, s29
	s_and_saveexec_b64 s[16:17], s[10:11]
	s_cbranch_execnz .LBB55_150
	s_branch .LBB55_151
.LBB55_190:                             ;   in Loop: Header=BB55_65 Depth=1
	v_bfe_u32 v6, v9, 20, 1
	v_add3_u32 v6, v9, v6, s25
	s_mov_b64 s[10:11], exec
	v_lshrrev_b32_e32 v11, 20, v6
	s_or_saveexec_b64 s[16:17], s[16:17]
                                        ; implicit-def: $sgpr29
	s_xor_b64 exec, exec, s[16:17]
	s_cbranch_execz .LBB55_155
.LBB55_191:                             ;   in Loop: Header=BB55_65 Depth=1
	v_add_f32_e64 v6, |v9|, s26
	v_and_b32_e32 v11, 0xff, v6
	v_cmp_ne_u32_e32 vcc, 0, v11
	s_andn2_b64 s[10:11], s[10:11], exec
	s_and_b64 s[30:31], vcc, exec
	s_mov_b32 s29, 0
	s_or_b64 s[10:11], s[10:11], s[30:31]
	s_or_b64 exec, exec, s[16:17]
	v_mov_b32_e32 v6, s29
	s_and_saveexec_b64 s[16:17], s[10:11]
	s_cbranch_execnz .LBB55_156
	s_branch .LBB55_157
.LBB55_192:                             ;   in Loop: Header=BB55_65 Depth=1
	v_bfe_u32 v4, v5, 20, 1
	v_add3_u32 v4, v5, v4, s25
	s_mov_b64 s[10:11], exec
	v_lshrrev_b32_e32 v7, 20, v4
	s_or_saveexec_b64 s[16:17], s[16:17]
                                        ; implicit-def: $sgpr29
	s_xor_b64 exec, exec, s[16:17]
	s_cbranch_execz .LBB55_161
.LBB55_193:                             ;   in Loop: Header=BB55_65 Depth=1
	v_add_f32_e64 v4, |v5|, s26
	v_and_b32_e32 v7, 0xff, v4
	v_cmp_ne_u32_e32 vcc, 0, v7
	s_andn2_b64 s[10:11], s[10:11], exec
	s_and_b64 s[30:31], vcc, exec
	s_mov_b32 s29, 0
	s_or_b64 s[10:11], s[10:11], s[30:31]
	s_or_b64 exec, exec, s[16:17]
	v_mov_b32_e32 v4, s29
	s_and_saveexec_b64 s[16:17], s[10:11]
	s_cbranch_execz .LBB55_60
.LBB55_194:                             ;   in Loop: Header=BB55_65 Depth=1
	v_lshrrev_b32_e32 v4, 24, v5
	v_and_or_b32 v4, v4, s27, v7
	s_branch .LBB55_60
.LBB55_195:
	s_endpgm
.LBB55_196:
                                        ; implicit-def: $vgpr4_vgpr5
	s_andn2_b64 vcc, exec, s[24:25]
	s_cbranch_vccz .LBB55_53
	s_branch .LBB55_54
.LBB55_197:
                                        ; implicit-def: $vgpr2_vgpr3
	s_andn2_b64 vcc, exec, s[20:21]
	s_cbranch_vccz .LBB55_58
	s_branch .LBB55_59
	.section	.rodata,"a",@progbits
	.p2align	6, 0x0
	.amdhsa_kernel _ZN4vllm31rms_norm_per_block_quant_kernelIN3c104HalfENS1_15Float8_e4m3fnuzELb1ELb1ELi64EEEvPT0_PfPKT_S9_PKffiiPS7_l
		.amdhsa_group_segment_fixed_size 4164
		.amdhsa_private_segment_fixed_size 0
		.amdhsa_kernarg_size 328
		.amdhsa_user_sgpr_count 6
		.amdhsa_user_sgpr_private_segment_buffer 1
		.amdhsa_user_sgpr_dispatch_ptr 0
		.amdhsa_user_sgpr_queue_ptr 0
		.amdhsa_user_sgpr_kernarg_segment_ptr 1
		.amdhsa_user_sgpr_dispatch_id 0
		.amdhsa_user_sgpr_flat_scratch_init 0
		.amdhsa_user_sgpr_kernarg_preload_length 0
		.amdhsa_user_sgpr_kernarg_preload_offset 0
		.amdhsa_user_sgpr_private_segment_size 0
		.amdhsa_uses_dynamic_stack 0
		.amdhsa_system_sgpr_private_segment_wavefront_offset 0
		.amdhsa_system_sgpr_workgroup_id_x 1
		.amdhsa_system_sgpr_workgroup_id_y 0
		.amdhsa_system_sgpr_workgroup_id_z 0
		.amdhsa_system_sgpr_workgroup_info 0
		.amdhsa_system_vgpr_workitem_id 0
		.amdhsa_next_free_vgpr 40
		.amdhsa_next_free_sgpr 49
		.amdhsa_accum_offset 40
		.amdhsa_reserve_vcc 1
		.amdhsa_reserve_flat_scratch 0
		.amdhsa_float_round_mode_32 0
		.amdhsa_float_round_mode_16_64 0
		.amdhsa_float_denorm_mode_32 3
		.amdhsa_float_denorm_mode_16_64 3
		.amdhsa_dx10_clamp 1
		.amdhsa_ieee_mode 1
		.amdhsa_fp16_overflow 0
		.amdhsa_tg_split 0
		.amdhsa_exception_fp_ieee_invalid_op 0
		.amdhsa_exception_fp_denorm_src 0
		.amdhsa_exception_fp_ieee_div_zero 0
		.amdhsa_exception_fp_ieee_overflow 0
		.amdhsa_exception_fp_ieee_underflow 0
		.amdhsa_exception_fp_ieee_inexact 0
		.amdhsa_exception_int_div_zero 0
	.end_amdhsa_kernel
	.section	.text._ZN4vllm31rms_norm_per_block_quant_kernelIN3c104HalfENS1_15Float8_e4m3fnuzELb1ELb1ELi64EEEvPT0_PfPKT_S9_PKffiiPS7_l,"axG",@progbits,_ZN4vllm31rms_norm_per_block_quant_kernelIN3c104HalfENS1_15Float8_e4m3fnuzELb1ELb1ELi64EEEvPT0_PfPKT_S9_PKffiiPS7_l,comdat
.Lfunc_end55:
	.size	_ZN4vllm31rms_norm_per_block_quant_kernelIN3c104HalfENS1_15Float8_e4m3fnuzELb1ELb1ELi64EEEvPT0_PfPKT_S9_PKffiiPS7_l, .Lfunc_end55-_ZN4vllm31rms_norm_per_block_quant_kernelIN3c104HalfENS1_15Float8_e4m3fnuzELb1ELb1ELi64EEEvPT0_PfPKT_S9_PKffiiPS7_l
                                        ; -- End function
	.section	.AMDGPU.csdata,"",@progbits
; Kernel info:
; codeLenInByte = 12368
; NumSgprs: 53
; NumVgprs: 40
; NumAgprs: 0
; TotalNumVgprs: 40
; ScratchSize: 0
; MemoryBound: 0
; FloatMode: 240
; IeeeMode: 1
; LDSByteSize: 4164 bytes/workgroup (compile time only)
; SGPRBlocks: 6
; VGPRBlocks: 4
; NumSGPRsForWavesPerEU: 53
; NumVGPRsForWavesPerEU: 40
; AccumOffset: 40
; Occupancy: 8
; WaveLimiterHint : 0
; COMPUTE_PGM_RSRC2:SCRATCH_EN: 0
; COMPUTE_PGM_RSRC2:USER_SGPR: 6
; COMPUTE_PGM_RSRC2:TRAP_HANDLER: 0
; COMPUTE_PGM_RSRC2:TGID_X_EN: 1
; COMPUTE_PGM_RSRC2:TGID_Y_EN: 0
; COMPUTE_PGM_RSRC2:TGID_Z_EN: 0
; COMPUTE_PGM_RSRC2:TIDIG_COMP_CNT: 0
; COMPUTE_PGM_RSRC3_GFX90A:ACCUM_OFFSET: 9
; COMPUTE_PGM_RSRC3_GFX90A:TG_SPLIT: 0
	.section	.text._ZN4vllm31rms_norm_per_block_quant_kernelIN3c104HalfEaLb1ELb1ELi64EEEvPT0_PfPKT_S8_PKffiiPS6_l,"axG",@progbits,_ZN4vllm31rms_norm_per_block_quant_kernelIN3c104HalfEaLb1ELb1ELi64EEEvPT0_PfPKT_S8_PKffiiPS6_l,comdat
	.protected	_ZN4vllm31rms_norm_per_block_quant_kernelIN3c104HalfEaLb1ELb1ELi64EEEvPT0_PfPKT_S8_PKffiiPS6_l ; -- Begin function _ZN4vllm31rms_norm_per_block_quant_kernelIN3c104HalfEaLb1ELb1ELi64EEEvPT0_PfPKT_S8_PKffiiPS6_l
	.globl	_ZN4vllm31rms_norm_per_block_quant_kernelIN3c104HalfEaLb1ELb1ELi64EEEvPT0_PfPKT_S8_PKffiiPS6_l
	.p2align	8
	.type	_ZN4vllm31rms_norm_per_block_quant_kernelIN3c104HalfEaLb1ELb1ELi64EEEvPT0_PfPKT_S8_PKffiiPS6_l,@function
_ZN4vllm31rms_norm_per_block_quant_kernelIN3c104HalfEaLb1ELb1ELi64EEEvPT0_PfPKT_S8_PKffiiPS6_l: ; @_ZN4vllm31rms_norm_per_block_quant_kernelIN3c104HalfEaLb1ELb1ELi64EEEvPT0_PfPKT_S8_PKffiiPS6_l
; %bb.0:
	s_load_dwordx4 s[16:19], s[4:5], 0x28
	s_load_dwordx8 s[8:15], s[4:5], 0x0
	s_load_dwordx2 s[0:1], s[4:5], 0x38
	s_load_dword s48, s[4:5], 0x48
	s_mov_b32 s7, 0
	s_waitcnt lgkmcnt(0)
	s_ashr_i32 s2, s18, 31
	s_mul_hi_u32 s3, s18, s6
	s_mul_i32 s2, s2, s6
	s_ashr_i32 s21, s17, 31
	s_add_i32 s3, s3, s2
	s_mul_i32 s2, s18, s6
	s_mul_hi_u32 s18, s17, s6
	s_mul_i32 s19, s21, s6
	s_add_i32 s19, s18, s19
	s_lshl_b64 s[2:3], s[2:3], 1
	s_mul_i32 s18, s17, s6
	s_add_u32 s33, s12, s2
	s_addc_u32 s44, s13, s3
	s_lshl_b64 s[2:3], s[18:19], 1
	s_add_u32 s45, s0, s2
	s_addc_u32 s46, s1, s3
	s_ashr_i32 s12, s17, 2
	s_add_u32 s22, s4, 0x48
	s_mov_b32 s20, s17
	v_cmp_gt_u32_e64 s[0:1], s12, v0
	s_addc_u32 s23, s5, 0
	v_mov_b32_e32 v1, 0
	s_and_saveexec_b64 s[2:3], s[0:1]
	s_cbranch_execz .LBB56_10
; %bb.1:
	s_cmp_lt_u32 s6, s48
	s_cselect_b32 s13, 12, 18
	s_add_u32 s24, s22, s13
	s_addc_u32 s25, s23, 0
	v_mov_b32_e32 v3, 0
	global_load_ushort v8, v3, s[24:25]
	s_mov_b64 s[24:25], 0
	v_mov_b32_e32 v9, s44
	v_mov_b32_e32 v10, s46
	;; [unrolled: 1-line block ×4, first 2 shown]
                                        ; implicit-def: $sgpr26_sgpr27
	s_waitcnt vmcnt(0)
	v_mul_lo_u32 v11, v8, 3
	v_lshlrev_b32_e32 v12, 1, v8
	s_branch .LBB56_5
.LBB56_2:                               ;   in Loop: Header=BB56_5 Depth=1
	s_or_b64 exec, exec, s[34:35]
	s_orn2_b64 s[34:35], s[36:37], exec
.LBB56_3:                               ;   in Loop: Header=BB56_5 Depth=1
	s_or_b64 exec, exec, s[30:31]
	s_andn2_b64 s[26:27], s[26:27], exec
	s_and_b64 s[30:31], s[34:35], exec
	s_or_b64 s[26:27], s[26:27], s[30:31]
.LBB56_4:                               ;   in Loop: Header=BB56_5 Depth=1
	s_or_b64 exec, exec, s[28:29]
	s_and_b64 s[28:29], exec, s[26:27]
	s_or_b64 s[24:25], s[28:29], s[24:25]
	s_andn2_b64 exec, exec, s[24:25]
	s_cbranch_execz .LBB56_9
.LBB56_5:                               ; =>This Inner Loop Header: Depth=1
	v_lshlrev_b64 v[4:5], 3, v[2:3]
	v_add_co_u32_e32 v6, vcc, s33, v4
	v_addc_co_u32_e32 v7, vcc, v9, v5, vcc
	v_add_co_u32_e32 v4, vcc, s45, v4
	v_addc_co_u32_e32 v5, vcc, v10, v5, vcc
	global_load_dwordx2 v[6:7], v[6:7], off
	s_or_b64 s[26:27], s[26:27], exec
	global_load_dwordx2 v[4:5], v[4:5], off
	s_waitcnt vmcnt(1)
	v_cvt_f32_f16_e32 v14, v6
	v_cvt_f32_f16_sdwa v15, v6 dst_sel:DWORD dst_unused:UNUSED_PAD src0_sel:WORD_1
	s_waitcnt vmcnt(0)
	v_cvt_f32_f16_e32 v16, v4
	v_cvt_f32_f16_sdwa v17, v4 dst_sel:DWORD dst_unused:UNUSED_PAD src0_sel:WORD_1
	v_cvt_f32_f16_e32 v6, v7
	v_cvt_f32_f16_sdwa v7, v7 dst_sel:DWORD dst_unused:UNUSED_PAD src0_sel:WORD_1
	;; [unrolled: 2-line block ×3, first 2 shown]
	v_pk_add_f32 v[14:15], v[14:15], v[16:17]
	v_pk_mul_f32 v[14:15], v[14:15], v[14:15]
	v_add_f32_e32 v1, v1, v14
	v_pk_add_f32 v[6:7], v[6:7], v[18:19]
	v_pk_mul_f32 v[6:7], v[6:7], v[6:7]
	v_add_f32_e32 v1, v1, v15
	v_add_u32_e32 v4, v2, v8
	v_add_f32_e32 v1, v1, v6
	v_cmp_gt_u32_e32 vcc, s12, v4
	v_add_f32_e32 v1, v1, v7
	s_and_saveexec_b64 s[28:29], vcc
	s_cbranch_execz .LBB56_4
; %bb.6:                                ;   in Loop: Header=BB56_5 Depth=1
	v_mov_b32_e32 v5, v3
	v_lshlrev_b64 v[6:7], 3, v[4:5]
	v_add_co_u32_e32 v14, vcc, s33, v6
	v_addc_co_u32_e32 v15, vcc, v9, v7, vcc
	v_add_co_u32_e32 v6, vcc, s45, v6
	v_addc_co_u32_e32 v7, vcc, v10, v7, vcc
	global_load_dwordx2 v[14:15], v[14:15], off
	s_mov_b64 s[34:35], -1
	global_load_dwordx2 v[6:7], v[6:7], off
	s_waitcnt vmcnt(1)
	v_cvt_f32_f16_e32 v16, v14
	v_cvt_f32_f16_sdwa v17, v14 dst_sel:DWORD dst_unused:UNUSED_PAD src0_sel:WORD_1
	s_waitcnt vmcnt(0)
	v_cvt_f32_f16_e32 v18, v6
	v_cvt_f32_f16_sdwa v19, v6 dst_sel:DWORD dst_unused:UNUSED_PAD src0_sel:WORD_1
	v_cvt_f32_f16_e32 v14, v15
	v_cvt_f32_f16_sdwa v15, v15 dst_sel:DWORD dst_unused:UNUSED_PAD src0_sel:WORD_1
	;; [unrolled: 2-line block ×3, first 2 shown]
	v_pk_add_f32 v[16:17], v[16:17], v[18:19]
	v_pk_mul_f32 v[16:17], v[16:17], v[16:17]
	v_add_f32_e32 v1, v1, v16
	v_pk_add_f32 v[14:15], v[14:15], v[20:21]
	v_pk_mul_f32 v[14:15], v[14:15], v[14:15]
	v_add_f32_e32 v1, v1, v17
	v_add_u32_e32 v6, v12, v2
	v_add_f32_e32 v1, v1, v14
	v_cmp_gt_u32_e32 vcc, s12, v6
	v_add_f32_e32 v1, v1, v15
	s_and_saveexec_b64 s[30:31], vcc
	s_cbranch_execz .LBB56_3
; %bb.7:                                ;   in Loop: Header=BB56_5 Depth=1
	v_mov_b32_e32 v7, v3
	v_lshlrev_b64 v[6:7], 3, v[6:7]
	v_mov_b32_e32 v5, s44
	v_add_co_u32_e32 v14, vcc, s33, v6
	v_addc_co_u32_e32 v15, vcc, v5, v7, vcc
	v_mov_b32_e32 v5, s46
	v_add_co_u32_e32 v6, vcc, s45, v6
	v_addc_co_u32_e32 v7, vcc, v5, v7, vcc
	global_load_dwordx2 v[14:15], v[14:15], off
	v_add_u32_e32 v2, v11, v2
	global_load_dwordx2 v[6:7], v[6:7], off
	v_cmp_gt_u32_e32 vcc, s12, v2
	s_mov_b64 s[36:37], -1
	s_waitcnt vmcnt(1)
	v_cvt_f32_f16_e32 v16, v14
	v_cvt_f32_f16_sdwa v17, v14 dst_sel:DWORD dst_unused:UNUSED_PAD src0_sel:WORD_1
	s_waitcnt vmcnt(0)
	v_cvt_f32_f16_e32 v18, v6
	v_cvt_f32_f16_sdwa v19, v6 dst_sel:DWORD dst_unused:UNUSED_PAD src0_sel:WORD_1
	v_cvt_f32_f16_e32 v14, v15
	v_cvt_f32_f16_sdwa v15, v15 dst_sel:DWORD dst_unused:UNUSED_PAD src0_sel:WORD_1
	;; [unrolled: 2-line block ×3, first 2 shown]
	v_pk_add_f32 v[16:17], v[16:17], v[18:19]
	v_pk_add_f32 v[6:7], v[14:15], v[6:7]
	v_pk_mul_f32 v[14:15], v[16:17], v[16:17]
	v_add_f32_e32 v1, v1, v14
	v_pk_mul_f32 v[6:7], v[6:7], v[6:7]
	v_add_f32_e32 v1, v1, v15
	v_add_f32_e32 v1, v1, v6
	;; [unrolled: 1-line block ×3, first 2 shown]
	s_and_saveexec_b64 s[34:35], vcc
	s_xor_b64 s[34:35], exec, s[34:35]
	s_cbranch_execz .LBB56_2
; %bb.8:                                ;   in Loop: Header=BB56_5 Depth=1
	v_lshlrev_b64 v[6:7], 3, v[2:3]
	v_mov_b32_e32 v2, s44
	v_add_co_u32_e32 v14, vcc, s33, v6
	v_addc_co_u32_e32 v15, vcc, v2, v7, vcc
	v_mov_b32_e32 v2, s46
	v_add_co_u32_e32 v6, vcc, s45, v6
	v_addc_co_u32_e32 v7, vcc, v2, v7, vcc
	global_load_dwordx2 v[14:15], v[14:15], off
	v_add_u32_e32 v2, v8, v8
	global_load_dwordx2 v[6:7], v[6:7], off
	v_add_u32_e32 v2, v2, v8
	v_add_u32_e32 v2, v2, v4
	v_cmp_le_u32_e32 vcc, s12, v2
	s_orn2_b64 s[36:37], vcc, exec
	s_waitcnt vmcnt(1)
	v_cvt_f32_f16_e32 v16, v14
	v_cvt_f32_f16_sdwa v17, v14 dst_sel:DWORD dst_unused:UNUSED_PAD src0_sel:WORD_1
	s_waitcnt vmcnt(0)
	v_cvt_f32_f16_e32 v18, v6
	v_cvt_f32_f16_sdwa v19, v6 dst_sel:DWORD dst_unused:UNUSED_PAD src0_sel:WORD_1
	v_cvt_f32_f16_e32 v14, v15
	v_cvt_f32_f16_sdwa v15, v15 dst_sel:DWORD dst_unused:UNUSED_PAD src0_sel:WORD_1
	;; [unrolled: 2-line block ×3, first 2 shown]
	v_pk_add_f32 v[4:5], v[16:17], v[18:19]
	v_pk_mul_f32 v[4:5], v[4:5], v[4:5]
	v_add_f32_e32 v1, v1, v4
	v_pk_add_f32 v[6:7], v[14:15], v[6:7]
	v_pk_mul_f32 v[6:7], v[6:7], v[6:7]
	v_add_f32_e32 v1, v1, v5
	v_add_f32_e32 v1, v1, v6
	;; [unrolled: 1-line block ×3, first 2 shown]
	s_branch .LBB56_2
.LBB56_9:
	s_or_b64 exec, exec, s[24:25]
.LBB56_10:
	s_or_b64 exec, exec, s[2:3]
	v_mbcnt_lo_u32_b32 v2, -1, 0
	v_mbcnt_hi_u32_b32 v2, -1, v2
	v_and_b32_e32 v3, 63, v2
	v_cmp_ne_u32_e32 vcc, 63, v3
	s_load_dword s2, s[22:23], 0xc
	v_addc_co_u32_e32 v4, vcc, 0, v2, vcc
	v_lshlrev_b32_e32 v4, 2, v4
	ds_bpermute_b32 v4, v4, v1
	s_waitcnt lgkmcnt(0)
	s_and_b32 s13, s2, 0xffff
	v_and_b32_e32 v5, 0x3c0, v0
	v_sub_u32_e64 v5, s13, v5 clamp
	v_add_u32_e32 v6, 1, v2
	v_add_f32_e32 v4, v1, v4
	v_cmp_lt_u32_e32 vcc, v6, v5
	v_cndmask_b32_e32 v1, v1, v4, vcc
	v_cmp_gt_u32_e32 vcc, 62, v3
	v_cndmask_b32_e64 v4, 0, 1, vcc
	v_lshlrev_b32_e32 v4, 1, v4
	v_add_lshl_u32 v4, v4, v2, 2
	ds_bpermute_b32 v4, v4, v1
	v_add_u32_e32 v6, 2, v2
	v_cmp_lt_u32_e32 vcc, v6, v5
	v_add_u32_e32 v6, 4, v2
	s_waitcnt lgkmcnt(0)
	v_add_f32_e32 v4, v1, v4
	v_cndmask_b32_e32 v1, v1, v4, vcc
	v_cmp_gt_u32_e32 vcc, 60, v3
	v_cndmask_b32_e64 v4, 0, 1, vcc
	v_lshlrev_b32_e32 v4, 2, v4
	v_add_lshl_u32 v4, v4, v2, 2
	ds_bpermute_b32 v4, v4, v1
	v_cmp_lt_u32_e32 vcc, v6, v5
	v_add_u32_e32 v6, 8, v2
	s_waitcnt lgkmcnt(0)
	v_add_f32_e32 v4, v1, v4
	v_cndmask_b32_e32 v1, v1, v4, vcc
	v_cmp_gt_u32_e32 vcc, 56, v3
	v_cndmask_b32_e64 v4, 0, 1, vcc
	v_lshlrev_b32_e32 v4, 3, v4
	v_add_lshl_u32 v4, v4, v2, 2
	ds_bpermute_b32 v4, v4, v1
	;; [unrolled: 10-line block ×3, first 2 shown]
	v_cmp_lt_u32_e32 vcc, v6, v5
	s_waitcnt lgkmcnt(0)
	v_add_f32_e32 v4, v1, v4
	v_cndmask_b32_e32 v1, v1, v4, vcc
	v_cmp_gt_u32_e32 vcc, 32, v3
	v_cndmask_b32_e64 v3, 0, 1, vcc
	v_lshlrev_b32_e32 v3, 5, v3
	v_add_lshl_u32 v3, v3, v2, 2
	ds_bpermute_b32 v3, v3, v1
	v_add_u32_e32 v4, 32, v2
	v_cmp_lt_u32_e32 vcc, v4, v5
	s_waitcnt lgkmcnt(0)
	v_add_f32_e32 v3, v1, v3
	v_cndmask_b32_e32 v1, v1, v3, vcc
	v_cmp_eq_u32_e32 vcc, 0, v2
	s_and_saveexec_b64 s[2:3], vcc
	s_cbranch_execz .LBB56_12
; %bb.11:
	v_lshrrev_b32_e32 v3, 4, v0
	v_and_b32_e32 v3, 60, v3
	ds_write_b32 v3, v1 offset:4096
.LBB56_12:
	s_or_b64 exec, exec, s[2:3]
	v_cmp_gt_u32_e32 vcc, 16, v0
	s_waitcnt lgkmcnt(0)
	s_barrier
	s_and_saveexec_b64 s[24:25], vcc
	s_cbranch_execz .LBB56_14
; %bb.13:
	v_lshlrev_b32_e32 v1, 2, v2
	ds_read_b32 v1, v1 offset:4096
	v_and_b32_e32 v3, 15, v2
	v_cmp_ne_u32_e32 vcc, 15, v3
	v_addc_co_u32_e32 v4, vcc, 0, v2, vcc
	v_lshlrev_b32_e32 v4, 2, v4
	s_waitcnt lgkmcnt(0)
	ds_bpermute_b32 v4, v4, v1
	s_add_i32 s13, s13, 63
	s_lshr_b32 s13, s13, 6
	v_add_u32_e32 v5, 1, v3
	v_cmp_gt_u32_e64 s[2:3], 14, v3
	v_cmp_gt_u32_e32 vcc, s13, v5
	v_cndmask_b32_e64 v5, 0, 1, s[2:3]
	s_waitcnt lgkmcnt(0)
	v_add_f32_e32 v4, v1, v4
	v_lshlrev_b32_e32 v5, 1, v5
	v_cndmask_b32_e32 v4, v1, v4, vcc
	v_add_lshl_u32 v5, v5, v2, 2
	ds_bpermute_b32 v5, v5, v4
	v_add_u32_e32 v6, 2, v3
	v_cmp_gt_u32_e64 s[2:3], s13, v6
	v_add_u32_e32 v6, 4, v3
	s_waitcnt lgkmcnt(0)
	v_add_f32_e32 v5, v4, v5
	v_cndmask_b32_e64 v4, v4, v5, s[2:3]
	v_cmp_gt_u32_e64 s[2:3], 12, v3
	v_cndmask_b32_e64 v5, 0, 1, s[2:3]
	v_lshlrev_b32_e32 v5, 2, v5
	v_add_lshl_u32 v5, v5, v2, 2
	ds_bpermute_b32 v5, v5, v4
	v_cmp_gt_u32_e64 s[2:3], s13, v6
	s_waitcnt lgkmcnt(0)
	v_add_f32_e32 v5, v4, v5
	v_cndmask_b32_e64 v4, v4, v5, s[2:3]
	v_cmp_gt_u32_e64 s[2:3], 8, v3
	v_cndmask_b32_e64 v5, 0, 1, s[2:3]
	v_lshlrev_b32_e32 v5, 3, v5
	v_add_lshl_u32 v2, v5, v2, 2
	ds_bpermute_b32 v2, v2, v4
	v_add_u32_e32 v3, 8, v3
	v_cmp_gt_u32_e64 s[2:3], s13, v3
	s_waitcnt lgkmcnt(0)
	v_add_f32_e32 v2, v4, v2
	v_cndmask_b32_e64 v2, v4, v2, s[2:3]
	v_cndmask_b32_e32 v1, v1, v2, vcc
.LBB56_14:
	s_or_b64 exec, exec, s[24:25]
	v_cmp_eq_u32_e32 vcc, 0, v0
	s_and_saveexec_b64 s[2:3], vcc
	s_cbranch_execz .LBB56_16
; %bb.15:
	v_cvt_f32_i32_e32 v2, s20
	s_mov_b32 s13, 0x800000
	v_div_scale_f32 v3, s[24:25], v2, v2, v1
	v_rcp_f32_e32 v4, v3
	v_div_scale_f32 v5, vcc, v1, v2, v1
	v_fma_f32 v6, -v3, v4, 1.0
	v_fmac_f32_e32 v4, v6, v4
	v_mul_f32_e32 v6, v5, v4
	v_fma_f32 v7, -v3, v6, v5
	v_fmac_f32_e32 v6, v7, v4
	v_fma_f32 v3, -v3, v6, v5
	v_div_fmas_f32 v3, v3, v4, v6
	v_div_fixup_f32 v1, v3, v2, v1
	v_add_f32_e32 v1, s16, v1
	v_mul_f32_e32 v2, 0x4b800000, v1
	v_cmp_gt_f32_e32 vcc, s13, v1
	v_cndmask_b32_e32 v1, v1, v2, vcc
	v_rsq_f32_e32 v1, v1
	v_mul_f32_e32 v2, 0x45800000, v1
	v_cndmask_b32_e32 v1, v1, v2, vcc
	v_mov_b32_e32 v2, 0
	ds_write_b32 v2, v1 offset:4160
.LBB56_16:
	s_or_b64 exec, exec, s[2:3]
	s_ashr_i32 s2, s20, 31
	s_lshr_b32 s2, s2, 26
	s_add_i32 s3, s20, s2
	s_ashr_i32 s2, s3, 6
	s_cmp_lt_u32 s6, s48
	s_cselect_b32 s13, 12, 18
	s_add_u32 s16, s22, s13
	v_mov_b32_e32 v5, 0
	s_addc_u32 s17, s23, 0
	s_waitcnt lgkmcnt(0)
	s_barrier
	global_load_ushort v1, v5, s[16:17]
	ds_read_b32 v36, v5 offset:4160
	s_abs_i32 s13, s2
	v_cvt_f32_u32_e32 v2, s13
	s_sub_i32 s16, 0, s13
	s_ashr_i32 s3, s3, 31
	v_mov_b32_e32 v10, s12
	v_rcp_iflag_f32_e32 v2, v2
	v_mul_f32_e32 v2, 0x4f7ffffe, v2
	v_cvt_u32_f32_e32 v2, v2
	v_readfirstlane_b32 s17, v2
	s_mul_i32 s16, s16, s17
	s_mul_hi_u32 s16, s17, s16
	s_add_i32 s17, s17, s16
	s_waitcnt vmcnt(0)
	v_readfirstlane_b32 s47, v1
	s_mul_hi_u32 s16, s47, s17
	s_mul_i32 s17, s16, s13
	s_sub_i32 s17, s47, s17
	s_add_i32 s22, s16, 1
	s_sub_i32 s23, s17, s13
	s_cmp_ge_u32 s17, s13
	s_cselect_b32 s16, s22, s16
	s_cselect_b32 s17, s23, s17
	s_add_i32 s22, s16, 1
	s_cmp_ge_u32 s17, s13
	s_cselect_b32 s13, s22, s16
	s_xor_b32 s13, s13, s3
	s_sub_i32 s16, s13, s3
	s_abs_i32 s3, s16
	v_cvt_f32_u32_e32 v1, s3
	s_sub_i32 s22, 0, s3
	s_ashr_i32 s17, s16, 31
	s_ashr_i32 s13, s12, 31
	v_rcp_iflag_f32_e32 v1, v1
	v_mov_b32_e32 v11, s13
	v_mul_f32_e32 v1, 0x4f7ffffe, v1
	v_cvt_u32_f32_e32 v1, v1
	v_mul_lo_u32 v2, s22, v1
	v_mul_hi_u32 v2, v1, v2
	v_add_u32_e32 v1, v1, v2
	v_mul_hi_u32 v1, v0, v1
	v_mul_lo_u32 v2, v1, s3
	v_sub_u32_e32 v2, v0, v2
	v_add_u32_e32 v3, 1, v1
	v_cmp_le_u32_e32 vcc, s3, v2
	v_cndmask_b32_e32 v1, v1, v3, vcc
	v_subrev_u32_e32 v3, s3, v2
	v_cndmask_b32_e32 v2, v2, v3, vcc
	v_add_u32_e32 v3, 1, v1
	v_cmp_le_u32_e32 vcc, s3, v2
	v_cndmask_b32_e32 v1, v1, v3, vcc
	v_xor_b32_e32 v1, s17, v1
	v_subrev_u32_e32 v2, s17, v1
	v_mul_lo_u32 v1, v2, s16
	v_ashrrev_i32_e32 v3, 31, v2
	v_sub_u32_e32 v4, v0, v1
	v_lshlrev_b64 v[8:9], 4, v[2:3]
	v_add_co_u32_e32 v6, vcc, v8, v4
	v_addc_co_u32_e32 v7, vcc, 0, v9, vcc
	v_add_co_u32_e32 v8, vcc, 16, v8
	v_addc_co_u32_e32 v9, vcc, 0, v9, vcc
	v_cmp_gt_i64_e32 vcc, s[12:13], v[8:9]
	v_cndmask_b32_e32 v8, v10, v8, vcc
	v_cndmask_b32_e32 v9, v11, v9, vcc
	v_ashrrev_i32_e32 v11, 31, v8
	v_mov_b32_e32 v10, v8
	v_cmp_lt_i64_e32 vcc, v[6:7], v[10:11]
	s_and_saveexec_b64 s[22:23], vcc
	s_cbranch_execz .LBB56_26
; %bb.17:
	v_lshlrev_b64 v[12:13], 7, v[2:3]
	v_lshlrev_b64 v[14:15], 3, v[4:5]
	v_add_co_u32_e32 v12, vcc, v12, v14
	v_addc_co_u32_e32 v1, vcc, v13, v15, vcc
	s_lshl_b64 s[24:25], s[16:17], 5
	s_mul_hi_i32 s3, s16, 3
	s_mul_i32 s13, s16, 3
	s_lshl_b64 s[26:27], s[16:17], 1
	s_lshl_b64 s[30:31], s[16:17], 3
	s_mov_b64 s[28:29], 0
	v_mov_b32_e32 v5, 0
	v_mov_b32_e32 v13, s44
	;; [unrolled: 1-line block ×5, first 2 shown]
	v_pk_mov_b32 v[14:15], v[6:7], v[6:7] op_sel:[0,1]
                                        ; implicit-def: $sgpr34_sgpr35
	s_branch .LBB56_21
.LBB56_18:                              ;   in Loop: Header=BB56_21 Depth=1
	s_or_b64 exec, exec, s[40:41]
	s_orn2_b64 s[40:41], s[42:43], exec
.LBB56_19:                              ;   in Loop: Header=BB56_21 Depth=1
	s_or_b64 exec, exec, s[38:39]
	s_andn2_b64 s[34:35], s[34:35], exec
	s_and_b64 s[38:39], s[40:41], exec
	s_or_b64 s[34:35], s[34:35], s[38:39]
.LBB56_20:                              ;   in Loop: Header=BB56_21 Depth=1
	s_or_b64 exec, exec, s[36:37]
	s_and_b64 s[36:37], exec, s[34:35]
	s_or_b64 s[28:29], s[36:37], s[28:29]
	s_andn2_b64 exec, exec, s[28:29]
	s_cbranch_execz .LBB56_25
.LBB56_21:                              ; =>This Inner Loop Header: Depth=1
	v_add_co_u32_e32 v18, vcc, s33, v12
	v_addc_co_u32_e32 v19, vcc, v13, v1, vcc
	v_add_co_u32_e32 v22, vcc, s45, v12
	v_addc_co_u32_e32 v23, vcc, v25, v1, vcc
	global_load_dwordx2 v[16:17], v[18:19], off
	global_load_dwordx2 v[28:29], v[22:23], off
	v_add_co_u32_e32 v20, vcc, s14, v12
	v_addc_co_u32_e32 v21, vcc, v24, v1, vcc
	global_load_dwordx2 v[30:31], v[20:21], off
	s_or_b64 s[34:35], s[34:35], exec
	s_waitcnt vmcnt(2)
	v_cvt_f32_f16_e32 v27, v16
	v_cvt_f32_f16_sdwa v16, v16 dst_sel:DWORD dst_unused:UNUSED_PAD src0_sel:WORD_1
	s_waitcnt vmcnt(1)
	v_cvt_f32_f16_e32 v33, v28
	v_cvt_f32_f16_sdwa v28, v28 dst_sel:DWORD dst_unused:UNUSED_PAD src0_sel:WORD_1
	v_cvt_f32_f16_e32 v32, v17
	v_cvt_f32_f16_sdwa v17, v17 dst_sel:DWORD dst_unused:UNUSED_PAD src0_sel:WORD_1
	;; [unrolled: 2-line block ×3, first 2 shown]
	v_add_f32_e32 v27, v27, v33
	v_add_f32_e32 v16, v16, v28
	;; [unrolled: 1-line block ×4, first 2 shown]
	s_waitcnt lgkmcnt(0)
	v_fma_mixlo_f16 v27, v36, v27, 0
	v_fma_mixlo_f16 v16, v36, v16, 0
	;; [unrolled: 1-line block ×4, first 2 shown]
	s_waitcnt vmcnt(0)
	v_mul_f16_e32 v27, v30, v27
	v_mul_f16_sdwa v16, v30, v16 dst_sel:DWORD dst_unused:UNUSED_PAD src0_sel:WORD_1 src1_sel:DWORD
	v_mul_f16_e32 v28, v31, v28
	v_mul_f16_sdwa v17, v31, v17 dst_sel:DWORD dst_unused:UNUSED_PAD src0_sel:WORD_1 src1_sel:DWORD
	v_cvt_f32_f16_e64 v27, |v27|
	v_cvt_f32_f16_e64 v29, |v16|
	;; [unrolled: 1-line block ×4, first 2 shown]
	v_add_co_u32_e32 v16, vcc, s16, v14
	v_addc_co_u32_e32 v17, vcc, v15, v26, vcc
	v_max3_f32 v5, v5, v27, v29
	v_cmp_lt_i64_e32 vcc, v[16:17], v[10:11]
	v_max3_f32 v5, v5, v28, v30
	s_and_saveexec_b64 s[36:37], vcc
	s_cbranch_execz .LBB56_20
; %bb.22:                               ;   in Loop: Header=BB56_21 Depth=1
	v_mov_b32_e32 v27, s31
	v_add_co_u32_e32 v18, vcc, s30, v18
	v_addc_co_u32_e32 v19, vcc, v19, v27, vcc
	v_add_co_u32_e32 v22, vcc, s30, v22
	v_addc_co_u32_e32 v23, vcc, v23, v27, vcc
	global_load_dwordx2 v[28:29], v[18:19], off
	global_load_dwordx2 v[30:31], v[22:23], off
	v_add_co_u32_e32 v20, vcc, s30, v20
	v_addc_co_u32_e32 v21, vcc, v21, v27, vcc
	global_load_dwordx2 v[32:33], v[20:21], off
	v_mov_b32_e32 v27, s27
	s_mov_b64 s[40:41], -1
	s_waitcnt vmcnt(2)
	v_cvt_f32_f16_e32 v34, v28
	v_cvt_f32_f16_sdwa v28, v28 dst_sel:DWORD dst_unused:UNUSED_PAD src0_sel:WORD_1
	s_waitcnt vmcnt(1)
	v_cvt_f32_f16_e32 v37, v30
	v_cvt_f32_f16_sdwa v30, v30 dst_sel:DWORD dst_unused:UNUSED_PAD src0_sel:WORD_1
	v_cvt_f32_f16_e32 v35, v29
	v_cvt_f32_f16_sdwa v29, v29 dst_sel:DWORD dst_unused:UNUSED_PAD src0_sel:WORD_1
	;; [unrolled: 2-line block ×3, first 2 shown]
	v_add_f32_e32 v34, v34, v37
	v_add_f32_e32 v28, v28, v30
	v_add_f32_e32 v30, v35, v38
	v_add_f32_e32 v29, v29, v31
	v_fma_mixlo_f16 v31, v36, v34, 0
	v_fma_mixlo_f16 v28, v36, v28, 0
	;; [unrolled: 1-line block ×4, first 2 shown]
	s_waitcnt vmcnt(0)
	v_mul_f16_e32 v31, v32, v31
	v_mul_f16_sdwa v28, v32, v28 dst_sel:DWORD dst_unused:UNUSED_PAD src0_sel:WORD_1 src1_sel:DWORD
	v_mul_f16_e32 v30, v33, v30
	v_mul_f16_sdwa v29, v33, v29 dst_sel:DWORD dst_unused:UNUSED_PAD src0_sel:WORD_1 src1_sel:DWORD
	v_cvt_f32_f16_e64 v31, |v31|
	v_cvt_f32_f16_e64 v32, |v28|
	;; [unrolled: 1-line block ×4, first 2 shown]
	v_add_co_u32_e32 v28, vcc, s26, v14
	v_addc_co_u32_e32 v29, vcc, v27, v15, vcc
	v_max3_f32 v5, v5, v31, v32
	v_cmp_lt_i64_e32 vcc, v[28:29], v[10:11]
	v_max3_f32 v5, v5, v30, v33
	s_and_saveexec_b64 s[38:39], vcc
	s_cbranch_execz .LBB56_19
; %bb.23:                               ;   in Loop: Header=BB56_21 Depth=1
	v_mov_b32_e32 v27, s31
	v_add_co_u32_e32 v18, vcc, s30, v18
	v_addc_co_u32_e32 v19, vcc, v19, v27, vcc
	v_add_co_u32_e32 v22, vcc, s30, v22
	v_addc_co_u32_e32 v23, vcc, v23, v27, vcc
	global_load_dwordx2 v[28:29], v[18:19], off
	global_load_dwordx2 v[30:31], v[22:23], off
	v_add_co_u32_e32 v20, vcc, s30, v20
	v_addc_co_u32_e32 v21, vcc, v21, v27, vcc
	global_load_dwordx2 v[32:33], v[20:21], off
	v_mov_b32_e32 v27, s3
	v_add_co_u32_e32 v14, vcc, s13, v14
	v_addc_co_u32_e32 v15, vcc, v27, v15, vcc
	v_cmp_lt_i64_e32 vcc, v[14:15], v[10:11]
	s_mov_b64 s[42:43], -1
                                        ; implicit-def: $vgpr14_vgpr15
	s_waitcnt vmcnt(2)
	v_cvt_f32_f16_e32 v34, v28
	v_cvt_f32_f16_sdwa v28, v28 dst_sel:DWORD dst_unused:UNUSED_PAD src0_sel:WORD_1
	s_waitcnt vmcnt(1)
	v_cvt_f32_f16_e32 v37, v30
	v_cvt_f32_f16_sdwa v30, v30 dst_sel:DWORD dst_unused:UNUSED_PAD src0_sel:WORD_1
	v_cvt_f32_f16_e32 v35, v29
	v_cvt_f32_f16_sdwa v29, v29 dst_sel:DWORD dst_unused:UNUSED_PAD src0_sel:WORD_1
	;; [unrolled: 2-line block ×3, first 2 shown]
	v_add_f32_e32 v34, v34, v37
	v_add_f32_e32 v28, v28, v30
	;; [unrolled: 1-line block ×4, first 2 shown]
	v_fma_mixlo_f16 v31, v36, v34, 0
	v_fma_mixlo_f16 v28, v36, v28, 0
	;; [unrolled: 1-line block ×4, first 2 shown]
	s_waitcnt vmcnt(0)
	v_mul_f16_e32 v31, v32, v31
	v_mul_f16_sdwa v28, v32, v28 dst_sel:DWORD dst_unused:UNUSED_PAD src0_sel:WORD_1 src1_sel:DWORD
	v_mul_f16_e32 v30, v33, v30
	v_mul_f16_sdwa v29, v33, v29 dst_sel:DWORD dst_unused:UNUSED_PAD src0_sel:WORD_1 src1_sel:DWORD
	v_cvt_f32_f16_e64 v31, |v31|
	v_cvt_f32_f16_e64 v28, |v28|
	;; [unrolled: 1-line block ×4, first 2 shown]
	v_max3_f32 v5, v5, v31, v28
	v_max3_f32 v5, v5, v30, v29
	s_and_saveexec_b64 s[40:41], vcc
	s_xor_b64 s[40:41], exec, s[40:41]
	s_cbranch_execz .LBB56_18
; %bb.24:                               ;   in Loop: Header=BB56_21 Depth=1
	v_mov_b32_e32 v27, s31
	v_add_co_u32_e32 v14, vcc, s30, v18
	v_addc_co_u32_e32 v15, vcc, v19, v27, vcc
	v_add_co_u32_e32 v18, vcc, s30, v22
	v_addc_co_u32_e32 v19, vcc, v23, v27, vcc
	global_load_dwordx2 v[14:15], v[14:15], off
	v_add_co_u32_e32 v20, vcc, s30, v20
	global_load_dwordx2 v[18:19], v[18:19], off
	v_addc_co_u32_e32 v21, vcc, v21, v27, vcc
	global_load_dwordx2 v[20:21], v[20:21], off
	s_add_u32 s42, s16, s16
	s_addc_u32 s43, s17, s17
	v_mov_b32_e32 v22, s25
	v_add_co_u32_e32 v12, vcc, s24, v12
	s_add_u32 s42, s42, s16
	v_addc_co_u32_e32 v1, vcc, v1, v22, vcc
	s_addc_u32 s43, s43, s17
	v_mov_b32_e32 v22, s43
	s_waitcnt vmcnt(2)
	v_cvt_f32_f16_e32 v23, v14
	v_cvt_f32_f16_sdwa v14, v14 dst_sel:DWORD dst_unused:UNUSED_PAD src0_sel:WORD_1
	v_cvt_f32_f16_e32 v27, v15
	s_waitcnt vmcnt(1)
	v_cvt_f32_f16_e32 v28, v18
	v_cvt_f32_f16_sdwa v18, v18 dst_sel:DWORD dst_unused:UNUSED_PAD src0_sel:WORD_1
	v_cvt_f32_f16_sdwa v15, v15 dst_sel:DWORD dst_unused:UNUSED_PAD src0_sel:WORD_1
	v_cvt_f32_f16_e32 v29, v19
	v_cvt_f32_f16_sdwa v19, v19 dst_sel:DWORD dst_unused:UNUSED_PAD src0_sel:WORD_1
	v_add_f32_e32 v23, v23, v28
	v_add_f32_e32 v14, v14, v18
	;; [unrolled: 1-line block ×4, first 2 shown]
	v_fma_mixlo_f16 v19, v36, v23, 0
	v_fma_mixlo_f16 v14, v36, v14, 0
	;; [unrolled: 1-line block ×4, first 2 shown]
	s_waitcnt vmcnt(0)
	v_mul_f16_e32 v19, v20, v19
	v_mul_f16_sdwa v14, v20, v14 dst_sel:DWORD dst_unused:UNUSED_PAD src0_sel:WORD_1 src1_sel:DWORD
	v_mul_f16_e32 v18, v21, v18
	v_mul_f16_sdwa v15, v21, v15 dst_sel:DWORD dst_unused:UNUSED_PAD src0_sel:WORD_1 src1_sel:DWORD
	v_cvt_f32_f16_e64 v19, |v19|
	v_cvt_f32_f16_e64 v20, |v14|
	;; [unrolled: 1-line block ×4, first 2 shown]
	v_add_co_u32_e32 v14, vcc, s42, v16
	v_addc_co_u32_e32 v15, vcc, v22, v17, vcc
	v_cmp_ge_i64_e32 vcc, v[14:15], v[10:11]
	v_max3_f32 v5, v5, v19, v20
	v_max3_f32 v5, v5, v18, v21
	s_orn2_b64 s[42:43], vcc, exec
	s_branch .LBB56_18
.LBB56_25:
	s_or_b64 exec, exec, s[28:29]
.LBB56_26:
	s_or_b64 exec, exec, s[22:23]
	s_lshr_b32 s13, s47, 6
	v_cvt_f32_u32_e32 v10, s13
	v_lshlrev_b32_e32 v1, 2, v0
	ds_write_b32 v1, v5
	s_sub_i32 s23, 0, s13
	v_rcp_iflag_f32_e32 v5, v10
	s_add_i32 s3, s2, s13
	s_add_i32 s3, s3, -1
	s_ashr_i32 s22, s3, 31
	v_mul_f32_e32 v5, 0x4f7ffffe, v5
	v_cvt_u32_f32_e32 v5, v5
	s_abs_i32 s3, s3
	s_waitcnt lgkmcnt(0)
	s_barrier
	v_readfirstlane_b32 s24, v5
	s_mul_i32 s23, s23, s24
	s_mul_hi_u32 s23, s24, s23
	s_add_i32 s24, s24, s23
	s_mul_hi_u32 s23, s3, s24
	s_mul_i32 s24, s23, s13
	s_sub_i32 s3, s3, s24
	s_add_i32 s24, s23, 1
	s_sub_i32 s25, s3, s13
	s_cmp_ge_u32 s3, s13
	s_cselect_b32 s23, s24, s23
	s_cselect_b32 s3, s25, s3
	s_add_i32 s24, s23, 1
	s_cmp_ge_u32 s3, s13
	s_cselect_b32 s3, s24, s23
	s_xor_b32 s3, s3, s22
	s_sub_i32 s22, s3, s22
	s_ashr_i32 s23, s22, 31
	v_cmp_lt_i64_e64 s[24:25], s[22:23], 1
	s_and_b64 vcc, exec, s[24:25]
	s_cbranch_vccnz .LBB56_48
; %bb.27:
	v_and_b32_e32 v12, 63, v0
	v_add_co_u32_e32 v14, vcc, 32, v12
	v_addc_co_u32_e64 v15, s[24:25], 0, 0, vcc
	v_add_co_u32_e32 v16, vcc, 16, v12
	v_addc_co_u32_e64 v17, s[24:25], 0, 0, vcc
	;; [unrolled: 2-line block ×4, first 2 shown]
	v_add_co_u32_e32 v22, vcc, 2, v12
	v_lshrrev_b32_e32 v10, 6, v0
	v_addc_co_u32_e64 v23, s[24:25], 0, 0, vcc
	v_add_co_u32_e32 v24, vcc, 1, v12
	v_addc_co_u32_e64 v25, s[24:25], 0, 0, vcc
	v_mul_lo_u32 v5, s16, v10
	v_lshlrev_b32_e32 v5, 2, v5
	v_lshlrev_b32_e32 v26, 2, v12
	s_movk_i32 s24, 0x100
	v_mov_b32_e32 v11, 0
	v_add3_u32 v5, v5, v26, s24
	s_mul_i32 s24, s16, s13
	s_ashr_i32 s3, s2, 31
	v_mov_b32_e32 v13, v11
	s_lshl_b32 s36, s24, 2
	s_mov_b64 s[24:25], 0
	v_mov_b32_e32 v37, s13
	s_mov_b64 s[26:27], src_shared_base
	s_branch .LBB56_30
.LBB56_28:                              ;   in Loop: Header=BB56_30 Depth=1
	s_or_b64 exec, exec, s[30:31]
	v_mov_b32_e32 v27, s27
	flat_load_dword v26, v[26:27] glc
	s_waitcnt vmcnt(0)
.LBB56_29:                              ;   in Loop: Header=BB56_30 Depth=1
	s_or_b64 exec, exec, s[28:29]
	s_add_u32 s24, s24, 1
	s_addc_u32 s25, s25, 0
	s_cmp_eq_u64 s[24:25], s[22:23]
	v_add_u32_e32 v5, s36, v5
	s_cbranch_scc1 .LBB56_48
.LBB56_30:                              ; =>This Loop Header: Depth=1
                                        ;     Child Loop BB56_33 Depth 2
	v_mad_u64_u32 v[30:31], s[28:29], s24, v37, v[10:11]
	s_mul_i32 s26, s25, s13
	v_add_u32_e32 v31, s26, v31
	v_cmp_gt_i64_e32 vcc, s[2:3], v[30:31]
	s_and_saveexec_b64 s[28:29], vcc
	s_cbranch_execz .LBB56_29
; %bb.31:                               ;   in Loop: Header=BB56_30 Depth=1
	v_pk_mov_b32 v[32:33], s[16:17], s[16:17] op_sel:[0,1]
	v_mul_lo_u32 v29, v31, s16
	v_mul_lo_u32 v38, v30, s17
	v_mad_u64_u32 v[32:33], s[30:31], v30, s16, v[32:33]
	v_add3_u32 v33, v29, v33, v38
	v_mov_b32_e32 v28, s21
	v_cmp_gt_i64_e32 vcc, s[20:21], v[32:33]
	s_waitcnt lgkmcnt(0)
	v_mad_u64_u32 v[26:27], s[30:31], v30, s16, v[12:13]
	v_cndmask_b32_e32 v33, v28, v33, vcc
	v_mov_b32_e32 v28, s20
	v_add3_u32 v27, v29, v27, v38
	v_cndmask_b32_e32 v32, v28, v32, vcc
	v_add_co_u32_e32 v34, vcc, 64, v26
	v_addc_co_u32_e32 v35, vcc, 0, v27, vcc
	v_cmp_lt_i64_e32 vcc, v[34:35], v[32:33]
	v_lshlrev_b32_e32 v28, 2, v26
	s_and_saveexec_b64 s[30:31], vcc
	s_cbranch_execz .LBB56_34
; %bb.32:                               ;   in Loop: Header=BB56_30 Depth=1
	ds_read_b32 v31, v28
	s_mov_b64 s[34:35], 0
	v_mov_b32_e32 v27, v5
.LBB56_33:                              ;   Parent Loop BB56_30 Depth=1
                                        ; =>  This Inner Loop Header: Depth=2
	ds_read_b32 v39, v27
	v_add_co_u32_e32 v34, vcc, 64, v34
	v_addc_co_u32_e32 v35, vcc, 0, v35, vcc
	s_waitcnt lgkmcnt(1)
	v_max_f32_e32 v31, v31, v31
	v_cmp_ge_i64_e32 vcc, v[34:35], v[32:33]
	s_waitcnt lgkmcnt(0)
	v_max_f32_e32 v39, v39, v39
	v_add_u32_e32 v27, 0x100, v27
	s_or_b64 s[34:35], vcc, s[34:35]
	v_max_f32_e32 v31, v31, v39
	ds_write_b32 v28, v31
	s_andn2_b64 exec, exec, s[34:35]
	s_cbranch_execnz .LBB56_33
.LBB56_34:                              ;   in Loop: Header=BB56_30 Depth=1
	s_or_b64 exec, exec, s[30:31]
	v_mad_u64_u32 v[30:31], s[30:31], v30, s16, 0
	v_add3_u32 v27, v31, v38, v29
	v_sub_co_u32_e32 v30, vcc, v32, v30
	v_subb_co_u32_e32 v31, vcc, v33, v27, vcc
	v_cmp_gt_i64_e32 vcc, 64, v[30:31]
	v_cndmask_b32_e32 v31, 0, v31, vcc
	v_cndmask_b32_e32 v30, 64, v30, vcc
	v_cmp_lt_i64_e32 vcc, v[14:15], v[30:31]
	s_and_saveexec_b64 s[30:31], vcc
	s_cbranch_execnz .LBB56_46
; %bb.35:                               ;   in Loop: Header=BB56_30 Depth=1
	s_or_b64 exec, exec, s[30:31]
	v_cmp_lt_i64_e32 vcc, v[16:17], v[30:31]
	s_and_saveexec_b64 s[30:31], vcc
	s_cbranch_execnz .LBB56_47
.LBB56_36:                              ;   in Loop: Header=BB56_30 Depth=1
	s_or_b64 exec, exec, s[30:31]
	v_cmp_lt_i64_e32 vcc, v[18:19], v[30:31]
	s_and_saveexec_b64 s[30:31], vcc
	s_cbranch_execz .LBB56_38
.LBB56_37:                              ;   in Loop: Header=BB56_30 Depth=1
	v_mov_b32_e32 v29, s27
	v_add_u32_e32 v32, 32, v28
	v_mov_b32_e32 v33, s27
	flat_load_dword v27, v[28:29] glc
	s_waitcnt vmcnt(0)
	flat_load_dword v34, v[32:33] glc
	s_waitcnt vmcnt(0) lgkmcnt(0)
	v_max_f32_e32 v27, v27, v27
	v_max_f32_e32 v32, v34, v34
	;; [unrolled: 1-line block ×3, first 2 shown]
	flat_store_dword v[28:29], v27
	s_waitcnt vmcnt(0)
.LBB56_38:                              ;   in Loop: Header=BB56_30 Depth=1
	s_or_b64 exec, exec, s[30:31]
	v_cmp_ge_i64_e32 vcc, v[20:21], v[30:31]
	s_and_saveexec_b64 s[30:31], vcc
	s_xor_b64 s[30:31], exec, s[30:31]
; %bb.39:                               ;   in Loop: Header=BB56_30 Depth=1
                                        ; implicit-def: $vgpr28
; %bb.40:                               ;   in Loop: Header=BB56_30 Depth=1
	s_andn2_saveexec_b64 s[30:31], s[30:31]
	s_cbranch_execz .LBB56_42
; %bb.41:                               ;   in Loop: Header=BB56_30 Depth=1
	v_mov_b32_e32 v29, s27
	v_add_u32_e32 v32, 16, v28
	v_mov_b32_e32 v33, s27
	flat_load_dword v27, v[28:29] glc
	s_waitcnt vmcnt(0)
	flat_load_dword v34, v[32:33] glc
	s_waitcnt vmcnt(0) lgkmcnt(0)
	v_max_f32_e32 v27, v27, v27
	v_max_f32_e32 v32, v34, v34
	;; [unrolled: 1-line block ×3, first 2 shown]
	flat_store_dword v[28:29], v27
	s_waitcnt vmcnt(0)
.LBB56_42:                              ;   in Loop: Header=BB56_30 Depth=1
	s_or_b64 exec, exec, s[30:31]
	v_cmp_lt_i64_e32 vcc, v[22:23], v[30:31]
	v_lshlrev_b32_e32 v26, 2, v26
	s_and_saveexec_b64 s[30:31], vcc
	s_cbranch_execz .LBB56_44
; %bb.43:                               ;   in Loop: Header=BB56_30 Depth=1
	v_mov_b32_e32 v27, s27
	v_add_u32_e32 v28, 8, v26
	v_mov_b32_e32 v29, s27
	flat_load_dword v32, v[26:27] glc
	s_waitcnt vmcnt(0)
	flat_load_dword v33, v[28:29] glc
	s_waitcnt vmcnt(0) lgkmcnt(0)
	v_max_f32_e32 v28, v32, v32
	v_max_f32_e32 v29, v33, v33
	;; [unrolled: 1-line block ×3, first 2 shown]
	flat_store_dword v[26:27], v28
	s_waitcnt vmcnt(0)
.LBB56_44:                              ;   in Loop: Header=BB56_30 Depth=1
	s_or_b64 exec, exec, s[30:31]
	v_cmp_lt_i64_e32 vcc, v[24:25], v[30:31]
	s_and_saveexec_b64 s[30:31], vcc
	s_cbranch_execz .LBB56_28
; %bb.45:                               ;   in Loop: Header=BB56_30 Depth=1
	v_mov_b32_e32 v27, s27
	v_add_u32_e32 v28, 4, v26
	v_mov_b32_e32 v29, s27
	flat_load_dword v30, v[26:27] glc
	s_waitcnt vmcnt(0)
	flat_load_dword v31, v[28:29] glc
	s_waitcnt vmcnt(0) lgkmcnt(0)
	v_max_f32_e32 v28, v30, v30
	v_max_f32_e32 v29, v31, v31
	;; [unrolled: 1-line block ×3, first 2 shown]
	flat_store_dword v[26:27], v28
	s_waitcnt vmcnt(0)
	s_branch .LBB56_28
.LBB56_46:                              ;   in Loop: Header=BB56_30 Depth=1
	v_mov_b32_e32 v29, s27
	v_add_u32_e32 v32, 0x80, v28
	v_mov_b32_e32 v33, s27
	flat_load_dword v27, v[28:29] glc
	s_waitcnt vmcnt(0)
	flat_load_dword v34, v[32:33] glc
	s_waitcnt vmcnt(0) lgkmcnt(0)
	v_max_f32_e32 v27, v27, v27
	v_max_f32_e32 v32, v34, v34
	;; [unrolled: 1-line block ×3, first 2 shown]
	flat_store_dword v[28:29], v27
	s_waitcnt vmcnt(0)
	s_or_b64 exec, exec, s[30:31]
	v_cmp_lt_i64_e32 vcc, v[16:17], v[30:31]
	s_and_saveexec_b64 s[30:31], vcc
	s_cbranch_execz .LBB56_36
.LBB56_47:                              ;   in Loop: Header=BB56_30 Depth=1
	v_mov_b32_e32 v29, s27
	v_add_u32_e32 v32, 64, v28
	v_mov_b32_e32 v33, s27
	flat_load_dword v27, v[28:29] glc
	s_waitcnt vmcnt(0)
	flat_load_dword v34, v[32:33] glc
	s_waitcnt vmcnt(0) lgkmcnt(0)
	v_max_f32_e32 v27, v27, v27
	v_max_f32_e32 v32, v34, v34
	;; [unrolled: 1-line block ×3, first 2 shown]
	flat_store_dword v[28:29], v27
	s_waitcnt vmcnt(0)
	s_or_b64 exec, exec, s[30:31]
	v_cmp_lt_i64_e32 vcc, v[18:19], v[30:31]
	s_and_saveexec_b64 s[30:31], vcc
	s_cbranch_execnz .LBB56_37
	s_branch .LBB56_38
.LBB56_48:
	s_load_dwordx2 s[16:17], s[4:5], 0x40
	v_cmp_eq_u32_e32 vcc, 0, v4
	v_cmp_lt_i64_e64 s[2:3], v[6:7], v[8:9]
	s_and_b64 s[2:3], vcc, s[2:3]
	s_waitcnt lgkmcnt(0)
	s_barrier
	s_and_saveexec_b64 s[20:21], s[2:3]
	s_cbranch_execz .LBB56_55
; %bb.49:
	s_load_dwordx2 s[2:3], s[4:5], 0x20
	ds_read_b32 v1, v1
	s_waitcnt lgkmcnt(0)
	s_cmp_eq_u64 s[2:3], 0
	s_cbranch_scc1 .LBB56_51
; %bb.50:
	s_load_dword s2, s[2:3], 0x0
	v_max_f32_e32 v1, v1, v1
	s_waitcnt lgkmcnt(0)
	v_max_f32_e64 v4, s2, s2
	v_min_f32_e32 v1, v1, v4
.LBB56_51:
	s_add_u32 s3, s16, s48
	s_addc_u32 s4, s17, 0
	s_add_u32 s22, s3, -1
	s_addc_u32 s23, s4, -1
	s_or_b64 s[4:5], s[22:23], s[16:17]
	s_mov_b32 s2, 0
	s_mov_b32 s3, s5
	s_cmp_lg_u64 s[2:3], 0
	s_mov_b64 s[24:25], -1
	s_cbranch_scc0 .LBB56_68
; %bb.52:
	s_ashr_i32 s2, s17, 31
	s_add_u32 s4, s16, s2
	s_mov_b32 s3, s2
	s_addc_u32 s5, s17, s2
	s_xor_b64 s[26:27], s[4:5], s[2:3]
	v_cvt_f32_u32_e32 v4, s26
	v_cvt_f32_u32_e32 v5, s27
	s_sub_u32 s2, 0, s26
	s_subb_u32 s3, 0, s27
	v_madmk_f32 v4, v5, 0x4f800000, v4
	v_rcp_f32_e32 v4, v4
	v_mul_f32_e32 v4, 0x5f7ffffc, v4
	v_mul_f32_e32 v5, 0x2f800000, v4
	v_trunc_f32_e32 v5, v5
	v_madmk_f32 v4, v5, 0xcf800000, v4
	v_cvt_u32_f32_e32 v5, v5
	v_cvt_u32_f32_e32 v4, v4
	v_readfirstlane_b32 s4, v5
	v_readfirstlane_b32 s5, v4
	s_mul_i32 s13, s2, s4
	s_mul_hi_u32 s29, s2, s5
	s_mul_i32 s28, s3, s5
	s_add_i32 s13, s29, s13
	s_add_i32 s13, s13, s28
	s_mul_i32 s30, s2, s5
	s_mul_hi_u32 s28, s5, s13
	s_mul_i32 s29, s5, s13
	s_mul_hi_u32 s5, s5, s30
	s_add_u32 s5, s5, s29
	s_addc_u32 s28, 0, s28
	s_mul_hi_u32 s31, s4, s30
	s_mul_i32 s30, s4, s30
	s_add_u32 s5, s5, s30
	s_mul_hi_u32 s29, s4, s13
	s_addc_u32 s5, s28, s31
	s_addc_u32 s28, s29, 0
	s_mul_i32 s13, s4, s13
	s_add_u32 s5, s5, s13
	s_addc_u32 s13, 0, s28
	v_add_co_u32_e32 v4, vcc, s5, v4
	s_cmp_lg_u64 vcc, 0
	s_addc_u32 s4, s4, s13
	v_readfirstlane_b32 s13, v4
	s_mul_i32 s5, s2, s4
	s_mul_hi_u32 s28, s2, s13
	s_add_i32 s5, s28, s5
	s_mul_i32 s3, s3, s13
	s_add_i32 s5, s5, s3
	s_mul_i32 s2, s2, s13
	s_mul_hi_u32 s28, s4, s2
	s_mul_i32 s29, s4, s2
	s_mul_i32 s31, s13, s5
	s_mul_hi_u32 s2, s13, s2
	s_mul_hi_u32 s30, s13, s5
	s_add_u32 s2, s2, s31
	s_addc_u32 s13, 0, s30
	s_add_u32 s2, s2, s29
	s_mul_hi_u32 s3, s4, s5
	s_addc_u32 s2, s13, s28
	s_addc_u32 s3, s3, 0
	s_mul_i32 s5, s4, s5
	s_add_u32 s2, s2, s5
	s_addc_u32 s3, 0, s3
	v_add_co_u32_e32 v4, vcc, s2, v4
	s_cmp_lg_u64 vcc, 0
	s_addc_u32 s4, s4, s3
	s_ashr_i32 s28, s23, 31
	s_add_u32 s2, s22, s28
	s_mov_b32 s29, s28
	s_addc_u32 s3, s23, s28
	s_xor_b64 s[30:31], s[2:3], s[28:29]
	v_readfirstlane_b32 s5, v4
	s_mul_i32 s3, s30, s4
	s_mul_hi_u32 s13, s30, s5
	s_mul_hi_u32 s2, s30, s4
	s_add_u32 s3, s13, s3
	s_addc_u32 s2, 0, s2
	s_mul_hi_u32 s29, s31, s5
	s_mul_i32 s5, s31, s5
	s_add_u32 s3, s3, s5
	s_mul_hi_u32 s13, s31, s4
	s_addc_u32 s2, s2, s29
	s_addc_u32 s3, s13, 0
	s_mul_i32 s4, s31, s4
	s_add_u32 s2, s2, s4
	s_addc_u32 s3, 0, s3
	s_mul_i32 s3, s26, s3
	s_mul_hi_u32 s4, s26, s2
	s_add_i32 s3, s4, s3
	s_mul_i32 s4, s27, s2
	s_mul_i32 s2, s26, s2
	s_add_i32 s13, s3, s4
	v_mov_b32_e32 v4, s2
	s_sub_i32 s3, s31, s13
	v_sub_co_u32_e32 v4, vcc, s30, v4
	s_cmp_lg_u64 vcc, 0
	s_subb_u32 s29, s3, s27
	v_subrev_co_u32_e64 v5, s[2:3], s26, v4
	s_cmp_lg_u64 s[2:3], 0
	s_subb_u32 s30, s29, 0
	s_cmp_ge_u32 s30, s27
	s_cselect_b32 s34, -1, 0
	v_cmp_le_u32_e64 s[4:5], s26, v5
	s_cmp_eq_u32 s30, s27
	v_cndmask_b32_e64 v6, 0, -1, s[4:5]
	v_mov_b32_e32 v7, s34
	s_cselect_b64 s[4:5], -1, 0
	s_cmp_lg_u64 s[2:3], 0
	v_cndmask_b32_e64 v6, v7, v6, s[4:5]
	s_subb_u32 s4, s29, s27
	v_subrev_co_u32_e64 v7, s[2:3], s26, v5
	s_cmp_lg_u64 s[2:3], 0
	s_subb_u32 s4, s4, 0
	v_cmp_ne_u32_e64 s[2:3], 0, v6
	v_cndmask_b32_e64 v5, v5, v7, s[2:3]
	v_mov_b32_e32 v6, s30
	v_mov_b32_e32 v7, s4
	s_cmp_lg_u64 vcc, 0
	v_cndmask_b32_e64 v6, v6, v7, s[2:3]
	s_subb_u32 s2, s31, s13
	s_cmp_ge_u32 s2, s27
	s_cselect_b32 s3, -1, 0
	v_cmp_le_u32_e32 vcc, s26, v4
	s_cmp_eq_u32 s2, s27
	v_cndmask_b32_e64 v7, 0, -1, vcc
	v_mov_b32_e32 v8, s3
	s_cselect_b64 vcc, -1, 0
	v_cndmask_b32_e32 v7, v8, v7, vcc
	v_cmp_ne_u32_e32 vcc, 0, v7
	v_mov_b32_e32 v8, s2
	v_cndmask_b32_e32 v4, v4, v5, vcc
	v_cndmask_b32_e32 v6, v8, v6, vcc
	v_xor_b32_e32 v4, s28, v4
	v_xor_b32_e32 v5, s28, v6
	v_mov_b32_e32 v6, s28
	v_subrev_co_u32_e32 v4, vcc, s28, v4
	v_subb_co_u32_e32 v5, vcc, v5, v6, vcc
	s_cbranch_execnz .LBB56_54
.LBB56_53:
	v_cvt_f32_u32_e32 v4, s16
	s_sub_i32 s2, 0, s16
	v_rcp_iflag_f32_e32 v4, v4
	v_mul_f32_e32 v4, 0x4f7ffffe, v4
	v_cvt_u32_f32_e32 v4, v4
	v_mul_lo_u32 v5, s2, v4
	v_mul_hi_u32 v5, v4, v5
	v_add_u32_e32 v4, v4, v5
	v_mul_hi_u32 v4, s22, v4
	v_mul_lo_u32 v4, v4, s16
	v_sub_u32_e32 v4, s22, v4
	v_subrev_u32_e32 v5, s16, v4
	v_cmp_le_u32_e32 vcc, s16, v4
	v_cndmask_b32_e32 v4, v4, v5, vcc
	v_subrev_u32_e32 v5, s16, v4
	v_cmp_le_u32_e32 vcc, s16, v4
	v_cndmask_b32_e32 v4, v4, v5, vcc
	v_mov_b32_e32 v5, 0
.LBB56_54:
	s_mov_b32 s4, 0x42fe0000
	v_div_scale_f32 v6, s[2:3], s4, s4, v1
	v_rcp_f32_e32 v7, v6
	v_div_scale_f32 v8, vcc, v1, s4, v1
	v_fma_f32 v9, -v6, v7, 1.0
	v_fmac_f32_e32 v7, v9, v7
	v_mul_f32_e32 v9, v8, v7
	v_fma_f32 v10, -v6, v9, v8
	v_fmac_f32_e32 v9, v10, v7
	v_fma_f32 v6, -v6, v9, v8
	v_div_fmas_f32 v6, v6, v7, v9
	v_div_fixup_f32 v1, v6, s4, v1
	v_mov_b32_e32 v6, s23
	v_sub_co_u32_e32 v4, vcc, s22, v4
	v_subb_co_u32_e32 v5, vcc, v6, v5, vcc
	v_mul_lo_u32 v5, v5, v2
	v_mul_lo_u32 v6, v4, v3
	v_mad_u64_u32 v[2:3], s[2:3], v4, v2, 0
	s_lshl_b64 s[2:3], s[6:7], 2
	v_add3_u32 v3, v3, v6, v5
	s_add_u32 s2, s2, s10
	v_lshlrev_b64 v[2:3], 2, v[2:3]
	s_addc_u32 s3, s3, s11
	v_mov_b32_e32 v4, s3
	v_add_co_u32_e32 v2, vcc, s2, v2
	v_max_f32_e32 v1, 0x34000000, v1
	v_addc_co_u32_e32 v3, vcc, v4, v3, vcc
	global_store_dword v[2:3], v1, off
.LBB56_55:
	s_or_b64 exec, exec, s[20:21]
	s_barrier
	s_and_saveexec_b64 s[2:3], s[0:1]
	s_cbranch_execz .LBB56_67
; %bb.56:
	s_add_u32 s1, s16, s48
	s_addc_u32 s2, s17, 0
	s_add_u32 s4, s1, -1
	s_addc_u32 s5, s2, -1
	s_or_b64 s[2:3], s[4:5], s[16:17]
	s_mov_b32 s0, 0
	s_mov_b32 s1, s3
	s_cmp_lg_u64 s[0:1], 0
	s_mov_b64 s[20:21], -1
	s_cbranch_scc0 .LBB56_69
; %bb.57:
	s_ashr_i32 s0, s17, 31
	s_add_u32 s2, s16, s0
	s_mov_b32 s1, s0
	s_addc_u32 s3, s17, s0
	s_xor_b64 s[22:23], s[2:3], s[0:1]
	v_cvt_f32_u32_e32 v1, s22
	v_cvt_f32_u32_e32 v2, s23
	s_sub_u32 s0, 0, s22
	s_subb_u32 s1, 0, s23
	v_madmk_f32 v1, v2, 0x4f800000, v1
	v_rcp_f32_e32 v1, v1
	v_mul_f32_e32 v1, 0x5f7ffffc, v1
	v_mul_f32_e32 v2, 0x2f800000, v1
	v_trunc_f32_e32 v2, v2
	v_madmk_f32 v1, v2, 0xcf800000, v1
	v_cvt_u32_f32_e32 v2, v2
	v_cvt_u32_f32_e32 v1, v1
	v_readfirstlane_b32 s2, v2
	v_readfirstlane_b32 s3, v1
	s_mul_i32 s13, s0, s2
	s_mul_hi_u32 s24, s0, s3
	s_mul_i32 s17, s1, s3
	s_add_i32 s13, s24, s13
	s_add_i32 s13, s13, s17
	s_mul_i32 s25, s0, s3
	s_mul_hi_u32 s17, s3, s13
	s_mul_i32 s24, s3, s13
	s_mul_hi_u32 s3, s3, s25
	s_add_u32 s3, s3, s24
	s_addc_u32 s17, 0, s17
	s_mul_hi_u32 s26, s2, s25
	s_mul_i32 s25, s2, s25
	s_add_u32 s3, s3, s25
	s_mul_hi_u32 s24, s2, s13
	s_addc_u32 s3, s17, s26
	s_addc_u32 s17, s24, 0
	s_mul_i32 s13, s2, s13
	s_add_u32 s3, s3, s13
	s_addc_u32 s13, 0, s17
	v_add_co_u32_e32 v1, vcc, s3, v1
	s_cmp_lg_u64 vcc, 0
	s_addc_u32 s2, s2, s13
	v_readfirstlane_b32 s13, v1
	s_mul_i32 s3, s0, s2
	s_mul_hi_u32 s17, s0, s13
	s_add_i32 s3, s17, s3
	s_mul_i32 s1, s1, s13
	s_add_i32 s3, s3, s1
	s_mul_i32 s0, s0, s13
	s_mul_hi_u32 s17, s2, s0
	s_mul_i32 s24, s2, s0
	s_mul_i32 s26, s13, s3
	s_mul_hi_u32 s0, s13, s0
	s_mul_hi_u32 s25, s13, s3
	s_add_u32 s0, s0, s26
	s_addc_u32 s13, 0, s25
	s_add_u32 s0, s0, s24
	s_mul_hi_u32 s1, s2, s3
	s_addc_u32 s0, s13, s17
	s_addc_u32 s1, s1, 0
	s_mul_i32 s3, s2, s3
	s_add_u32 s0, s0, s3
	s_addc_u32 s1, 0, s1
	v_add_co_u32_e32 v1, vcc, s0, v1
	s_cmp_lg_u64 vcc, 0
	s_addc_u32 s2, s2, s1
	s_ashr_i32 s24, s5, 31
	s_add_u32 s0, s4, s24
	s_mov_b32 s25, s24
	s_addc_u32 s1, s5, s24
	s_xor_b64 s[26:27], s[0:1], s[24:25]
	v_readfirstlane_b32 s3, v1
	s_mul_i32 s1, s26, s2
	s_mul_hi_u32 s13, s26, s3
	s_mul_hi_u32 s0, s26, s2
	s_add_u32 s1, s13, s1
	s_addc_u32 s0, 0, s0
	s_mul_hi_u32 s17, s27, s3
	s_mul_i32 s3, s27, s3
	s_add_u32 s1, s1, s3
	s_mul_hi_u32 s13, s27, s2
	s_addc_u32 s0, s0, s17
	s_addc_u32 s1, s13, 0
	s_mul_i32 s2, s27, s2
	s_add_u32 s0, s0, s2
	s_addc_u32 s1, 0, s1
	s_mul_i32 s1, s22, s1
	s_mul_hi_u32 s2, s22, s0
	s_add_i32 s1, s2, s1
	s_mul_i32 s2, s23, s0
	s_mul_i32 s0, s22, s0
	s_add_i32 s13, s1, s2
	v_mov_b32_e32 v1, s0
	s_sub_i32 s1, s27, s13
	v_sub_co_u32_e32 v1, vcc, s26, v1
	s_cmp_lg_u64 vcc, 0
	s_subb_u32 s17, s1, s23
	v_subrev_co_u32_e64 v2, s[0:1], s22, v1
	s_cmp_lg_u64 s[0:1], 0
	s_subb_u32 s25, s17, 0
	s_cmp_ge_u32 s25, s23
	s_cselect_b32 s26, -1, 0
	v_cmp_le_u32_e64 s[2:3], s22, v2
	s_cmp_eq_u32 s25, s23
	v_cndmask_b32_e64 v3, 0, -1, s[2:3]
	v_mov_b32_e32 v4, s26
	s_cselect_b64 s[2:3], -1, 0
	s_cmp_lg_u64 s[0:1], 0
	v_cndmask_b32_e64 v3, v4, v3, s[2:3]
	s_subb_u32 s2, s17, s23
	v_subrev_co_u32_e64 v4, s[0:1], s22, v2
	s_cmp_lg_u64 s[0:1], 0
	s_subb_u32 s2, s2, 0
	v_cmp_ne_u32_e64 s[0:1], 0, v3
	v_cndmask_b32_e64 v2, v2, v4, s[0:1]
	v_mov_b32_e32 v3, s25
	v_mov_b32_e32 v4, s2
	s_cmp_lg_u64 vcc, 0
	v_cndmask_b32_e64 v3, v3, v4, s[0:1]
	s_subb_u32 s0, s27, s13
	s_cmp_ge_u32 s0, s23
	s_cselect_b32 s1, -1, 0
	v_cmp_le_u32_e32 vcc, s22, v1
	s_cmp_eq_u32 s0, s23
	v_cndmask_b32_e64 v4, 0, -1, vcc
	v_mov_b32_e32 v5, s1
	s_cselect_b64 vcc, -1, 0
	v_cndmask_b32_e32 v4, v5, v4, vcc
	v_cmp_ne_u32_e32 vcc, 0, v4
	v_mov_b32_e32 v5, s0
	v_cndmask_b32_e32 v1, v1, v2, vcc
	v_cndmask_b32_e32 v3, v5, v3, vcc
	v_xor_b32_e32 v1, s24, v1
	v_xor_b32_e32 v3, s24, v3
	v_mov_b32_e32 v4, s24
	v_subrev_co_u32_e32 v2, vcc, s24, v1
	v_subb_co_u32_e32 v3, vcc, v3, v4, vcc
	s_cbranch_execnz .LBB56_59
.LBB56_58:
	v_cvt_f32_u32_e32 v1, s16
	s_sub_i32 s0, 0, s16
	v_mov_b32_e32 v3, 0
	v_rcp_iflag_f32_e32 v1, v1
	v_mul_f32_e32 v1, 0x4f7ffffe, v1
	v_cvt_u32_f32_e32 v1, v1
	v_mul_lo_u32 v2, s0, v1
	v_mul_hi_u32 v2, v1, v2
	v_add_u32_e32 v1, v1, v2
	v_mul_hi_u32 v1, s4, v1
	v_mul_lo_u32 v1, v1, s16
	v_sub_u32_e32 v1, s4, v1
	v_subrev_u32_e32 v2, s16, v1
	v_cmp_le_u32_e32 vcc, s16, v1
	v_cndmask_b32_e32 v1, v1, v2, vcc
	v_subrev_u32_e32 v2, s16, v1
	v_cmp_le_u32_e32 vcc, s16, v1
	v_cndmask_b32_e32 v2, v1, v2, vcc
.LBB56_59:
	s_add_u32 s13, s8, s18
	s_addc_u32 s16, s9, s19
	s_lshl_b64 s[0:1], s[6:7], 2
	s_add_u32 s17, s10, s0
	s_addc_u32 s18, s11, s1
	v_mov_b32_e32 v1, s5
	v_sub_co_u32_e32 v6, vcc, s4, v2
	v_subb_co_u32_e32 v7, vcc, v1, v3, vcc
	s_mul_i32 s19, s47, 3
	s_lshl_b32 s20, s47, 1
	s_mov_b64 s[0:1], 0
	v_mov_b32_e32 v1, 0
	v_mov_b32_e32 v8, s44
	;; [unrolled: 1-line block ×5, first 2 shown]
	s_mov_b32 s21, 0x42fe0000
	v_mov_b32_e32 v12, 0x42fe0000
	s_mov_b32 s22, 0xc3000000
	v_mov_b32_e32 v13, 0xc3000000
	v_mov_b32_e32 v14, s16
	;; [unrolled: 1-line block ×3, first 2 shown]
                                        ; implicit-def: $sgpr2_sgpr3
	s_branch .LBB56_63
.LBB56_60:                              ;   in Loop: Header=BB56_63 Depth=1
	s_or_b64 exec, exec, s[8:9]
	s_orn2_b64 s[8:9], s[10:11], exec
.LBB56_61:                              ;   in Loop: Header=BB56_63 Depth=1
	s_or_b64 exec, exec, s[6:7]
	s_andn2_b64 s[2:3], s[2:3], exec
	s_and_b64 s[6:7], s[8:9], exec
	s_or_b64 s[2:3], s[2:3], s[6:7]
.LBB56_62:                              ;   in Loop: Header=BB56_63 Depth=1
	s_or_b64 exec, exec, s[4:5]
	s_and_b64 s[4:5], exec, s[2:3]
	s_or_b64 s[0:1], s[4:5], s[0:1]
	s_andn2_b64 exec, exec, s[0:1]
	s_cbranch_execz .LBB56_67
.LBB56_63:                              ; =>This Inner Loop Header: Depth=1
	v_lshlrev_b64 v[2:3], 3, v[0:1]
	v_add_co_u32_e32 v4, vcc, s33, v2
	v_bfe_u32 v23, v0, 4, 26
	v_addc_co_u32_e32 v5, vcc, v8, v3, vcc
	v_mad_u64_u32 v[20:21], s[4:5], v6, v23, 0
	global_load_dwordx2 v[16:17], v[4:5], off
	v_add_co_u32_e32 v4, vcc, s45, v2
	v_mov_b32_e32 v22, v21
	v_addc_co_u32_e32 v5, vcc, v10, v3, vcc
	v_mad_u64_u32 v[22:23], s[4:5], v7, v23, v[22:23]
	global_load_dwordx2 v[18:19], v[4:5], off
	v_mov_b32_e32 v21, v22
	v_lshlrev_b64 v[20:21], 2, v[20:21]
	v_add_co_u32_e32 v20, vcc, s17, v20
	v_addc_co_u32_e32 v21, vcc, v11, v21, vcc
	global_load_dword v30, v[20:21], off
	v_add_co_u32_e32 v2, vcc, s14, v2
	v_addc_co_u32_e32 v3, vcc, v9, v3, vcc
	global_load_dwordx2 v[20:21], v[2:3], off
	v_lshlrev_b64 v[22:23], 2, v[0:1]
	v_add_u32_e32 v2, s47, v0
	s_or_b64 s[2:3], s[2:3], exec
	s_waitcnt vmcnt(3)
	v_cvt_f32_f16_e32 v24, v17
	v_cvt_f32_f16_sdwa v25, v17 dst_sel:DWORD dst_unused:UNUSED_PAD src0_sel:WORD_1
	v_cvt_f32_f16_e32 v26, v16
	v_cvt_f32_f16_sdwa v27, v16 dst_sel:DWORD dst_unused:UNUSED_PAD src0_sel:WORD_1
	s_waitcnt vmcnt(2)
	v_cvt_f32_f16_e32 v16, v19
	v_cvt_f32_f16_sdwa v17, v19 dst_sel:DWORD dst_unused:UNUSED_PAD src0_sel:WORD_1
	v_cvt_f32_f16_e32 v28, v18
	v_cvt_f32_f16_sdwa v29, v18 dst_sel:DWORD dst_unused:UNUSED_PAD src0_sel:WORD_1
	v_add_co_u32_e32 v18, vcc, s13, v22
	v_addc_co_u32_e32 v19, vcc, v14, v23, vcc
	v_pk_add_f32 v[22:23], v[26:27], v[28:29]
	v_pk_add_f32 v[16:17], v[24:25], v[16:17]
	s_waitcnt vmcnt(1)
	v_div_scale_f32 v27, s[4:5], v30, v30, 1.0
	v_cvt_f16_f32_e32 v3, v17
	v_cvt_f16_f32_e32 v24, v16
	v_rcp_f32_e32 v29, v27
	v_cvt_f16_f32_e32 v25, v23
	v_cvt_f16_f32_e32 v26, v22
	v_fma_mixlo_f16 v17, v36, v17, 0
	v_fma_mixlo_f16 v22, v36, v22, 0
	;; [unrolled: 1-line block ×3, first 2 shown]
	s_waitcnt vmcnt(0)
	v_mul_f16_sdwa v17, v21, v17 dst_sel:DWORD dst_unused:UNUSED_PAD src0_sel:WORD_1 src1_sel:DWORD
	v_fma_mixlo_f16 v16, v36, v16, 0
	v_mul_f16_e32 v22, v20, v22
	v_mul_f16_sdwa v20, v20, v23 dst_sel:DWORD dst_unused:UNUSED_PAD src0_sel:WORD_1 src1_sel:DWORD
	v_cvt_f32_f16_e32 v23, v17
	v_pack_b32_f16 v17, v24, v3
	v_fma_f32 v3, -v27, v29, 1.0
	v_div_scale_f32 v28, vcc, 1.0, v30, 1.0
	v_mul_f16_e32 v16, v21, v16
	v_fmac_f32_e32 v29, v3, v29
	v_cvt_f32_f16_e32 v21, v22
	v_cvt_f32_f16_e32 v22, v16
	v_pack_b32_f16 v16, v26, v25
	v_mul_f32_e32 v3, v28, v29
	global_store_dwordx2 v[4:5], v[16:17], off
	v_fma_f32 v4, -v27, v3, v28
	v_fmac_f32_e32 v3, v4, v29
	v_cvt_f32_f16_e32 v20, v20
	v_fma_f32 v4, -v27, v3, v28
	v_div_fmas_f32 v3, v4, v29, v3
	v_div_fixup_f32 v3, v3, v30, 1.0
	v_mul_f32_e32 v4, v3, v21
	v_mul_f32_e32 v5, v3, v20
	v_rndne_f32_e32 v4, v4
	v_mul_f32_e32 v16, v3, v22
	v_rndne_f32_e32 v5, v5
	v_cmp_nlt_f32_e32 vcc, s21, v4
	v_mul_f32_e32 v3, v3, v23
	v_rndne_f32_e32 v16, v16
	v_cndmask_b32_e32 v17, v12, v4, vcc
	v_cmp_nlt_f32_e32 vcc, s21, v5
	v_rndne_f32_e32 v3, v3
	v_cndmask_b32_e32 v20, v12, v5, vcc
	v_cmp_nlt_f32_e32 vcc, s21, v16
	v_cndmask_b32_e32 v21, v12, v16, vcc
	v_cmp_nlt_f32_e32 vcc, s21, v3
	v_cndmask_b32_e32 v22, v12, v3, vcc
	v_cmp_ngt_f32_e32 vcc, s22, v4
	v_cndmask_b32_e32 v4, v13, v17, vcc
	v_cmp_ngt_f32_e32 vcc, s22, v5
	;; [unrolled: 2-line block ×4, first 2 shown]
	v_cvt_i32_f32_e32 v16, v16
	v_cndmask_b32_e32 v3, v13, v22, vcc
	v_cvt_i32_f32_e32 v5, v5
	v_cvt_i32_f32_e32 v4, v4
	;; [unrolled: 1-line block ×3, first 2 shown]
	v_and_b32_e32 v16, 0xff, v16
	v_lshlrev_b32_e32 v16, 16, v16
	v_lshlrev_b32_sdwa v5, v15, v5 dst_sel:DWORD dst_unused:UNUSED_PAD src0_sel:DWORD src1_sel:BYTE_0
	v_and_b32_e32 v4, 0xff, v4
	v_lshl_or_b32 v3, v3, 24, v16
	v_or3_b32 v3, v3, v5, v4
	v_cmp_gt_u32_e32 vcc, s12, v2
	global_store_dword v[18:19], v3, off
	s_and_saveexec_b64 s[4:5], vcc
	s_cbranch_execz .LBB56_62
; %bb.64:                               ;   in Loop: Header=BB56_63 Depth=1
	v_mov_b32_e32 v3, v1
	v_lshlrev_b64 v[4:5], 3, v[2:3]
	v_mov_b32_e32 v17, s44
	v_add_co_u32_e32 v16, vcc, s33, v4
	v_addc_co_u32_e32 v17, vcc, v17, v5, vcc
	v_mov_b32_e32 v19, s46
	v_add_co_u32_e32 v18, vcc, s45, v4
	v_bfe_u32 v25, v2, 4, 26
	v_addc_co_u32_e32 v19, vcc, v19, v5, vcc
	global_load_dwordx2 v[20:21], v[16:17], off
	global_load_dwordx2 v[22:23], v[18:19], off
	v_mad_u64_u32 v[16:17], s[6:7], v6, v25, 0
	v_mov_b32_e32 v24, v17
	v_mad_u64_u32 v[24:25], s[6:7], v7, v25, v[24:25]
	v_mov_b32_e32 v17, v24
	v_lshlrev_b64 v[16:17], 2, v[16:17]
	v_mov_b32_e32 v24, s18
	v_add_co_u32_e32 v16, vcc, s17, v16
	v_addc_co_u32_e32 v17, vcc, v24, v17, vcc
	global_load_dword v28, v[16:17], off
	v_mov_b32_e32 v16, s15
	v_add_co_u32_e32 v4, vcc, s14, v4
	v_addc_co_u32_e32 v5, vcc, v16, v5, vcc
	global_load_dwordx2 v[4:5], v[4:5], off
	s_mov_b64 s[8:9], -1
	s_waitcnt vmcnt(3)
	v_cvt_f32_f16_e32 v16, v21
	v_cvt_f32_f16_sdwa v17, v21 dst_sel:DWORD dst_unused:UNUSED_PAD src0_sel:WORD_1
	v_cvt_f32_f16_e32 v24, v20
	v_cvt_f32_f16_sdwa v25, v20 dst_sel:DWORD dst_unused:UNUSED_PAD src0_sel:WORD_1
	s_waitcnt vmcnt(2)
	v_cvt_f32_f16_e32 v20, v23
	v_cvt_f32_f16_sdwa v21, v23 dst_sel:DWORD dst_unused:UNUSED_PAD src0_sel:WORD_1
	v_cvt_f32_f16_e32 v26, v22
	v_cvt_f32_f16_sdwa v27, v22 dst_sel:DWORD dst_unused:UNUSED_PAD src0_sel:WORD_1
	v_pk_add_f32 v[16:17], v[16:17], v[20:21]
	v_pk_add_f32 v[22:23], v[24:25], v[26:27]
	v_cvt_f16_f32_e32 v24, v17
	v_cvt_f16_f32_e32 v25, v16
	s_waitcnt vmcnt(1)
	v_div_scale_f32 v20, s[6:7], v28, v28, 1.0
	v_rcp_f32_e32 v29, v20
	v_cvt_f16_f32_e32 v26, v23
	v_cvt_f16_f32_e32 v27, v22
	v_fma_mixlo_f16 v16, v36, v16, 0
	v_fma_mixlo_f16 v17, v36, v17, 0
	;; [unrolled: 1-line block ×4, first 2 shown]
	s_waitcnt vmcnt(0)
	v_mul_f16_e32 v16, v5, v16
	v_mul_f16_sdwa v5, v5, v17 dst_sel:DWORD dst_unused:UNUSED_PAD src0_sel:WORD_1 src1_sel:DWORD
	v_mul_f16_e32 v22, v4, v22
	v_mul_f16_sdwa v4, v4, v23 dst_sel:DWORD dst_unused:UNUSED_PAD src0_sel:WORD_1 src1_sel:DWORD
	v_cvt_f32_f16_e32 v23, v5
	v_pack_b32_f16 v5, v25, v24
	v_fma_f32 v24, -v20, v29, 1.0
	v_div_scale_f32 v21, vcc, 1.0, v28, 1.0
	v_cvt_f32_f16_e32 v17, v22
	v_cvt_f32_f16_e32 v22, v4
	v_pack_b32_f16 v4, v27, v26
	v_fmac_f32_e32 v29, v24, v29
	global_store_dwordx2 v[18:19], v[4:5], off
	v_mul_f32_e32 v4, v21, v29
	v_fma_f32 v5, -v20, v4, v21
	v_fmac_f32_e32 v4, v5, v29
	v_fma_f32 v5, -v20, v4, v21
	v_cvt_f32_f16_e32 v16, v16
	v_div_fmas_f32 v4, v5, v29, v4
	v_div_fixup_f32 v4, v4, v28, 1.0
	v_mul_f32_e32 v5, v4, v17
	v_mul_f32_e32 v17, v4, v22
	v_rndne_f32_e32 v5, v5
	v_mul_f32_e32 v16, v4, v16
	v_rndne_f32_e32 v17, v17
	v_cmp_nlt_f32_e32 vcc, s21, v5
	v_mul_f32_e32 v4, v4, v23
	v_rndne_f32_e32 v16, v16
	v_cndmask_b32_e32 v18, v12, v5, vcc
	v_cmp_nlt_f32_e32 vcc, s21, v17
	v_rndne_f32_e32 v4, v4
	v_cndmask_b32_e32 v19, v12, v17, vcc
	v_cmp_nlt_f32_e32 vcc, s21, v16
	v_cndmask_b32_e32 v20, v12, v16, vcc
	v_cmp_nlt_f32_e32 vcc, s21, v4
	v_cndmask_b32_e32 v21, v12, v4, vcc
	v_cmp_ngt_f32_e32 vcc, s22, v5
	v_cndmask_b32_e32 v5, v13, v18, vcc
	v_cmp_ngt_f32_e32 vcc, s22, v17
	;; [unrolled: 2-line block ×4, first 2 shown]
	v_cvt_i32_f32_e32 v16, v16
	v_cndmask_b32_e32 v4, v13, v21, vcc
	v_cvt_i32_f32_e32 v18, v5
	v_cvt_i32_f32_e32 v17, v17
	;; [unrolled: 1-line block ×3, first 2 shown]
	v_lshlrev_b64 v[4:5], 2, v[2:3]
	v_mov_b32_e32 v3, s16
	v_add_co_u32_e32 v4, vcc, s13, v4
	v_addc_co_u32_e32 v5, vcc, v3, v5, vcc
	v_and_b32_e32 v3, 0xff, v16
	v_lshlrev_b32_e32 v3, 16, v3
	v_lshl_or_b32 v3, v19, 24, v3
	v_lshlrev_b32_sdwa v16, v15, v17 dst_sel:DWORD dst_unused:UNUSED_PAD src0_sel:DWORD src1_sel:BYTE_0
	v_and_b32_e32 v17, 0xff, v18
	v_or3_b32 v3, v3, v16, v17
	global_store_dword v[4:5], v3, off
	v_add_u32_e32 v4, s20, v0
	v_cmp_gt_u32_e32 vcc, s12, v4
	s_and_saveexec_b64 s[6:7], vcc
	s_cbranch_execz .LBB56_61
; %bb.65:                               ;   in Loop: Header=BB56_63 Depth=1
	v_mov_b32_e32 v5, v1
	v_lshlrev_b64 v[16:17], 3, v[4:5]
	v_mov_b32_e32 v3, s44
	v_add_co_u32_e32 v18, vcc, s33, v16
	v_addc_co_u32_e32 v19, vcc, v3, v17, vcc
	v_mov_b32_e32 v3, s46
	v_add_co_u32_e32 v20, vcc, s45, v16
	v_addc_co_u32_e32 v21, vcc, v3, v17, vcc
	v_bfe_u32 v3, v4, 4, 26
	global_load_dwordx2 v[22:23], v[18:19], off
	global_load_dwordx2 v[24:25], v[20:21], off
	v_mad_u64_u32 v[18:19], s[8:9], v6, v3, 0
	v_mov_b32_e32 v26, v19
	v_mad_u64_u32 v[26:27], s[8:9], v7, v3, v[26:27]
	v_mov_b32_e32 v19, v26
	v_lshlrev_b64 v[18:19], 2, v[18:19]
	v_mov_b32_e32 v3, s18
	v_add_co_u32_e32 v18, vcc, s17, v18
	v_addc_co_u32_e32 v19, vcc, v3, v19, vcc
	global_load_dword v3, v[18:19], off
	v_mov_b32_e32 v18, s15
	v_add_co_u32_e32 v16, vcc, s14, v16
	v_addc_co_u32_e32 v17, vcc, v18, v17, vcc
	global_load_dwordx2 v[16:17], v[16:17], off
	v_lshlrev_b64 v[4:5], 2, v[4:5]
	v_add_u32_e32 v0, s19, v0
	s_mov_b64 s[10:11], -1
	s_waitcnt vmcnt(3)
	v_cvt_f32_f16_e32 v18, v23
	v_cvt_f32_f16_sdwa v19, v23 dst_sel:DWORD dst_unused:UNUSED_PAD src0_sel:WORD_1
	v_cvt_f32_f16_e32 v26, v22
	v_cvt_f32_f16_sdwa v27, v22 dst_sel:DWORD dst_unused:UNUSED_PAD src0_sel:WORD_1
	s_waitcnt vmcnt(2)
	v_cvt_f32_f16_e32 v22, v25
	v_cvt_f32_f16_sdwa v23, v25 dst_sel:DWORD dst_unused:UNUSED_PAD src0_sel:WORD_1
	v_cvt_f32_f16_e32 v28, v24
	v_cvt_f32_f16_sdwa v29, v24 dst_sel:DWORD dst_unused:UNUSED_PAD src0_sel:WORD_1
	v_pk_add_f32 v[18:19], v[18:19], v[22:23]
	v_pk_add_f32 v[24:25], v[26:27], v[28:29]
	v_cvt_f16_f32_e32 v26, v19
	v_cvt_f16_f32_e32 v27, v18
	s_waitcnt vmcnt(1)
	v_div_scale_f32 v22, s[8:9], v3, v3, 1.0
	v_rcp_f32_e32 v30, v22
	v_cvt_f16_f32_e32 v28, v25
	v_cvt_f16_f32_e32 v29, v24
	v_fma_mixlo_f16 v18, v36, v18, 0
	v_fma_mixlo_f16 v19, v36, v19, 0
	;; [unrolled: 1-line block ×4, first 2 shown]
	s_waitcnt vmcnt(0)
	v_mul_f16_e32 v18, v17, v18
	v_mul_f16_sdwa v17, v17, v19 dst_sel:DWORD dst_unused:UNUSED_PAD src0_sel:WORD_1 src1_sel:DWORD
	v_mul_f16_e32 v24, v16, v24
	v_mul_f16_sdwa v16, v16, v25 dst_sel:DWORD dst_unused:UNUSED_PAD src0_sel:WORD_1 src1_sel:DWORD
	v_cvt_f32_f16_e32 v25, v17
	v_pack_b32_f16 v17, v27, v26
	v_fma_f32 v26, -v22, v30, 1.0
	v_div_scale_f32 v23, vcc, 1.0, v3, 1.0
	v_cvt_f32_f16_e32 v19, v24
	v_cvt_f32_f16_e32 v24, v16
	v_pack_b32_f16 v16, v29, v28
	v_fmac_f32_e32 v30, v26, v30
	global_store_dwordx2 v[20:21], v[16:17], off
	v_mul_f32_e32 v16, v23, v30
	v_fma_f32 v17, -v22, v16, v23
	v_fmac_f32_e32 v16, v17, v30
	v_fma_f32 v17, -v22, v16, v23
	v_cvt_f32_f16_e32 v18, v18
	v_div_fmas_f32 v16, v17, v30, v16
	v_div_fixup_f32 v3, v16, v3, 1.0
	v_mul_f32_e32 v16, v3, v19
	v_mul_f32_e32 v17, v3, v24
	v_rndne_f32_e32 v16, v16
	v_mul_f32_e32 v18, v3, v18
	v_rndne_f32_e32 v17, v17
	v_cmp_nlt_f32_e32 vcc, s21, v16
	v_mul_f32_e32 v3, v3, v25
	v_rndne_f32_e32 v18, v18
	v_cndmask_b32_e32 v19, v12, v16, vcc
	v_cmp_nlt_f32_e32 vcc, s21, v17
	v_rndne_f32_e32 v3, v3
	v_cndmask_b32_e32 v20, v12, v17, vcc
	v_cmp_nlt_f32_e32 vcc, s21, v18
	v_cndmask_b32_e32 v21, v12, v18, vcc
	v_cmp_nlt_f32_e32 vcc, s21, v3
	v_cndmask_b32_e32 v22, v12, v3, vcc
	v_cmp_ngt_f32_e32 vcc, s22, v16
	v_cndmask_b32_e32 v16, v13, v19, vcc
	v_cmp_ngt_f32_e32 vcc, s22, v17
	v_cndmask_b32_e32 v17, v13, v20, vcc
	v_cmp_ngt_f32_e32 vcc, s22, v18
	v_cndmask_b32_e32 v18, v13, v21, vcc
	v_cmp_ngt_f32_e32 vcc, s22, v3
	v_cvt_i32_f32_e32 v18, v18
	v_cndmask_b32_e32 v3, v13, v22, vcc
	v_cvt_i32_f32_e32 v16, v16
	v_cvt_i32_f32_e32 v17, v17
	v_cvt_i32_f32_e32 v3, v3
	v_and_b32_e32 v18, 0xff, v18
	v_mov_b32_e32 v19, s16
	v_add_co_u32_e32 v4, vcc, s13, v4
	v_lshlrev_b32_e32 v18, 16, v18
	v_addc_co_u32_e32 v5, vcc, v19, v5, vcc
	v_lshl_or_b32 v3, v3, 24, v18
	v_lshlrev_b32_sdwa v17, v15, v17 dst_sel:DWORD dst_unused:UNUSED_PAD src0_sel:DWORD src1_sel:BYTE_0
	v_and_b32_e32 v16, 0xff, v16
	v_or3_b32 v3, v3, v17, v16
	v_cmp_gt_u32_e32 vcc, s12, v0
	global_store_dword v[4:5], v3, off
	s_and_saveexec_b64 s[8:9], vcc
	s_cbranch_execz .LBB56_60
; %bb.66:                               ;   in Loop: Header=BB56_63 Depth=1
	v_lshlrev_b64 v[16:17], 3, v[0:1]
	v_mov_b32_e32 v3, s44
	v_add_co_u32_e32 v4, vcc, s33, v16
	v_addc_co_u32_e32 v5, vcc, v3, v17, vcc
	v_mov_b32_e32 v3, s46
	global_load_dwordx2 v[18:19], v[4:5], off
	v_add_co_u32_e32 v4, vcc, s45, v16
	v_addc_co_u32_e32 v5, vcc, v3, v17, vcc
	v_bfe_u32 v3, v0, 4, 26
	v_mad_u64_u32 v[22:23], s[10:11], v6, v3, 0
	v_mov_b32_e32 v24, v23
	v_mad_u64_u32 v[24:25], s[10:11], v7, v3, v[24:25]
	global_load_dwordx2 v[20:21], v[4:5], off
	v_mov_b32_e32 v23, v24
	v_lshlrev_b64 v[22:23], 2, v[22:23]
	v_mov_b32_e32 v3, s18
	v_add_co_u32_e32 v22, vcc, s17, v22
	v_addc_co_u32_e32 v23, vcc, v3, v23, vcc
	global_load_dword v3, v[22:23], off
	v_mov_b32_e32 v22, s15
	v_add_co_u32_e32 v16, vcc, s14, v16
	v_addc_co_u32_e32 v17, vcc, v22, v17, vcc
	global_load_dwordx2 v[16:17], v[16:17], off
	s_waitcnt vmcnt(3)
	v_cvt_f32_f16_e32 v22, v19
	v_cvt_f32_f16_sdwa v23, v19 dst_sel:DWORD dst_unused:UNUSED_PAD src0_sel:WORD_1
	v_cvt_f32_f16_e32 v24, v18
	v_cvt_f32_f16_sdwa v25, v18 dst_sel:DWORD dst_unused:UNUSED_PAD src0_sel:WORD_1
	s_waitcnt vmcnt(2)
	v_cvt_f32_f16_e32 v18, v21
	v_cvt_f32_f16_e32 v26, v20
	v_cvt_f32_f16_sdwa v27, v20 dst_sel:DWORD dst_unused:UNUSED_PAD src0_sel:WORD_1
	v_cvt_f32_f16_sdwa v19, v21 dst_sel:DWORD dst_unused:UNUSED_PAD src0_sel:WORD_1
	v_lshlrev_b64 v[20:21], 2, v[0:1]
	v_pk_add_f32 v[24:25], v[24:25], v[26:27]
	v_pk_add_f32 v[18:19], v[22:23], v[18:19]
	s_waitcnt vmcnt(1)
	v_div_scale_f32 v27, s[10:11], v3, v3, 1.0
	v_cvt_f16_f32_e32 v0, v19
	v_cvt_f16_f32_e32 v22, v18
	v_rcp_f32_e32 v29, v27
	v_cvt_f16_f32_e32 v23, v25
	v_cvt_f16_f32_e32 v26, v24
	v_fma_mixlo_f16 v18, v36, v18, 0
	v_fma_mixlo_f16 v19, v36, v19, 0
	;; [unrolled: 1-line block ×4, first 2 shown]
	s_waitcnt vmcnt(0)
	v_mul_f16_e32 v18, v17, v18
	v_mul_f16_sdwa v17, v17, v19 dst_sel:DWORD dst_unused:UNUSED_PAD src0_sel:WORD_1 src1_sel:DWORD
	v_mul_f16_e32 v24, v16, v24
	v_mul_f16_sdwa v16, v16, v25 dst_sel:DWORD dst_unused:UNUSED_PAD src0_sel:WORD_1 src1_sel:DWORD
	v_cvt_f32_f16_e32 v25, v17
	v_pack_b32_f16 v17, v22, v0
	v_fma_f32 v0, -v27, v29, 1.0
	v_div_scale_f32 v28, vcc, 1.0, v3, 1.0
	v_fmac_f32_e32 v29, v0, v29
	v_cvt_f32_f16_e32 v19, v24
	v_cvt_f32_f16_e32 v24, v16
	v_pack_b32_f16 v16, v26, v23
	v_mul_f32_e32 v0, v28, v29
	global_store_dwordx2 v[4:5], v[16:17], off
	v_fma_f32 v4, -v27, v0, v28
	v_fmac_f32_e32 v0, v4, v29
	v_fma_f32 v4, -v27, v0, v28
	v_cvt_f32_f16_e32 v18, v18
	v_div_fmas_f32 v0, v4, v29, v0
	v_div_fixup_f32 v0, v0, v3, 1.0
	v_mul_f32_e32 v3, v0, v19
	v_mul_f32_e32 v4, v0, v24
	v_rndne_f32_e32 v3, v3
	v_mul_f32_e32 v5, v0, v18
	v_rndne_f32_e32 v4, v4
	v_cmp_nlt_f32_e32 vcc, s21, v3
	v_mul_f32_e32 v0, v0, v25
	v_rndne_f32_e32 v5, v5
	v_cndmask_b32_e32 v16, v12, v3, vcc
	v_cmp_nlt_f32_e32 vcc, s21, v4
	v_rndne_f32_e32 v0, v0
	v_cndmask_b32_e32 v17, v12, v4, vcc
	v_cmp_nlt_f32_e32 vcc, s21, v5
	v_cndmask_b32_e32 v18, v12, v5, vcc
	v_cmp_nlt_f32_e32 vcc, s21, v0
	v_cndmask_b32_e32 v19, v12, v0, vcc
	v_cmp_ngt_f32_e32 vcc, s22, v3
	v_cndmask_b32_e32 v3, v13, v16, vcc
	v_cmp_ngt_f32_e32 vcc, s22, v4
	;; [unrolled: 2-line block ×4, first 2 shown]
	v_cvt_i32_f32_e32 v17, v5
	v_cndmask_b32_e32 v0, v13, v19, vcc
	v_cvt_i32_f32_e32 v3, v3
	v_cvt_i32_f32_e32 v16, v4
	;; [unrolled: 1-line block ×3, first 2 shown]
	v_and_b32_e32 v17, 0xff, v17
	v_lshlrev_b32_e32 v17, 16, v17
	v_mov_b32_e32 v5, s16
	v_add_co_u32_e32 v4, vcc, s13, v20
	v_lshl_or_b32 v0, v0, 24, v17
	v_lshlrev_b32_sdwa v16, v15, v16 dst_sel:DWORD dst_unused:UNUSED_PAD src0_sel:DWORD src1_sel:BYTE_0
	v_and_b32_e32 v3, 0xff, v3
	s_add_i32 s10, s47, s47
	v_addc_co_u32_e32 v5, vcc, v5, v21, vcc
	v_or3_b32 v0, v0, v16, v3
	s_add_i32 s10, s10, s47
	global_store_dword v[4:5], v0, off
	v_add_u32_e32 v0, s10, v2
	v_cmp_le_u32_e32 vcc, s12, v0
	s_orn2_b64 s[10:11], vcc, exec
	s_branch .LBB56_60
.LBB56_67:
	s_endpgm
.LBB56_68:
                                        ; implicit-def: $vgpr4_vgpr5
	s_andn2_b64 vcc, exec, s[24:25]
	s_cbranch_vccz .LBB56_53
	s_branch .LBB56_54
.LBB56_69:
                                        ; implicit-def: $vgpr2_vgpr3
	s_andn2_b64 vcc, exec, s[20:21]
	s_cbranch_vccz .LBB56_58
	s_branch .LBB56_59
	.section	.rodata,"a",@progbits
	.p2align	6, 0x0
	.amdhsa_kernel _ZN4vllm31rms_norm_per_block_quant_kernelIN3c104HalfEaLb1ELb1ELi64EEEvPT0_PfPKT_S8_PKffiiPS6_l
		.amdhsa_group_segment_fixed_size 4164
		.amdhsa_private_segment_fixed_size 0
		.amdhsa_kernarg_size 328
		.amdhsa_user_sgpr_count 6
		.amdhsa_user_sgpr_private_segment_buffer 1
		.amdhsa_user_sgpr_dispatch_ptr 0
		.amdhsa_user_sgpr_queue_ptr 0
		.amdhsa_user_sgpr_kernarg_segment_ptr 1
		.amdhsa_user_sgpr_dispatch_id 0
		.amdhsa_user_sgpr_flat_scratch_init 0
		.amdhsa_user_sgpr_kernarg_preload_length 0
		.amdhsa_user_sgpr_kernarg_preload_offset 0
		.amdhsa_user_sgpr_private_segment_size 0
		.amdhsa_uses_dynamic_stack 0
		.amdhsa_system_sgpr_private_segment_wavefront_offset 0
		.amdhsa_system_sgpr_workgroup_id_x 1
		.amdhsa_system_sgpr_workgroup_id_y 0
		.amdhsa_system_sgpr_workgroup_id_z 0
		.amdhsa_system_sgpr_workgroup_info 0
		.amdhsa_system_vgpr_workitem_id 0
		.amdhsa_next_free_vgpr 40
		.amdhsa_next_free_sgpr 49
		.amdhsa_accum_offset 40
		.amdhsa_reserve_vcc 1
		.amdhsa_reserve_flat_scratch 0
		.amdhsa_float_round_mode_32 0
		.amdhsa_float_round_mode_16_64 0
		.amdhsa_float_denorm_mode_32 3
		.amdhsa_float_denorm_mode_16_64 3
		.amdhsa_dx10_clamp 1
		.amdhsa_ieee_mode 1
		.amdhsa_fp16_overflow 0
		.amdhsa_tg_split 0
		.amdhsa_exception_fp_ieee_invalid_op 0
		.amdhsa_exception_fp_denorm_src 0
		.amdhsa_exception_fp_ieee_div_zero 0
		.amdhsa_exception_fp_ieee_overflow 0
		.amdhsa_exception_fp_ieee_underflow 0
		.amdhsa_exception_fp_ieee_inexact 0
		.amdhsa_exception_int_div_zero 0
	.end_amdhsa_kernel
	.section	.text._ZN4vllm31rms_norm_per_block_quant_kernelIN3c104HalfEaLb1ELb1ELi64EEEvPT0_PfPKT_S8_PKffiiPS6_l,"axG",@progbits,_ZN4vllm31rms_norm_per_block_quant_kernelIN3c104HalfEaLb1ELb1ELi64EEEvPT0_PfPKT_S8_PKffiiPS6_l,comdat
.Lfunc_end56:
	.size	_ZN4vllm31rms_norm_per_block_quant_kernelIN3c104HalfEaLb1ELb1ELi64EEEvPT0_PfPKT_S8_PKffiiPS6_l, .Lfunc_end56-_ZN4vllm31rms_norm_per_block_quant_kernelIN3c104HalfEaLb1ELb1ELi64EEEvPT0_PfPKT_S8_PKffiiPS6_l
                                        ; -- End function
	.section	.AMDGPU.csdata,"",@progbits
; Kernel info:
; codeLenInByte = 8764
; NumSgprs: 53
; NumVgprs: 40
; NumAgprs: 0
; TotalNumVgprs: 40
; ScratchSize: 0
; MemoryBound: 0
; FloatMode: 240
; IeeeMode: 1
; LDSByteSize: 4164 bytes/workgroup (compile time only)
; SGPRBlocks: 6
; VGPRBlocks: 4
; NumSGPRsForWavesPerEU: 53
; NumVGPRsForWavesPerEU: 40
; AccumOffset: 40
; Occupancy: 8
; WaveLimiterHint : 0
; COMPUTE_PGM_RSRC2:SCRATCH_EN: 0
; COMPUTE_PGM_RSRC2:USER_SGPR: 6
; COMPUTE_PGM_RSRC2:TRAP_HANDLER: 0
; COMPUTE_PGM_RSRC2:TGID_X_EN: 1
; COMPUTE_PGM_RSRC2:TGID_Y_EN: 0
; COMPUTE_PGM_RSRC2:TGID_Z_EN: 0
; COMPUTE_PGM_RSRC2:TIDIG_COMP_CNT: 0
; COMPUTE_PGM_RSRC3_GFX90A:ACCUM_OFFSET: 9
; COMPUTE_PGM_RSRC3_GFX90A:TG_SPLIT: 0
	.section	.text._ZN4vllm31rms_norm_per_block_quant_kernelIN3c104HalfENS1_13Float8_e4m3fnELb1ELb0ELi64EEEvPT0_PfPKT_S9_PKffiiPS7_l,"axG",@progbits,_ZN4vllm31rms_norm_per_block_quant_kernelIN3c104HalfENS1_13Float8_e4m3fnELb1ELb0ELi64EEEvPT0_PfPKT_S9_PKffiiPS7_l,comdat
	.protected	_ZN4vllm31rms_norm_per_block_quant_kernelIN3c104HalfENS1_13Float8_e4m3fnELb1ELb0ELi64EEEvPT0_PfPKT_S9_PKffiiPS7_l ; -- Begin function _ZN4vllm31rms_norm_per_block_quant_kernelIN3c104HalfENS1_13Float8_e4m3fnELb1ELb0ELi64EEEvPT0_PfPKT_S9_PKffiiPS7_l
	.globl	_ZN4vllm31rms_norm_per_block_quant_kernelIN3c104HalfENS1_13Float8_e4m3fnELb1ELb0ELi64EEEvPT0_PfPKT_S9_PKffiiPS7_l
	.p2align	8
	.type	_ZN4vllm31rms_norm_per_block_quant_kernelIN3c104HalfENS1_13Float8_e4m3fnELb1ELb0ELi64EEEvPT0_PfPKT_S9_PKffiiPS7_l,@function
_ZN4vllm31rms_norm_per_block_quant_kernelIN3c104HalfENS1_13Float8_e4m3fnELb1ELb0ELi64EEEvPT0_PfPKT_S9_PKffiiPS7_l: ; @_ZN4vllm31rms_norm_per_block_quant_kernelIN3c104HalfENS1_13Float8_e4m3fnELb1ELb0ELi64EEEvPT0_PfPKT_S9_PKffiiPS7_l
; %bb.0:
	s_load_dwordx4 s[16:19], s[4:5], 0x28
	s_load_dwordx8 s[8:15], s[4:5], 0x0
	s_load_dwordx2 s[0:1], s[4:5], 0x38
	v_mov_b32_e32 v1, 0
	s_waitcnt lgkmcnt(0)
	s_ashr_i32 s2, s18, 31
	s_mul_hi_u32 s3, s18, s6
	s_mul_i32 s2, s2, s6
	s_ashr_i32 s21, s17, 31
	s_add_i32 s3, s3, s2
	s_mul_i32 s2, s18, s6
	s_mul_hi_u32 s7, s17, s6
	s_mul_i32 s18, s21, s6
	s_add_i32 s19, s7, s18
	s_lshl_b64 s[2:3], s[2:3], 1
	s_mul_i32 s18, s17, s6
	s_add_u32 s33, s12, s2
	s_addc_u32 s44, s13, s3
	s_lshl_b64 s[2:3], s[18:19], 1
	s_add_u32 s45, s0, s2
	s_addc_u32 s46, s1, s3
	s_ashr_i32 s12, s17, 2
	s_add_u32 s2, s4, 0x48
	s_mov_b32 s20, s17
	v_cmp_gt_u32_e64 s[0:1], s12, v0
	s_addc_u32 s3, s5, 0
	s_and_saveexec_b64 s[22:23], s[0:1]
	s_cbranch_execz .LBB57_10
; %bb.1:
	s_load_dword s7, s[2:3], 0x0
	v_mov_b32_e32 v3, 0
	v_mov_b32_e32 v9, s44
	v_mov_b32_e32 v10, s46
	v_mov_b32_e32 v2, v0
	s_waitcnt lgkmcnt(0)
	s_cmp_lt_u32 s6, s7
	s_cselect_b32 s7, 12, 18
	s_add_u32 s24, s2, s7
	s_addc_u32 s25, s3, 0
	global_load_ushort v8, v3, s[24:25]
	s_mov_b64 s[24:25], 0
	v_mov_b32_e32 v1, v3
                                        ; implicit-def: $sgpr26_sgpr27
	s_waitcnt vmcnt(0)
	v_mul_lo_u32 v11, v8, 3
	v_lshlrev_b32_e32 v12, 1, v8
	s_branch .LBB57_5
.LBB57_2:                               ;   in Loop: Header=BB57_5 Depth=1
	s_or_b64 exec, exec, s[34:35]
	s_orn2_b64 s[34:35], s[36:37], exec
.LBB57_3:                               ;   in Loop: Header=BB57_5 Depth=1
	s_or_b64 exec, exec, s[30:31]
	s_andn2_b64 s[26:27], s[26:27], exec
	s_and_b64 s[30:31], s[34:35], exec
	s_or_b64 s[26:27], s[26:27], s[30:31]
.LBB57_4:                               ;   in Loop: Header=BB57_5 Depth=1
	s_or_b64 exec, exec, s[28:29]
	s_and_b64 s[28:29], exec, s[26:27]
	s_or_b64 s[24:25], s[28:29], s[24:25]
	s_andn2_b64 exec, exec, s[24:25]
	s_cbranch_execz .LBB57_9
.LBB57_5:                               ; =>This Inner Loop Header: Depth=1
	v_lshlrev_b64 v[4:5], 3, v[2:3]
	v_add_co_u32_e32 v6, vcc, s33, v4
	v_addc_co_u32_e32 v7, vcc, v9, v5, vcc
	v_add_co_u32_e32 v4, vcc, s45, v4
	v_addc_co_u32_e32 v5, vcc, v10, v5, vcc
	global_load_dwordx2 v[6:7], v[6:7], off
	s_or_b64 s[26:27], s[26:27], exec
	global_load_dwordx2 v[4:5], v[4:5], off
	s_waitcnt vmcnt(1)
	v_cvt_f32_f16_e32 v14, v6
	v_cvt_f32_f16_sdwa v15, v6 dst_sel:DWORD dst_unused:UNUSED_PAD src0_sel:WORD_1
	s_waitcnt vmcnt(0)
	v_cvt_f32_f16_e32 v16, v4
	v_cvt_f32_f16_sdwa v17, v4 dst_sel:DWORD dst_unused:UNUSED_PAD src0_sel:WORD_1
	v_cvt_f32_f16_e32 v6, v7
	v_cvt_f32_f16_sdwa v7, v7 dst_sel:DWORD dst_unused:UNUSED_PAD src0_sel:WORD_1
	v_cvt_f32_f16_e32 v18, v5
	v_cvt_f32_f16_sdwa v19, v5 dst_sel:DWORD dst_unused:UNUSED_PAD src0_sel:WORD_1
	v_pk_add_f32 v[14:15], v[14:15], v[16:17]
	v_pk_mul_f32 v[14:15], v[14:15], v[14:15]
	v_add_f32_e32 v1, v1, v14
	v_pk_add_f32 v[6:7], v[6:7], v[18:19]
	v_pk_mul_f32 v[6:7], v[6:7], v[6:7]
	v_add_f32_e32 v1, v1, v15
	v_add_u32_e32 v4, v2, v8
	v_add_f32_e32 v1, v1, v6
	v_cmp_gt_u32_e32 vcc, s12, v4
	v_add_f32_e32 v1, v1, v7
	s_and_saveexec_b64 s[28:29], vcc
	s_cbranch_execz .LBB57_4
; %bb.6:                                ;   in Loop: Header=BB57_5 Depth=1
	v_mov_b32_e32 v5, v3
	v_lshlrev_b64 v[6:7], 3, v[4:5]
	v_add_co_u32_e32 v14, vcc, s33, v6
	v_addc_co_u32_e32 v15, vcc, v9, v7, vcc
	v_add_co_u32_e32 v6, vcc, s45, v6
	v_addc_co_u32_e32 v7, vcc, v10, v7, vcc
	global_load_dwordx2 v[14:15], v[14:15], off
	s_mov_b64 s[34:35], -1
	global_load_dwordx2 v[6:7], v[6:7], off
	s_waitcnt vmcnt(1)
	v_cvt_f32_f16_e32 v16, v14
	v_cvt_f32_f16_sdwa v17, v14 dst_sel:DWORD dst_unused:UNUSED_PAD src0_sel:WORD_1
	s_waitcnt vmcnt(0)
	v_cvt_f32_f16_e32 v18, v6
	v_cvt_f32_f16_sdwa v19, v6 dst_sel:DWORD dst_unused:UNUSED_PAD src0_sel:WORD_1
	v_cvt_f32_f16_e32 v14, v15
	v_cvt_f32_f16_sdwa v15, v15 dst_sel:DWORD dst_unused:UNUSED_PAD src0_sel:WORD_1
	;; [unrolled: 2-line block ×3, first 2 shown]
	v_pk_add_f32 v[16:17], v[16:17], v[18:19]
	v_pk_mul_f32 v[16:17], v[16:17], v[16:17]
	v_add_f32_e32 v1, v1, v16
	v_pk_add_f32 v[14:15], v[14:15], v[20:21]
	v_pk_mul_f32 v[14:15], v[14:15], v[14:15]
	v_add_f32_e32 v1, v1, v17
	v_add_u32_e32 v6, v12, v2
	v_add_f32_e32 v1, v1, v14
	v_cmp_gt_u32_e32 vcc, s12, v6
	v_add_f32_e32 v1, v1, v15
	s_and_saveexec_b64 s[30:31], vcc
	s_cbranch_execz .LBB57_3
; %bb.7:                                ;   in Loop: Header=BB57_5 Depth=1
	v_mov_b32_e32 v7, v3
	v_lshlrev_b64 v[6:7], 3, v[6:7]
	v_mov_b32_e32 v5, s44
	v_add_co_u32_e32 v14, vcc, s33, v6
	v_addc_co_u32_e32 v15, vcc, v5, v7, vcc
	v_mov_b32_e32 v5, s46
	v_add_co_u32_e32 v6, vcc, s45, v6
	v_addc_co_u32_e32 v7, vcc, v5, v7, vcc
	global_load_dwordx2 v[14:15], v[14:15], off
	v_add_u32_e32 v2, v11, v2
	global_load_dwordx2 v[6:7], v[6:7], off
	v_cmp_gt_u32_e32 vcc, s12, v2
	s_mov_b64 s[36:37], -1
	s_waitcnt vmcnt(1)
	v_cvt_f32_f16_e32 v16, v14
	v_cvt_f32_f16_sdwa v17, v14 dst_sel:DWORD dst_unused:UNUSED_PAD src0_sel:WORD_1
	s_waitcnt vmcnt(0)
	v_cvt_f32_f16_e32 v18, v6
	v_cvt_f32_f16_sdwa v19, v6 dst_sel:DWORD dst_unused:UNUSED_PAD src0_sel:WORD_1
	v_cvt_f32_f16_e32 v14, v15
	v_cvt_f32_f16_sdwa v15, v15 dst_sel:DWORD dst_unused:UNUSED_PAD src0_sel:WORD_1
	;; [unrolled: 2-line block ×3, first 2 shown]
	v_pk_add_f32 v[16:17], v[16:17], v[18:19]
	v_pk_add_f32 v[6:7], v[14:15], v[6:7]
	v_pk_mul_f32 v[14:15], v[16:17], v[16:17]
	v_add_f32_e32 v1, v1, v14
	v_pk_mul_f32 v[6:7], v[6:7], v[6:7]
	v_add_f32_e32 v1, v1, v15
	v_add_f32_e32 v1, v1, v6
	;; [unrolled: 1-line block ×3, first 2 shown]
	s_and_saveexec_b64 s[34:35], vcc
	s_xor_b64 s[34:35], exec, s[34:35]
	s_cbranch_execz .LBB57_2
; %bb.8:                                ;   in Loop: Header=BB57_5 Depth=1
	v_lshlrev_b64 v[6:7], 3, v[2:3]
	v_mov_b32_e32 v2, s44
	v_add_co_u32_e32 v14, vcc, s33, v6
	v_addc_co_u32_e32 v15, vcc, v2, v7, vcc
	v_mov_b32_e32 v2, s46
	v_add_co_u32_e32 v6, vcc, s45, v6
	v_addc_co_u32_e32 v7, vcc, v2, v7, vcc
	global_load_dwordx2 v[14:15], v[14:15], off
	v_add_u32_e32 v2, v8, v8
	global_load_dwordx2 v[6:7], v[6:7], off
	v_add_u32_e32 v2, v2, v8
	v_add_u32_e32 v2, v2, v4
	v_cmp_le_u32_e32 vcc, s12, v2
	s_orn2_b64 s[36:37], vcc, exec
	s_waitcnt vmcnt(1)
	v_cvt_f32_f16_e32 v16, v14
	v_cvt_f32_f16_sdwa v17, v14 dst_sel:DWORD dst_unused:UNUSED_PAD src0_sel:WORD_1
	s_waitcnt vmcnt(0)
	v_cvt_f32_f16_e32 v18, v6
	v_cvt_f32_f16_sdwa v19, v6 dst_sel:DWORD dst_unused:UNUSED_PAD src0_sel:WORD_1
	v_cvt_f32_f16_e32 v14, v15
	v_cvt_f32_f16_sdwa v15, v15 dst_sel:DWORD dst_unused:UNUSED_PAD src0_sel:WORD_1
	;; [unrolled: 2-line block ×3, first 2 shown]
	v_pk_add_f32 v[4:5], v[16:17], v[18:19]
	v_pk_mul_f32 v[4:5], v[4:5], v[4:5]
	v_add_f32_e32 v1, v1, v4
	v_pk_add_f32 v[6:7], v[14:15], v[6:7]
	v_pk_mul_f32 v[6:7], v[6:7], v[6:7]
	v_add_f32_e32 v1, v1, v5
	v_add_f32_e32 v1, v1, v6
	;; [unrolled: 1-line block ×3, first 2 shown]
	s_branch .LBB57_2
.LBB57_9:
	s_or_b64 exec, exec, s[24:25]
.LBB57_10:
	s_or_b64 exec, exec, s[22:23]
	v_mbcnt_lo_u32_b32 v2, -1, 0
	v_mbcnt_hi_u32_b32 v2, -1, v2
	v_and_b32_e32 v3, 63, v2
	v_cmp_ne_u32_e32 vcc, 63, v3
	s_load_dword s2, s[2:3], 0xc
	v_addc_co_u32_e32 v4, vcc, 0, v2, vcc
	v_lshlrev_b32_e32 v4, 2, v4
	ds_bpermute_b32 v4, v4, v1
	s_waitcnt lgkmcnt(0)
	s_and_b32 s47, s2, 0xffff
	v_and_b32_e32 v5, 0x3c0, v0
	v_sub_u32_e64 v5, s47, v5 clamp
	v_add_u32_e32 v6, 1, v2
	v_add_f32_e32 v4, v1, v4
	v_cmp_lt_u32_e32 vcc, v6, v5
	v_cndmask_b32_e32 v1, v1, v4, vcc
	v_cmp_gt_u32_e32 vcc, 62, v3
	v_cndmask_b32_e64 v4, 0, 1, vcc
	v_lshlrev_b32_e32 v4, 1, v4
	v_add_lshl_u32 v4, v4, v2, 2
	ds_bpermute_b32 v4, v4, v1
	v_add_u32_e32 v6, 2, v2
	v_cmp_lt_u32_e32 vcc, v6, v5
	v_add_u32_e32 v6, 4, v2
	s_waitcnt lgkmcnt(0)
	v_add_f32_e32 v4, v1, v4
	v_cndmask_b32_e32 v1, v1, v4, vcc
	v_cmp_gt_u32_e32 vcc, 60, v3
	v_cndmask_b32_e64 v4, 0, 1, vcc
	v_lshlrev_b32_e32 v4, 2, v4
	v_add_lshl_u32 v4, v4, v2, 2
	ds_bpermute_b32 v4, v4, v1
	v_cmp_lt_u32_e32 vcc, v6, v5
	v_add_u32_e32 v6, 8, v2
	s_waitcnt lgkmcnt(0)
	v_add_f32_e32 v4, v1, v4
	v_cndmask_b32_e32 v1, v1, v4, vcc
	v_cmp_gt_u32_e32 vcc, 56, v3
	v_cndmask_b32_e64 v4, 0, 1, vcc
	v_lshlrev_b32_e32 v4, 3, v4
	v_add_lshl_u32 v4, v4, v2, 2
	ds_bpermute_b32 v4, v4, v1
	;; [unrolled: 10-line block ×3, first 2 shown]
	v_cmp_lt_u32_e32 vcc, v6, v5
	s_waitcnt lgkmcnt(0)
	v_add_f32_e32 v4, v1, v4
	v_cndmask_b32_e32 v1, v1, v4, vcc
	v_cmp_gt_u32_e32 vcc, 32, v3
	v_cndmask_b32_e64 v3, 0, 1, vcc
	v_lshlrev_b32_e32 v3, 5, v3
	v_add_lshl_u32 v3, v3, v2, 2
	ds_bpermute_b32 v3, v3, v1
	v_add_u32_e32 v4, 32, v2
	v_cmp_lt_u32_e32 vcc, v4, v5
	s_waitcnt lgkmcnt(0)
	v_add_f32_e32 v3, v1, v3
	v_cndmask_b32_e32 v1, v1, v3, vcc
	v_cmp_eq_u32_e32 vcc, 0, v2
	s_and_saveexec_b64 s[2:3], vcc
	s_cbranch_execz .LBB57_12
; %bb.11:
	v_lshrrev_b32_e32 v3, 4, v0
	v_and_b32_e32 v3, 60, v3
	ds_write_b32 v3, v1 offset:4096
.LBB57_12:
	s_or_b64 exec, exec, s[2:3]
	v_cmp_gt_u32_e32 vcc, 16, v0
	s_waitcnt lgkmcnt(0)
	s_barrier
	s_and_saveexec_b64 s[22:23], vcc
	s_cbranch_execz .LBB57_14
; %bb.13:
	v_lshlrev_b32_e32 v1, 2, v2
	ds_read_b32 v1, v1 offset:4096
	v_and_b32_e32 v3, 15, v2
	v_cmp_ne_u32_e32 vcc, 15, v3
	v_addc_co_u32_e32 v4, vcc, 0, v2, vcc
	v_lshlrev_b32_e32 v4, 2, v4
	s_waitcnt lgkmcnt(0)
	ds_bpermute_b32 v4, v4, v1
	s_add_i32 s2, s47, 63
	s_lshr_b32 s7, s2, 6
	v_add_u32_e32 v5, 1, v3
	v_cmp_gt_u32_e64 s[2:3], 14, v3
	v_cmp_gt_u32_e32 vcc, s7, v5
	v_cndmask_b32_e64 v5, 0, 1, s[2:3]
	s_waitcnt lgkmcnt(0)
	v_add_f32_e32 v4, v1, v4
	v_lshlrev_b32_e32 v5, 1, v5
	v_cndmask_b32_e32 v4, v1, v4, vcc
	v_add_lshl_u32 v5, v5, v2, 2
	ds_bpermute_b32 v5, v5, v4
	v_add_u32_e32 v6, 2, v3
	v_cmp_gt_u32_e64 s[2:3], s7, v6
	v_add_u32_e32 v6, 4, v3
	s_waitcnt lgkmcnt(0)
	v_add_f32_e32 v5, v4, v5
	v_cndmask_b32_e64 v4, v4, v5, s[2:3]
	v_cmp_gt_u32_e64 s[2:3], 12, v3
	v_cndmask_b32_e64 v5, 0, 1, s[2:3]
	v_lshlrev_b32_e32 v5, 2, v5
	v_add_lshl_u32 v5, v5, v2, 2
	ds_bpermute_b32 v5, v5, v4
	v_cmp_gt_u32_e64 s[2:3], s7, v6
	s_waitcnt lgkmcnt(0)
	v_add_f32_e32 v5, v4, v5
	v_cndmask_b32_e64 v4, v4, v5, s[2:3]
	v_cmp_gt_u32_e64 s[2:3], 8, v3
	v_cndmask_b32_e64 v5, 0, 1, s[2:3]
	v_lshlrev_b32_e32 v5, 3, v5
	v_add_lshl_u32 v2, v5, v2, 2
	ds_bpermute_b32 v2, v2, v4
	v_add_u32_e32 v3, 8, v3
	v_cmp_gt_u32_e64 s[2:3], s7, v3
	s_waitcnt lgkmcnt(0)
	v_add_f32_e32 v2, v4, v2
	v_cndmask_b32_e64 v2, v4, v2, s[2:3]
	v_cndmask_b32_e32 v1, v1, v2, vcc
.LBB57_14:
	s_or_b64 exec, exec, s[22:23]
	v_cmp_eq_u32_e32 vcc, 0, v0
	s_and_saveexec_b64 s[2:3], vcc
	s_cbranch_execz .LBB57_16
; %bb.15:
	v_cvt_f32_i32_e32 v2, s20
	s_mov_b32 s7, 0x800000
	v_div_scale_f32 v3, s[22:23], v2, v2, v1
	v_rcp_f32_e32 v4, v3
	v_div_scale_f32 v5, vcc, v1, v2, v1
	v_fma_f32 v6, -v3, v4, 1.0
	v_fmac_f32_e32 v4, v6, v4
	v_mul_f32_e32 v6, v5, v4
	v_fma_f32 v7, -v3, v6, v5
	v_fmac_f32_e32 v6, v7, v4
	v_fma_f32 v3, -v3, v6, v5
	v_div_fmas_f32 v3, v3, v4, v6
	v_div_fixup_f32 v1, v3, v2, v1
	v_add_f32_e32 v1, s16, v1
	v_mul_f32_e32 v2, 0x4b800000, v1
	v_cmp_gt_f32_e32 vcc, s7, v1
	v_cndmask_b32_e32 v1, v1, v2, vcc
	v_rsq_f32_e32 v1, v1
	v_mul_f32_e32 v2, 0x45800000, v1
	v_cndmask_b32_e32 v1, v1, v2, vcc
	v_mov_b32_e32 v2, 0
	ds_write_b32 v2, v1 offset:4160
.LBB57_16:
	s_or_b64 exec, exec, s[2:3]
	s_ashr_i32 s2, s20, 31
	s_lshr_b32 s2, s2, 26
	s_add_i32 s2, s20, s2
	s_ashr_i32 s16, s2, 6
	s_abs_i32 s3, s16
	v_cvt_f32_u32_e32 v1, s3
	s_sub_i32 s7, 0, s3
	s_ashr_i32 s2, s2, 31
	v_mov_b32_e32 v5, 0
	v_rcp_iflag_f32_e32 v1, v1
	s_waitcnt lgkmcnt(0)
	s_barrier
	v_mul_f32_e32 v1, 0x4f7ffffe, v1
	v_cvt_u32_f32_e32 v1, v1
	ds_read_b32 v36, v5 offset:4160
	v_readfirstlane_b32 s13, v1
	s_mul_i32 s7, s7, s13
	s_mul_hi_u32 s7, s13, s7
	s_add_i32 s13, s13, s7
	s_mul_hi_u32 s7, s47, s13
	s_mul_i32 s13, s7, s3
	s_sub_i32 s13, s47, s13
	s_add_i32 s17, s7, 1
	s_sub_i32 s22, s13, s3
	s_cmp_ge_u32 s13, s3
	s_cselect_b32 s7, s17, s7
	s_cselect_b32 s13, s22, s13
	s_add_i32 s17, s7, 1
	s_cmp_ge_u32 s13, s3
	s_cselect_b32 s3, s17, s7
	s_xor_b32 s3, s3, s2
	s_sub_i32 s2, s3, s2
	s_abs_i32 s7, s2
	v_cvt_f32_u32_e32 v1, s7
	s_sub_i32 s13, 0, s7
	s_ashr_i32 s3, s2, 31
	v_rcp_iflag_f32_e32 v1, v1
	v_mul_f32_e32 v1, 0x4f7ffffe, v1
	v_cvt_u32_f32_e32 v1, v1
	v_mul_lo_u32 v2, s13, v1
	v_mul_hi_u32 v2, v1, v2
	v_add_u32_e32 v1, v1, v2
	v_mul_hi_u32 v1, v0, v1
	v_mul_lo_u32 v2, v1, s7
	v_sub_u32_e32 v2, v0, v2
	v_add_u32_e32 v3, 1, v1
	v_cmp_le_u32_e32 vcc, s7, v2
	v_cndmask_b32_e32 v1, v1, v3, vcc
	v_subrev_u32_e32 v3, s7, v2
	v_cndmask_b32_e32 v2, v2, v3, vcc
	v_add_u32_e32 v3, 1, v1
	v_cmp_le_u32_e32 vcc, s7, v2
	v_cndmask_b32_e32 v1, v1, v3, vcc
	v_xor_b32_e32 v1, s3, v1
	v_subrev_u32_e32 v2, s3, v1
	v_mul_lo_u32 v1, v2, s2
	v_ashrrev_i32_e32 v3, 31, v2
	v_sub_u32_e32 v4, v0, v1
	v_lshlrev_b64 v[8:9], 4, v[2:3]
	v_add_co_u32_e32 v6, vcc, v8, v4
	v_addc_co_u32_e32 v7, vcc, 0, v9, vcc
	v_add_co_u32_e32 v8, vcc, 16, v8
	v_addc_co_u32_e32 v9, vcc, 0, v9, vcc
	s_ashr_i32 s13, s12, 31
	v_mov_b32_e32 v1, s13
	v_cmp_gt_i64_e32 vcc, s[12:13], v[8:9]
	v_cndmask_b32_e32 v9, v1, v9, vcc
	v_mov_b32_e32 v1, s12
	v_cndmask_b32_e32 v8, v1, v8, vcc
	v_ashrrev_i32_e32 v11, 31, v8
	v_mov_b32_e32 v10, v8
	v_cmp_lt_i64_e32 vcc, v[6:7], v[10:11]
	s_and_saveexec_b64 s[22:23], vcc
	s_cbranch_execz .LBB57_26
; %bb.17:
	v_lshlrev_b64 v[12:13], 7, v[2:3]
	v_lshlrev_b64 v[14:15], 3, v[4:5]
	v_add_co_u32_e32 v12, vcc, v12, v14
	v_addc_co_u32_e32 v1, vcc, v13, v15, vcc
	s_lshl_b64 s[24:25], s[2:3], 5
	s_mul_hi_i32 s7, s2, 3
	s_mul_i32 s13, s2, 3
	s_lshl_b64 s[26:27], s[2:3], 1
	s_lshl_b64 s[30:31], s[2:3], 3
	s_mov_b64 s[28:29], 0
	v_mov_b32_e32 v5, 0
	v_mov_b32_e32 v13, s44
	;; [unrolled: 1-line block ×5, first 2 shown]
	v_pk_mov_b32 v[14:15], v[6:7], v[6:7] op_sel:[0,1]
                                        ; implicit-def: $sgpr34_sgpr35
	s_branch .LBB57_21
.LBB57_18:                              ;   in Loop: Header=BB57_21 Depth=1
	s_or_b64 exec, exec, s[40:41]
	s_orn2_b64 s[40:41], s[42:43], exec
.LBB57_19:                              ;   in Loop: Header=BB57_21 Depth=1
	s_or_b64 exec, exec, s[38:39]
	s_andn2_b64 s[34:35], s[34:35], exec
	s_and_b64 s[38:39], s[40:41], exec
	s_or_b64 s[34:35], s[34:35], s[38:39]
.LBB57_20:                              ;   in Loop: Header=BB57_21 Depth=1
	s_or_b64 exec, exec, s[36:37]
	s_and_b64 s[36:37], exec, s[34:35]
	s_or_b64 s[28:29], s[36:37], s[28:29]
	s_andn2_b64 exec, exec, s[28:29]
	s_cbranch_execz .LBB57_25
.LBB57_21:                              ; =>This Inner Loop Header: Depth=1
	v_add_co_u32_e32 v18, vcc, s33, v12
	v_addc_co_u32_e32 v19, vcc, v13, v1, vcc
	v_add_co_u32_e32 v22, vcc, s45, v12
	v_addc_co_u32_e32 v23, vcc, v25, v1, vcc
	global_load_dwordx2 v[16:17], v[18:19], off
	global_load_dwordx2 v[28:29], v[22:23], off
	v_add_co_u32_e32 v20, vcc, s14, v12
	v_addc_co_u32_e32 v21, vcc, v24, v1, vcc
	global_load_dwordx2 v[30:31], v[20:21], off
	s_or_b64 s[34:35], s[34:35], exec
	s_waitcnt vmcnt(2)
	v_cvt_f32_f16_e32 v27, v16
	v_cvt_f32_f16_sdwa v16, v16 dst_sel:DWORD dst_unused:UNUSED_PAD src0_sel:WORD_1
	s_waitcnt vmcnt(1)
	v_cvt_f32_f16_e32 v33, v28
	v_cvt_f32_f16_sdwa v28, v28 dst_sel:DWORD dst_unused:UNUSED_PAD src0_sel:WORD_1
	v_cvt_f32_f16_e32 v32, v17
	v_cvt_f32_f16_sdwa v17, v17 dst_sel:DWORD dst_unused:UNUSED_PAD src0_sel:WORD_1
	;; [unrolled: 2-line block ×3, first 2 shown]
	v_add_f32_e32 v27, v27, v33
	v_add_f32_e32 v16, v16, v28
	;; [unrolled: 1-line block ×4, first 2 shown]
	s_waitcnt lgkmcnt(0)
	v_fma_mixlo_f16 v27, v36, v27, 0
	v_fma_mixlo_f16 v16, v36, v16, 0
	;; [unrolled: 1-line block ×4, first 2 shown]
	s_waitcnt vmcnt(0)
	v_mul_f16_e32 v27, v30, v27
	v_mul_f16_sdwa v16, v30, v16 dst_sel:DWORD dst_unused:UNUSED_PAD src0_sel:WORD_1 src1_sel:DWORD
	v_mul_f16_e32 v28, v31, v28
	v_mul_f16_sdwa v17, v31, v17 dst_sel:DWORD dst_unused:UNUSED_PAD src0_sel:WORD_1 src1_sel:DWORD
	v_cvt_f32_f16_e64 v27, |v27|
	v_cvt_f32_f16_e64 v29, |v16|
	;; [unrolled: 1-line block ×4, first 2 shown]
	v_add_co_u32_e32 v16, vcc, s2, v14
	v_addc_co_u32_e32 v17, vcc, v15, v26, vcc
	v_max3_f32 v5, v5, v27, v29
	v_cmp_lt_i64_e32 vcc, v[16:17], v[10:11]
	v_max3_f32 v5, v5, v28, v30
	s_and_saveexec_b64 s[36:37], vcc
	s_cbranch_execz .LBB57_20
; %bb.22:                               ;   in Loop: Header=BB57_21 Depth=1
	v_mov_b32_e32 v27, s31
	v_add_co_u32_e32 v18, vcc, s30, v18
	v_addc_co_u32_e32 v19, vcc, v19, v27, vcc
	v_add_co_u32_e32 v22, vcc, s30, v22
	v_addc_co_u32_e32 v23, vcc, v23, v27, vcc
	global_load_dwordx2 v[28:29], v[18:19], off
	global_load_dwordx2 v[30:31], v[22:23], off
	v_add_co_u32_e32 v20, vcc, s30, v20
	v_addc_co_u32_e32 v21, vcc, v21, v27, vcc
	global_load_dwordx2 v[32:33], v[20:21], off
	v_mov_b32_e32 v27, s27
	s_mov_b64 s[40:41], -1
	s_waitcnt vmcnt(2)
	v_cvt_f32_f16_e32 v34, v28
	v_cvt_f32_f16_sdwa v28, v28 dst_sel:DWORD dst_unused:UNUSED_PAD src0_sel:WORD_1
	s_waitcnt vmcnt(1)
	v_cvt_f32_f16_e32 v37, v30
	v_cvt_f32_f16_sdwa v30, v30 dst_sel:DWORD dst_unused:UNUSED_PAD src0_sel:WORD_1
	v_cvt_f32_f16_e32 v35, v29
	v_cvt_f32_f16_sdwa v29, v29 dst_sel:DWORD dst_unused:UNUSED_PAD src0_sel:WORD_1
	;; [unrolled: 2-line block ×3, first 2 shown]
	v_add_f32_e32 v34, v34, v37
	v_add_f32_e32 v28, v28, v30
	;; [unrolled: 1-line block ×4, first 2 shown]
	v_fma_mixlo_f16 v31, v36, v34, 0
	v_fma_mixlo_f16 v28, v36, v28, 0
	v_fma_mixlo_f16 v30, v36, v30, 0
	v_fma_mixlo_f16 v29, v36, v29, 0
	s_waitcnt vmcnt(0)
	v_mul_f16_e32 v31, v32, v31
	v_mul_f16_sdwa v28, v32, v28 dst_sel:DWORD dst_unused:UNUSED_PAD src0_sel:WORD_1 src1_sel:DWORD
	v_mul_f16_e32 v30, v33, v30
	v_mul_f16_sdwa v29, v33, v29 dst_sel:DWORD dst_unused:UNUSED_PAD src0_sel:WORD_1 src1_sel:DWORD
	v_cvt_f32_f16_e64 v31, |v31|
	v_cvt_f32_f16_e64 v32, |v28|
	;; [unrolled: 1-line block ×4, first 2 shown]
	v_add_co_u32_e32 v28, vcc, s26, v14
	v_addc_co_u32_e32 v29, vcc, v27, v15, vcc
	v_max3_f32 v5, v5, v31, v32
	v_cmp_lt_i64_e32 vcc, v[28:29], v[10:11]
	v_max3_f32 v5, v5, v30, v33
	s_and_saveexec_b64 s[38:39], vcc
	s_cbranch_execz .LBB57_19
; %bb.23:                               ;   in Loop: Header=BB57_21 Depth=1
	v_mov_b32_e32 v27, s31
	v_add_co_u32_e32 v18, vcc, s30, v18
	v_addc_co_u32_e32 v19, vcc, v19, v27, vcc
	v_add_co_u32_e32 v22, vcc, s30, v22
	v_addc_co_u32_e32 v23, vcc, v23, v27, vcc
	global_load_dwordx2 v[28:29], v[18:19], off
	global_load_dwordx2 v[30:31], v[22:23], off
	v_add_co_u32_e32 v20, vcc, s30, v20
	v_addc_co_u32_e32 v21, vcc, v21, v27, vcc
	global_load_dwordx2 v[32:33], v[20:21], off
	v_mov_b32_e32 v27, s7
	v_add_co_u32_e32 v14, vcc, s13, v14
	v_addc_co_u32_e32 v15, vcc, v27, v15, vcc
	v_cmp_lt_i64_e32 vcc, v[14:15], v[10:11]
	s_mov_b64 s[42:43], -1
                                        ; implicit-def: $vgpr14_vgpr15
	s_waitcnt vmcnt(2)
	v_cvt_f32_f16_e32 v34, v28
	v_cvt_f32_f16_sdwa v28, v28 dst_sel:DWORD dst_unused:UNUSED_PAD src0_sel:WORD_1
	s_waitcnt vmcnt(1)
	v_cvt_f32_f16_e32 v37, v30
	v_cvt_f32_f16_sdwa v30, v30 dst_sel:DWORD dst_unused:UNUSED_PAD src0_sel:WORD_1
	v_cvt_f32_f16_e32 v35, v29
	v_cvt_f32_f16_sdwa v29, v29 dst_sel:DWORD dst_unused:UNUSED_PAD src0_sel:WORD_1
	;; [unrolled: 2-line block ×3, first 2 shown]
	v_add_f32_e32 v34, v34, v37
	v_add_f32_e32 v28, v28, v30
	;; [unrolled: 1-line block ×4, first 2 shown]
	v_fma_mixlo_f16 v31, v36, v34, 0
	v_fma_mixlo_f16 v28, v36, v28, 0
	;; [unrolled: 1-line block ×4, first 2 shown]
	s_waitcnt vmcnt(0)
	v_mul_f16_e32 v31, v32, v31
	v_mul_f16_sdwa v28, v32, v28 dst_sel:DWORD dst_unused:UNUSED_PAD src0_sel:WORD_1 src1_sel:DWORD
	v_mul_f16_e32 v30, v33, v30
	v_mul_f16_sdwa v29, v33, v29 dst_sel:DWORD dst_unused:UNUSED_PAD src0_sel:WORD_1 src1_sel:DWORD
	v_cvt_f32_f16_e64 v31, |v31|
	v_cvt_f32_f16_e64 v28, |v28|
	;; [unrolled: 1-line block ×4, first 2 shown]
	v_max3_f32 v5, v5, v31, v28
	v_max3_f32 v5, v5, v30, v29
	s_and_saveexec_b64 s[40:41], vcc
	s_xor_b64 s[40:41], exec, s[40:41]
	s_cbranch_execz .LBB57_18
; %bb.24:                               ;   in Loop: Header=BB57_21 Depth=1
	v_mov_b32_e32 v27, s31
	v_add_co_u32_e32 v14, vcc, s30, v18
	v_addc_co_u32_e32 v15, vcc, v19, v27, vcc
	v_add_co_u32_e32 v18, vcc, s30, v22
	v_addc_co_u32_e32 v19, vcc, v23, v27, vcc
	global_load_dwordx2 v[14:15], v[14:15], off
	v_add_co_u32_e32 v20, vcc, s30, v20
	global_load_dwordx2 v[18:19], v[18:19], off
	v_addc_co_u32_e32 v21, vcc, v21, v27, vcc
	global_load_dwordx2 v[20:21], v[20:21], off
	s_add_u32 s17, s2, s2
	s_addc_u32 s42, s3, s3
	v_mov_b32_e32 v22, s25
	v_add_co_u32_e32 v12, vcc, s24, v12
	s_add_u32 s17, s17, s2
	v_addc_co_u32_e32 v1, vcc, v1, v22, vcc
	s_addc_u32 s42, s42, s3
	v_mov_b32_e32 v22, s42
	s_waitcnt vmcnt(2)
	v_cvt_f32_f16_e32 v23, v14
	v_cvt_f32_f16_sdwa v14, v14 dst_sel:DWORD dst_unused:UNUSED_PAD src0_sel:WORD_1
	v_cvt_f32_f16_e32 v27, v15
	s_waitcnt vmcnt(1)
	v_cvt_f32_f16_e32 v28, v18
	v_cvt_f32_f16_sdwa v18, v18 dst_sel:DWORD dst_unused:UNUSED_PAD src0_sel:WORD_1
	v_cvt_f32_f16_sdwa v15, v15 dst_sel:DWORD dst_unused:UNUSED_PAD src0_sel:WORD_1
	v_cvt_f32_f16_e32 v29, v19
	v_cvt_f32_f16_sdwa v19, v19 dst_sel:DWORD dst_unused:UNUSED_PAD src0_sel:WORD_1
	v_add_f32_e32 v23, v23, v28
	v_add_f32_e32 v14, v14, v18
	;; [unrolled: 1-line block ×4, first 2 shown]
	v_fma_mixlo_f16 v19, v36, v23, 0
	v_fma_mixlo_f16 v14, v36, v14, 0
	;; [unrolled: 1-line block ×4, first 2 shown]
	s_waitcnt vmcnt(0)
	v_mul_f16_e32 v19, v20, v19
	v_mul_f16_sdwa v14, v20, v14 dst_sel:DWORD dst_unused:UNUSED_PAD src0_sel:WORD_1 src1_sel:DWORD
	v_mul_f16_e32 v18, v21, v18
	v_mul_f16_sdwa v15, v21, v15 dst_sel:DWORD dst_unused:UNUSED_PAD src0_sel:WORD_1 src1_sel:DWORD
	v_cvt_f32_f16_e64 v19, |v19|
	v_cvt_f32_f16_e64 v20, |v14|
	;; [unrolled: 1-line block ×4, first 2 shown]
	v_add_co_u32_e32 v14, vcc, s17, v16
	v_addc_co_u32_e32 v15, vcc, v22, v17, vcc
	v_cmp_ge_i64_e32 vcc, v[14:15], v[10:11]
	v_max3_f32 v5, v5, v19, v20
	v_max3_f32 v5, v5, v18, v21
	s_orn2_b64 s[42:43], vcc, exec
	s_branch .LBB57_18
.LBB57_25:
	s_or_b64 exec, exec, s[28:29]
.LBB57_26:
	s_or_b64 exec, exec, s[22:23]
	s_lshr_b32 s7, s47, 6
	v_cvt_f32_u32_e32 v10, s7
	v_lshlrev_b32_e32 v1, 2, v0
	ds_write_b32 v1, v5
	s_sub_i32 s23, 0, s7
	v_rcp_iflag_f32_e32 v5, v10
	s_add_i32 s13, s16, s7
	s_add_i32 s13, s13, -1
	s_ashr_i32 s22, s13, 31
	v_mul_f32_e32 v5, 0x4f7ffffe, v5
	v_cvt_u32_f32_e32 v5, v5
	s_abs_i32 s13, s13
	s_ashr_i32 s17, s16, 31
	s_waitcnt lgkmcnt(0)
	v_readfirstlane_b32 s24, v5
	s_mul_i32 s23, s23, s24
	s_mul_hi_u32 s23, s24, s23
	s_add_i32 s24, s24, s23
	s_mul_hi_u32 s23, s13, s24
	s_mul_i32 s24, s23, s7
	s_sub_i32 s13, s13, s24
	s_add_i32 s24, s23, 1
	s_sub_i32 s25, s13, s7
	s_cmp_ge_u32 s13, s7
	s_cselect_b32 s23, s24, s23
	s_cselect_b32 s13, s25, s13
	s_add_i32 s24, s23, 1
	s_cmp_ge_u32 s13, s7
	s_cselect_b32 s13, s24, s23
	s_xor_b32 s13, s13, s22
	s_sub_i32 s22, s13, s22
	s_ashr_i32 s23, s22, 31
	v_cmp_lt_i64_e64 s[24:25], s[22:23], 1
	s_and_b64 vcc, exec, s[24:25]
	s_barrier
	s_cbranch_vccnz .LBB57_48
; %bb.27:
	v_and_b32_e32 v12, 63, v0
	v_add_co_u32_e32 v14, vcc, 32, v12
	v_addc_co_u32_e64 v15, s[24:25], 0, 0, vcc
	v_add_co_u32_e32 v16, vcc, 16, v12
	v_addc_co_u32_e64 v17, s[24:25], 0, 0, vcc
	v_add_co_u32_e32 v18, vcc, 8, v12
	v_lshrrev_b32_e32 v10, 6, v0
	v_addc_co_u32_e64 v19, s[24:25], 0, 0, vcc
	v_add_co_u32_e32 v20, vcc, 4, v12
	v_addc_co_u32_e64 v21, s[24:25], 0, 0, vcc
	v_add_co_u32_e32 v22, vcc, 2, v12
	v_mul_lo_u32 v5, s2, v10
	v_addc_co_u32_e64 v23, s[24:25], 0, 0, vcc
	v_add_co_u32_e32 v24, vcc, 1, v12
	v_lshlrev_b32_e32 v5, 2, v5
	v_lshlrev_b32_e32 v26, 2, v12
	s_movk_i32 s13, 0x100
	v_mov_b32_e32 v11, 0
	v_addc_co_u32_e64 v25, s[24:25], 0, 0, vcc
	v_add3_u32 v5, v5, v26, s13
	s_mul_i32 s13, s2, s7
	v_mov_b32_e32 v13, v11
	s_lshl_b32 s13, s13, 2
	s_mov_b64 s[24:25], 0
	v_mov_b32_e32 v37, s7
	s_mov_b64 s[26:27], src_shared_base
	s_branch .LBB57_30
.LBB57_28:                              ;   in Loop: Header=BB57_30 Depth=1
	s_or_b64 exec, exec, s[30:31]
	v_mov_b32_e32 v27, s27
	flat_load_dword v26, v[26:27] glc
	s_waitcnt vmcnt(0)
.LBB57_29:                              ;   in Loop: Header=BB57_30 Depth=1
	s_or_b64 exec, exec, s[28:29]
	s_add_u32 s24, s24, 1
	s_addc_u32 s25, s25, 0
	s_cmp_eq_u64 s[24:25], s[22:23]
	v_add_u32_e32 v5, s13, v5
	s_cbranch_scc1 .LBB57_48
.LBB57_30:                              ; =>This Loop Header: Depth=1
                                        ;     Child Loop BB57_33 Depth 2
	v_mad_u64_u32 v[30:31], s[28:29], s24, v37, v[10:11]
	s_mul_i32 s26, s25, s7
	v_add_u32_e32 v31, s26, v31
	v_cmp_gt_i64_e32 vcc, s[16:17], v[30:31]
	s_and_saveexec_b64 s[28:29], vcc
	s_cbranch_execz .LBB57_29
; %bb.31:                               ;   in Loop: Header=BB57_30 Depth=1
	v_pk_mov_b32 v[32:33], s[2:3], s[2:3] op_sel:[0,1]
	v_mul_lo_u32 v29, v31, s2
	v_mul_lo_u32 v38, v30, s3
	v_mad_u64_u32 v[32:33], s[30:31], v30, s2, v[32:33]
	v_add3_u32 v33, v29, v33, v38
	v_mov_b32_e32 v28, s21
	v_cmp_gt_i64_e32 vcc, s[20:21], v[32:33]
	s_waitcnt lgkmcnt(0)
	v_mad_u64_u32 v[26:27], s[30:31], v30, s2, v[12:13]
	v_cndmask_b32_e32 v33, v28, v33, vcc
	v_mov_b32_e32 v28, s20
	v_add3_u32 v27, v29, v27, v38
	v_cndmask_b32_e32 v32, v28, v32, vcc
	v_add_co_u32_e32 v34, vcc, 64, v26
	v_addc_co_u32_e32 v35, vcc, 0, v27, vcc
	v_cmp_lt_i64_e32 vcc, v[34:35], v[32:33]
	v_lshlrev_b32_e32 v28, 2, v26
	s_and_saveexec_b64 s[30:31], vcc
	s_cbranch_execz .LBB57_34
; %bb.32:                               ;   in Loop: Header=BB57_30 Depth=1
	ds_read_b32 v31, v28
	s_mov_b64 s[34:35], 0
	v_mov_b32_e32 v27, v5
.LBB57_33:                              ;   Parent Loop BB57_30 Depth=1
                                        ; =>  This Inner Loop Header: Depth=2
	ds_read_b32 v39, v27
	v_add_co_u32_e32 v34, vcc, 64, v34
	v_addc_co_u32_e32 v35, vcc, 0, v35, vcc
	s_waitcnt lgkmcnt(1)
	v_max_f32_e32 v31, v31, v31
	v_cmp_ge_i64_e32 vcc, v[34:35], v[32:33]
	s_waitcnt lgkmcnt(0)
	v_max_f32_e32 v39, v39, v39
	v_add_u32_e32 v27, 0x100, v27
	s_or_b64 s[34:35], vcc, s[34:35]
	v_max_f32_e32 v31, v31, v39
	ds_write_b32 v28, v31
	s_andn2_b64 exec, exec, s[34:35]
	s_cbranch_execnz .LBB57_33
.LBB57_34:                              ;   in Loop: Header=BB57_30 Depth=1
	s_or_b64 exec, exec, s[30:31]
	v_mad_u64_u32 v[30:31], s[30:31], v30, s2, 0
	v_add3_u32 v27, v31, v38, v29
	v_sub_co_u32_e32 v30, vcc, v32, v30
	v_subb_co_u32_e32 v31, vcc, v33, v27, vcc
	v_cmp_gt_i64_e32 vcc, 64, v[30:31]
	v_cndmask_b32_e32 v31, 0, v31, vcc
	v_cndmask_b32_e32 v30, 64, v30, vcc
	v_cmp_lt_i64_e32 vcc, v[14:15], v[30:31]
	s_and_saveexec_b64 s[30:31], vcc
	s_cbranch_execnz .LBB57_46
; %bb.35:                               ;   in Loop: Header=BB57_30 Depth=1
	s_or_b64 exec, exec, s[30:31]
	v_cmp_lt_i64_e32 vcc, v[16:17], v[30:31]
	s_and_saveexec_b64 s[30:31], vcc
	s_cbranch_execnz .LBB57_47
.LBB57_36:                              ;   in Loop: Header=BB57_30 Depth=1
	s_or_b64 exec, exec, s[30:31]
	v_cmp_lt_i64_e32 vcc, v[18:19], v[30:31]
	s_and_saveexec_b64 s[30:31], vcc
	s_cbranch_execz .LBB57_38
.LBB57_37:                              ;   in Loop: Header=BB57_30 Depth=1
	v_mov_b32_e32 v29, s27
	v_add_u32_e32 v32, 32, v28
	v_mov_b32_e32 v33, s27
	flat_load_dword v27, v[28:29] glc
	s_waitcnt vmcnt(0)
	flat_load_dword v34, v[32:33] glc
	s_waitcnt vmcnt(0) lgkmcnt(0)
	v_max_f32_e32 v27, v27, v27
	v_max_f32_e32 v32, v34, v34
	;; [unrolled: 1-line block ×3, first 2 shown]
	flat_store_dword v[28:29], v27
	s_waitcnt vmcnt(0)
.LBB57_38:                              ;   in Loop: Header=BB57_30 Depth=1
	s_or_b64 exec, exec, s[30:31]
	v_cmp_ge_i64_e32 vcc, v[20:21], v[30:31]
	s_and_saveexec_b64 s[30:31], vcc
	s_xor_b64 s[30:31], exec, s[30:31]
; %bb.39:                               ;   in Loop: Header=BB57_30 Depth=1
                                        ; implicit-def: $vgpr28
; %bb.40:                               ;   in Loop: Header=BB57_30 Depth=1
	s_andn2_saveexec_b64 s[30:31], s[30:31]
	s_cbranch_execz .LBB57_42
; %bb.41:                               ;   in Loop: Header=BB57_30 Depth=1
	v_mov_b32_e32 v29, s27
	v_add_u32_e32 v32, 16, v28
	v_mov_b32_e32 v33, s27
	flat_load_dword v27, v[28:29] glc
	s_waitcnt vmcnt(0)
	flat_load_dword v34, v[32:33] glc
	s_waitcnt vmcnt(0) lgkmcnt(0)
	v_max_f32_e32 v27, v27, v27
	v_max_f32_e32 v32, v34, v34
	;; [unrolled: 1-line block ×3, first 2 shown]
	flat_store_dword v[28:29], v27
	s_waitcnt vmcnt(0)
.LBB57_42:                              ;   in Loop: Header=BB57_30 Depth=1
	s_or_b64 exec, exec, s[30:31]
	v_cmp_lt_i64_e32 vcc, v[22:23], v[30:31]
	v_lshlrev_b32_e32 v26, 2, v26
	s_and_saveexec_b64 s[30:31], vcc
	s_cbranch_execz .LBB57_44
; %bb.43:                               ;   in Loop: Header=BB57_30 Depth=1
	v_mov_b32_e32 v27, s27
	v_add_u32_e32 v28, 8, v26
	v_mov_b32_e32 v29, s27
	flat_load_dword v32, v[26:27] glc
	s_waitcnt vmcnt(0)
	flat_load_dword v33, v[28:29] glc
	s_waitcnt vmcnt(0) lgkmcnt(0)
	v_max_f32_e32 v28, v32, v32
	v_max_f32_e32 v29, v33, v33
	v_max_f32_e32 v28, v28, v29
	flat_store_dword v[26:27], v28
	s_waitcnt vmcnt(0)
.LBB57_44:                              ;   in Loop: Header=BB57_30 Depth=1
	s_or_b64 exec, exec, s[30:31]
	v_cmp_lt_i64_e32 vcc, v[24:25], v[30:31]
	s_and_saveexec_b64 s[30:31], vcc
	s_cbranch_execz .LBB57_28
; %bb.45:                               ;   in Loop: Header=BB57_30 Depth=1
	v_mov_b32_e32 v27, s27
	v_add_u32_e32 v28, 4, v26
	v_mov_b32_e32 v29, s27
	flat_load_dword v30, v[26:27] glc
	s_waitcnt vmcnt(0)
	flat_load_dword v31, v[28:29] glc
	s_waitcnt vmcnt(0) lgkmcnt(0)
	v_max_f32_e32 v28, v30, v30
	v_max_f32_e32 v29, v31, v31
	;; [unrolled: 1-line block ×3, first 2 shown]
	flat_store_dword v[26:27], v28
	s_waitcnt vmcnt(0)
	s_branch .LBB57_28
.LBB57_46:                              ;   in Loop: Header=BB57_30 Depth=1
	v_mov_b32_e32 v29, s27
	v_add_u32_e32 v32, 0x80, v28
	v_mov_b32_e32 v33, s27
	flat_load_dword v27, v[28:29] glc
	s_waitcnt vmcnt(0)
	flat_load_dword v34, v[32:33] glc
	s_waitcnt vmcnt(0) lgkmcnt(0)
	v_max_f32_e32 v27, v27, v27
	v_max_f32_e32 v32, v34, v34
	v_max_f32_e32 v27, v27, v32
	flat_store_dword v[28:29], v27
	s_waitcnt vmcnt(0)
	s_or_b64 exec, exec, s[30:31]
	v_cmp_lt_i64_e32 vcc, v[16:17], v[30:31]
	s_and_saveexec_b64 s[30:31], vcc
	s_cbranch_execz .LBB57_36
.LBB57_47:                              ;   in Loop: Header=BB57_30 Depth=1
	v_mov_b32_e32 v29, s27
	v_add_u32_e32 v32, 64, v28
	v_mov_b32_e32 v33, s27
	flat_load_dword v27, v[28:29] glc
	s_waitcnt vmcnt(0)
	flat_load_dword v34, v[32:33] glc
	s_waitcnt vmcnt(0) lgkmcnt(0)
	v_max_f32_e32 v27, v27, v27
	v_max_f32_e32 v32, v34, v34
	;; [unrolled: 1-line block ×3, first 2 shown]
	flat_store_dword v[28:29], v27
	s_waitcnt vmcnt(0)
	s_or_b64 exec, exec, s[30:31]
	v_cmp_lt_i64_e32 vcc, v[18:19], v[30:31]
	s_and_saveexec_b64 s[30:31], vcc
	s_cbranch_execnz .LBB57_37
	s_branch .LBB57_38
.LBB57_48:
	v_cmp_eq_u32_e32 vcc, 0, v4
	v_cmp_lt_i64_e64 s[2:3], v[6:7], v[8:9]
	s_and_b64 s[22:23], vcc, s[2:3]
	s_mul_i32 s17, s17, s6
	s_mul_hi_u32 s20, s16, s6
	s_mul_i32 s2, s16, s6
	s_waitcnt lgkmcnt(0)
	s_barrier
	s_and_saveexec_b64 s[6:7], s[22:23]
	s_cbranch_execz .LBB57_52
; %bb.49:
	s_load_dwordx2 s[4:5], s[4:5], 0x20
	ds_read_b32 v1, v1
	s_waitcnt lgkmcnt(0)
	s_cmp_eq_u64 s[4:5], 0
	s_cbranch_scc1 .LBB57_51
; %bb.50:
	s_load_dword s3, s[4:5], 0x0
	v_max_f32_e32 v1, v1, v1
	s_waitcnt lgkmcnt(0)
	v_max_f32_e64 v4, s3, s3
	v_min_f32_e32 v1, v1, v4
.LBB57_51:
	s_mov_b32 s3, 0x43e00000
	v_div_scale_f32 v4, s[4:5], s3, s3, v1
	v_rcp_f32_e32 v5, v4
	v_div_scale_f32 v6, vcc, v1, s3, v1
	v_lshlrev_b64 v[2:3], 2, v[2:3]
	v_fma_f32 v7, -v4, v5, 1.0
	v_fmac_f32_e32 v5, v7, v5
	v_mul_f32_e32 v7, v6, v5
	v_fma_f32 v8, -v4, v7, v6
	v_fmac_f32_e32 v7, v8, v5
	v_fma_f32 v4, -v4, v7, v6
	v_div_fmas_f32 v4, v4, v5, v7
	v_div_fixup_f32 v1, v4, s3, v1
	s_add_i32 s3, s20, s17
	s_lshl_b64 s[4:5], s[2:3], 2
	s_add_u32 s3, s10, s4
	s_addc_u32 s4, s11, s5
	v_mov_b32_e32 v4, s4
	v_add_co_u32_e32 v2, vcc, s3, v2
	v_max_f32_e32 v1, 0x36924925, v1
	v_addc_co_u32_e32 v3, vcc, v4, v3, vcc
	global_store_dword v[2:3], v1, off
.LBB57_52:
	s_or_b64 exec, exec, s[6:7]
	s_barrier
	s_and_saveexec_b64 s[4:5], s[0:1]
	s_cbranch_execz .LBB57_157
; %bb.53:
	s_add_u32 s13, s8, s18
	s_addc_u32 s18, s9, s19
	s_add_i32 s3, s20, s17
	s_lshl_b64 s[0:1], s[2:3], 2
	s_add_u32 s0, s10, s0
	s_addc_u32 s1, s11, s1
	s_mul_i32 s19, s47, 3
	s_lshl_b32 s20, s47, 1
	s_mov_b64 s[2:3], 0
	v_mov_b32_e32 v1, 0
	v_mov_b32_e32 v12, s44
	;; [unrolled: 1-line block ×4, first 2 shown]
	s_mov_b32 s21, 0x43f00000
	s_mov_b32 s22, 0x3c7fffff
	;; [unrolled: 1-line block ×4, first 2 shown]
	s_movk_i32 s25, 0x80
	s_movk_i32 s26, 0xff
	s_branch .LBB57_59
.LBB57_54:                              ;   in Loop: Header=BB57_59 Depth=1
	s_or_b64 exec, exec, s[16:17]
.LBB57_55:                              ;   in Loop: Header=BB57_59 Depth=1
	s_or_b64 exec, exec, s[10:11]
	v_and_b32_sdwa v7, v15, s25 dst_sel:DWORD dst_unused:UNUSED_PAD src0_sel:BYTE_3 src1_sel:DWORD
	v_lshrrev_b32_e32 v15, 24, v11
	v_lshlrev_b64 v[10:11], 2, v[0:1]
	v_mov_b32_e32 v0, s18
	v_add_co_u32_e32 v10, vcc, s13, v10
	v_and_b32_sdwa v4, v4, s25 dst_sel:DWORD dst_unused:UNUSED_PAD src0_sel:BYTE_3 src1_sel:DWORD
	v_addc_co_u32_e32 v11, vcc, v0, v11, vcc
	v_lshlrev_b32_e32 v0, 24, v6
	v_and_or_b32 v6, v9, s26, v7
	v_and_b32_e32 v5, 0x80000000, v5
	v_lshlrev_b32_e32 v6, 16, v6
	v_and_or_b32 v3, v3, s26, v4
	v_and_b32_e32 v4, 0xff, v8
	v_or3_b32 v0, v5, v0, v6
	v_lshlrev_b32_e32 v3, 8, v3
	v_and_or_b32 v4, v15, s25, v4
	s_add_i32 s10, s47, s47
	v_or3_b32 v0, v0, v3, v4
	s_add_i32 s10, s10, s47
	global_store_dword v[10:11], v0, off
	v_add_u32_e32 v0, s10, v2
	v_cmp_le_u32_e32 vcc, s12, v0
	s_orn2_b64 s[10:11], vcc, exec
.LBB57_56:                              ;   in Loop: Header=BB57_59 Depth=1
	s_or_b64 exec, exec, s[8:9]
	s_orn2_b64 s[8:9], s[10:11], exec
.LBB57_57:                              ;   in Loop: Header=BB57_59 Depth=1
	s_or_b64 exec, exec, s[6:7]
	s_orn2_b64 s[6:7], s[8:9], exec
.LBB57_58:                              ;   in Loop: Header=BB57_59 Depth=1
	s_or_b64 exec, exec, s[4:5]
	s_and_b64 s[4:5], exec, s[6:7]
	s_or_b64 s[2:3], s[4:5], s[2:3]
	s_andn2_b64 exec, exec, s[2:3]
	s_cbranch_execz .LBB57_157
.LBB57_59:                              ; =>This Inner Loop Header: Depth=1
	v_lshlrev_b64 v[2:3], 3, v[0:1]
	v_add_co_u32_e32 v4, vcc, s33, v2
	v_addc_co_u32_e32 v5, vcc, v12, v3, vcc
	v_add_co_u32_e32 v10, vcc, s45, v2
	v_addc_co_u32_e32 v11, vcc, v14, v3, vcc
	global_load_dwordx2 v[4:5], v[4:5], off
	v_add_co_u32_e32 v2, vcc, s14, v2
	global_load_dwordx2 v[6:7], v[10:11], off
	v_addc_co_u32_e32 v3, vcc, v13, v3, vcc
	global_load_dwordx2 v[2:3], v[2:3], off
	v_lshrrev_b32_e32 v8, 2, v0
	v_and_b32_e32 v8, 0xffffffc, v8
	global_load_dword v9, v8, s[0:1]
	v_mov_b32_e32 v8, 0x7f
	s_waitcnt vmcnt(3)
	v_cvt_f32_f16_e32 v18, v4
	v_cvt_f32_f16_sdwa v19, v4 dst_sel:DWORD dst_unused:UNUSED_PAD src0_sel:WORD_1
	v_cvt_f32_f16_e32 v16, v5
	s_waitcnt vmcnt(2)
	v_cvt_f32_f16_e32 v20, v6
	v_cvt_f32_f16_sdwa v21, v6 dst_sel:DWORD dst_unused:UNUSED_PAD src0_sel:WORD_1
	v_cvt_f32_f16_sdwa v17, v5 dst_sel:DWORD dst_unused:UNUSED_PAD src0_sel:WORD_1
	v_cvt_f32_f16_e32 v4, v7
	v_cvt_f32_f16_sdwa v5, v7 dst_sel:DWORD dst_unused:UNUSED_PAD src0_sel:WORD_1
	v_pk_add_f32 v[6:7], v[18:19], v[20:21]
	v_cvt_f16_f32_e32 v19, v6
	v_fma_mixlo_f16 v6, v36, v6, 0
	v_pk_add_f32 v[4:5], v[16:17], v[4:5]
	s_waitcnt vmcnt(1)
	v_mul_f16_e32 v6, v2, v6
	v_cvt_f16_f32_e32 v15, v5
	v_cvt_f16_f32_e32 v16, v4
	v_cvt_f32_f16_e32 v6, v6
	v_cvt_f16_f32_e32 v18, v7
	v_pack_b32_f16 v17, v16, v15
	s_waitcnt vmcnt(0)
	v_div_scale_f32 v15, s[4:5], v9, v9, v6
	v_pack_b32_f16 v16, v19, v18
	v_rcp_f32_e32 v18, v15
	global_store_dwordx2 v[10:11], v[16:17], off
	v_div_scale_f32 v10, vcc, v6, v9, v6
	v_fma_f32 v11, -v15, v18, 1.0
	v_fmac_f32_e32 v18, v11, v18
	v_mul_f32_e32 v11, v10, v18
	v_fma_f32 v16, -v15, v11, v10
	v_fmac_f32_e32 v11, v16, v18
	v_fma_f32 v10, -v15, v11, v10
	v_div_fmas_f32 v10, v10, v18, v11
	v_div_fixup_f32 v6, v10, v9, v6
	v_min_f32_e32 v6, 0x43e00000, v6
	v_max_f32_e32 v10, 0xc3e00000, v6
	v_and_b32_e32 v11, 0x7fffffff, v10
	v_cmp_gt_u32_e32 vcc, s21, v11
	v_mov_b32_e32 v6, 0x7f
	s_and_saveexec_b64 s[4:5], vcc
	s_cbranch_execz .LBB57_65
; %bb.60:                               ;   in Loop: Header=BB57_59 Depth=1
	v_cmp_lt_u32_e32 vcc, s22, v11
                                        ; implicit-def: $vgpr6
	s_and_saveexec_b64 s[6:7], vcc
	s_xor_b64 s[6:7], exec, s[6:7]
; %bb.61:                               ;   in Loop: Header=BB57_59 Depth=1
	v_bfe_u32 v6, v10, 20, 1
	v_add3_u32 v6, v10, v6, s23
	v_lshrrev_b32_e32 v6, 20, v6
; %bb.62:                               ;   in Loop: Header=BB57_59 Depth=1
	s_andn2_saveexec_b64 s[6:7], s[6:7]
; %bb.63:                               ;   in Loop: Header=BB57_59 Depth=1
	v_add_f32_e64 v6, |v10|, s24
; %bb.64:                               ;   in Loop: Header=BB57_59 Depth=1
	s_or_b64 exec, exec, s[6:7]
.LBB57_65:                              ;   in Loop: Header=BB57_59 Depth=1
	s_or_b64 exec, exec, s[4:5]
	v_fma_mixlo_f16 v7, v36, v7, 0
	v_mul_f16_sdwa v2, v2, v7 dst_sel:DWORD dst_unused:UNUSED_PAD src0_sel:WORD_1 src1_sel:DWORD
	v_cvt_f32_f16_e32 v2, v2
	v_div_scale_f32 v7, s[4:5], v9, v9, v2
	v_rcp_f32_e32 v11, v7
	v_div_scale_f32 v15, vcc, v2, v9, v2
	v_fma_f32 v16, -v7, v11, 1.0
	v_fmac_f32_e32 v11, v16, v11
	v_mul_f32_e32 v16, v15, v11
	v_fma_f32 v17, -v7, v16, v15
	v_fmac_f32_e32 v16, v17, v11
	v_fma_f32 v7, -v7, v16, v15
	v_div_fmas_f32 v7, v7, v11, v16
	v_div_fixup_f32 v2, v7, v9, v2
	v_min_f32_e32 v2, 0x43e00000, v2
	v_max_f32_e32 v2, 0xc3e00000, v2
	v_and_b32_e32 v7, 0x7fffffff, v2
	v_cmp_gt_u32_e32 vcc, s21, v7
	s_and_saveexec_b64 s[4:5], vcc
	s_cbranch_execz .LBB57_71
; %bb.66:                               ;   in Loop: Header=BB57_59 Depth=1
	v_cmp_lt_u32_e32 vcc, s22, v7
                                        ; implicit-def: $vgpr8
	s_and_saveexec_b64 s[6:7], vcc
	s_xor_b64 s[6:7], exec, s[6:7]
; %bb.67:                               ;   in Loop: Header=BB57_59 Depth=1
	v_bfe_u32 v7, v2, 20, 1
	v_add3_u32 v7, v2, v7, s23
	v_lshrrev_b32_e32 v8, 20, v7
; %bb.68:                               ;   in Loop: Header=BB57_59 Depth=1
	s_andn2_saveexec_b64 s[6:7], s[6:7]
; %bb.69:                               ;   in Loop: Header=BB57_59 Depth=1
	v_add_f32_e64 v8, |v2|, s24
; %bb.70:                               ;   in Loop: Header=BB57_59 Depth=1
	s_or_b64 exec, exec, s[6:7]
.LBB57_71:                              ;   in Loop: Header=BB57_59 Depth=1
	s_or_b64 exec, exec, s[4:5]
	v_fma_mixlo_f16 v4, v36, v4, 0
	v_mul_f16_e32 v4, v3, v4
	v_cvt_f32_f16_e32 v7, v4
	v_mov_b32_e32 v4, 0x7f
	v_div_scale_f32 v11, s[4:5], v9, v9, v7
	v_rcp_f32_e32 v15, v11
	v_div_scale_f32 v16, vcc, v7, v9, v7
	v_fma_f32 v17, -v11, v15, 1.0
	v_fmac_f32_e32 v15, v17, v15
	v_mul_f32_e32 v17, v16, v15
	v_fma_f32 v18, -v11, v17, v16
	v_fmac_f32_e32 v17, v18, v15
	v_fma_f32 v11, -v11, v17, v16
	v_div_fmas_f32 v11, v11, v15, v17
	v_div_fixup_f32 v7, v11, v9, v7
	v_min_f32_e32 v7, 0x43e00000, v7
	v_max_f32_e32 v11, 0xc3e00000, v7
	v_and_b32_e32 v15, 0x7fffffff, v11
	v_cmp_gt_u32_e32 vcc, s21, v15
	v_mov_b32_e32 v7, 0x7f
	s_and_saveexec_b64 s[4:5], vcc
	s_cbranch_execz .LBB57_77
; %bb.72:                               ;   in Loop: Header=BB57_59 Depth=1
	v_cmp_lt_u32_e32 vcc, s22, v15
                                        ; implicit-def: $vgpr7
	s_and_saveexec_b64 s[6:7], vcc
	s_xor_b64 s[6:7], exec, s[6:7]
; %bb.73:                               ;   in Loop: Header=BB57_59 Depth=1
	v_bfe_u32 v7, v11, 20, 1
	v_add3_u32 v7, v11, v7, s23
	v_lshrrev_b32_e32 v7, 20, v7
; %bb.74:                               ;   in Loop: Header=BB57_59 Depth=1
	s_andn2_saveexec_b64 s[6:7], s[6:7]
; %bb.75:                               ;   in Loop: Header=BB57_59 Depth=1
	v_add_f32_e64 v7, |v11|, s24
; %bb.76:                               ;   in Loop: Header=BB57_59 Depth=1
	s_or_b64 exec, exec, s[6:7]
.LBB57_77:                              ;   in Loop: Header=BB57_59 Depth=1
	s_or_b64 exec, exec, s[4:5]
	v_fma_mixlo_f16 v5, v36, v5, 0
	v_mul_f16_sdwa v3, v3, v5 dst_sel:DWORD dst_unused:UNUSED_PAD src0_sel:WORD_1 src1_sel:DWORD
	v_cvt_f32_f16_e32 v3, v3
	v_div_scale_f32 v5, s[4:5], v9, v9, v3
	v_rcp_f32_e32 v15, v5
	v_div_scale_f32 v16, vcc, v3, v9, v3
	v_fma_f32 v17, -v5, v15, 1.0
	v_fmac_f32_e32 v15, v17, v15
	v_mul_f32_e32 v17, v16, v15
	v_fma_f32 v18, -v5, v17, v16
	v_fmac_f32_e32 v17, v18, v15
	v_fma_f32 v5, -v5, v17, v16
	v_div_fmas_f32 v5, v5, v15, v17
	v_div_fixup_f32 v3, v5, v9, v3
	v_min_f32_e32 v3, 0x43e00000, v3
	v_max_f32_e32 v3, 0xc3e00000, v3
	v_and_b32_e32 v5, 0x7fffffff, v3
	v_cmp_gt_u32_e32 vcc, s21, v5
	s_and_saveexec_b64 s[4:5], vcc
	s_cbranch_execz .LBB57_83
; %bb.78:                               ;   in Loop: Header=BB57_59 Depth=1
	v_cmp_lt_u32_e32 vcc, s22, v5
                                        ; implicit-def: $vgpr4
	s_and_saveexec_b64 s[6:7], vcc
	s_xor_b64 s[6:7], exec, s[6:7]
; %bb.79:                               ;   in Loop: Header=BB57_59 Depth=1
	v_bfe_u32 v4, v3, 20, 1
	v_add3_u32 v4, v3, v4, s23
	v_lshrrev_b32_e32 v4, 20, v4
; %bb.80:                               ;   in Loop: Header=BB57_59 Depth=1
	s_andn2_saveexec_b64 s[6:7], s[6:7]
; %bb.81:                               ;   in Loop: Header=BB57_59 Depth=1
	v_add_f32_e64 v4, |v3|, s24
; %bb.82:                               ;   in Loop: Header=BB57_59 Depth=1
	s_or_b64 exec, exec, s[6:7]
.LBB57_83:                              ;   in Loop: Header=BB57_59 Depth=1
	s_or_b64 exec, exec, s[4:5]
	v_and_b32_sdwa v5, v11, s25 dst_sel:DWORD dst_unused:UNUSED_PAD src0_sel:BYTE_3 src1_sel:DWORD
	v_and_or_b32 v5, v7, s26, v5
	v_and_b32_sdwa v2, v2, s25 dst_sel:DWORD dst_unused:UNUSED_PAD src0_sel:BYTE_3 src1_sel:DWORD
	v_lshlrev_b32_e32 v4, 24, v4
	v_and_b32_e32 v3, 0x80000000, v3
	v_lshlrev_b32_e32 v5, 16, v5
	v_lshrrev_b32_e32 v9, 24, v10
	v_lshlrev_b64 v[10:11], 2, v[0:1]
	v_or3_b32 v3, v3, v4, v5
	v_and_or_b32 v2, v8, s26, v2
	v_and_b32_e32 v4, 0xff, v6
	v_mov_b32_e32 v15, s18
	v_add_co_u32_e32 v10, vcc, s13, v10
	v_lshlrev_b32_e32 v2, 8, v2
	v_and_or_b32 v4, v9, s25, v4
	v_addc_co_u32_e32 v11, vcc, v15, v11, vcc
	v_or3_b32 v2, v3, v2, v4
	global_store_dword v[10:11], v2, off
	v_add_u32_e32 v2, s47, v0
	v_cmp_gt_u32_e32 vcc, s12, v2
	s_mov_b64 s[6:7], -1
	s_and_saveexec_b64 s[4:5], vcc
	s_cbranch_execz .LBB57_58
; %bb.84:                               ;   in Loop: Header=BB57_59 Depth=1
	v_mov_b32_e32 v3, v1
	v_lshlrev_b64 v[4:5], 3, v[2:3]
	v_mov_b32_e32 v7, s44
	v_add_co_u32_e32 v6, vcc, s33, v4
	v_addc_co_u32_e32 v7, vcc, v7, v5, vcc
	v_mov_b32_e32 v8, s46
	v_add_co_u32_e32 v16, vcc, s45, v4
	v_addc_co_u32_e32 v17, vcc, v8, v5, vcc
	global_load_dwordx2 v[6:7], v[6:7], off
	v_mov_b32_e32 v10, s15
	global_load_dwordx2 v[8:9], v[16:17], off
	v_add_co_u32_e32 v4, vcc, s14, v4
	v_addc_co_u32_e32 v5, vcc, v10, v5, vcc
	global_load_dwordx2 v[4:5], v[4:5], off
	v_lshrrev_b32_e32 v10, 2, v2
	v_and_b32_e32 v10, 0xffffffc, v10
	global_load_dword v11, v10, s[0:1]
	v_mov_b32_e32 v10, 0x7f
	s_waitcnt vmcnt(3)
	v_cvt_f32_f16_e32 v20, v6
	v_cvt_f32_f16_sdwa v21, v6 dst_sel:DWORD dst_unused:UNUSED_PAD src0_sel:WORD_1
	s_waitcnt vmcnt(2)
	v_cvt_f32_f16_e32 v22, v8
	v_cvt_f32_f16_sdwa v23, v8 dst_sel:DWORD dst_unused:UNUSED_PAD src0_sel:WORD_1
	v_cvt_f32_f16_e32 v18, v7
	v_cvt_f32_f16_sdwa v19, v7 dst_sel:DWORD dst_unused:UNUSED_PAD src0_sel:WORD_1
	;; [unrolled: 2-line block ×3, first 2 shown]
	v_pk_add_f32 v[8:9], v[20:21], v[22:23]
	v_cvt_f16_f32_e32 v21, v8
	v_fma_mixlo_f16 v8, v36, v8, 0
	v_pk_add_f32 v[6:7], v[18:19], v[6:7]
	s_waitcnt vmcnt(1)
	v_mul_f16_e32 v8, v4, v8
	v_cvt_f16_f32_e32 v15, v7
	v_cvt_f16_f32_e32 v18, v6
	v_cvt_f32_f16_e32 v8, v8
	v_cvt_f16_f32_e32 v20, v9
	v_pack_b32_f16 v19, v18, v15
	s_waitcnt vmcnt(0)
	v_div_scale_f32 v15, s[6:7], v11, v11, v8
	v_pack_b32_f16 v18, v21, v20
	v_rcp_f32_e32 v20, v15
	global_store_dwordx2 v[16:17], v[18:19], off
	v_div_scale_f32 v16, vcc, v8, v11, v8
	v_fma_f32 v17, -v15, v20, 1.0
	v_fmac_f32_e32 v20, v17, v20
	v_mul_f32_e32 v17, v16, v20
	v_fma_f32 v18, -v15, v17, v16
	v_fmac_f32_e32 v17, v18, v20
	v_fma_f32 v15, -v15, v17, v16
	v_div_fmas_f32 v15, v15, v20, v17
	v_div_fixup_f32 v8, v15, v11, v8
	v_min_f32_e32 v8, 0x43e00000, v8
	v_max_f32_e32 v15, 0xc3e00000, v8
	v_and_b32_e32 v16, 0x7fffffff, v15
	v_cmp_gt_u32_e32 vcc, s21, v16
	v_mov_b32_e32 v8, 0x7f
	s_and_saveexec_b64 s[6:7], vcc
	s_cbranch_execz .LBB57_90
; %bb.85:                               ;   in Loop: Header=BB57_59 Depth=1
	v_cmp_lt_u32_e32 vcc, s22, v16
                                        ; implicit-def: $vgpr8
	s_and_saveexec_b64 s[8:9], vcc
	s_xor_b64 s[8:9], exec, s[8:9]
; %bb.86:                               ;   in Loop: Header=BB57_59 Depth=1
	v_bfe_u32 v8, v15, 20, 1
	v_add3_u32 v8, v15, v8, s23
	v_lshrrev_b32_e32 v8, 20, v8
; %bb.87:                               ;   in Loop: Header=BB57_59 Depth=1
	s_andn2_saveexec_b64 s[8:9], s[8:9]
; %bb.88:                               ;   in Loop: Header=BB57_59 Depth=1
	v_add_f32_e64 v8, |v15|, s24
; %bb.89:                               ;   in Loop: Header=BB57_59 Depth=1
	s_or_b64 exec, exec, s[8:9]
.LBB57_90:                              ;   in Loop: Header=BB57_59 Depth=1
	s_or_b64 exec, exec, s[6:7]
	v_fma_mixlo_f16 v9, v36, v9, 0
	v_mul_f16_sdwa v4, v4, v9 dst_sel:DWORD dst_unused:UNUSED_PAD src0_sel:WORD_1 src1_sel:DWORD
	v_cvt_f32_f16_e32 v4, v4
	v_div_scale_f32 v9, s[6:7], v11, v11, v4
	v_rcp_f32_e32 v16, v9
	v_div_scale_f32 v17, vcc, v4, v11, v4
	v_fma_f32 v18, -v9, v16, 1.0
	v_fmac_f32_e32 v16, v18, v16
	v_mul_f32_e32 v18, v17, v16
	v_fma_f32 v19, -v9, v18, v17
	v_fmac_f32_e32 v18, v19, v16
	v_fma_f32 v9, -v9, v18, v17
	v_div_fmas_f32 v9, v9, v16, v18
	v_div_fixup_f32 v4, v9, v11, v4
	v_min_f32_e32 v4, 0x43e00000, v4
	v_max_f32_e32 v4, 0xc3e00000, v4
	v_and_b32_e32 v9, 0x7fffffff, v4
	v_cmp_gt_u32_e32 vcc, s21, v9
	s_and_saveexec_b64 s[6:7], vcc
	s_cbranch_execz .LBB57_96
; %bb.91:                               ;   in Loop: Header=BB57_59 Depth=1
	v_cmp_lt_u32_e32 vcc, s22, v9
                                        ; implicit-def: $vgpr10
	s_and_saveexec_b64 s[8:9], vcc
	s_xor_b64 s[8:9], exec, s[8:9]
; %bb.92:                               ;   in Loop: Header=BB57_59 Depth=1
	v_bfe_u32 v9, v4, 20, 1
	v_add3_u32 v9, v4, v9, s23
	v_lshrrev_b32_e32 v10, 20, v9
; %bb.93:                               ;   in Loop: Header=BB57_59 Depth=1
	s_andn2_saveexec_b64 s[8:9], s[8:9]
; %bb.94:                               ;   in Loop: Header=BB57_59 Depth=1
	v_add_f32_e64 v10, |v4|, s24
; %bb.95:                               ;   in Loop: Header=BB57_59 Depth=1
	s_or_b64 exec, exec, s[8:9]
.LBB57_96:                              ;   in Loop: Header=BB57_59 Depth=1
	s_or_b64 exec, exec, s[6:7]
	v_fma_mixlo_f16 v6, v36, v6, 0
	v_mul_f16_e32 v6, v5, v6
	v_cvt_f32_f16_e32 v9, v6
	v_mov_b32_e32 v6, 0x7f
	v_div_scale_f32 v16, s[6:7], v11, v11, v9
	v_rcp_f32_e32 v17, v16
	v_div_scale_f32 v18, vcc, v9, v11, v9
	v_fma_f32 v19, -v16, v17, 1.0
	v_fmac_f32_e32 v17, v19, v17
	v_mul_f32_e32 v19, v18, v17
	v_fma_f32 v20, -v16, v19, v18
	v_fmac_f32_e32 v19, v20, v17
	v_fma_f32 v16, -v16, v19, v18
	v_div_fmas_f32 v16, v16, v17, v19
	v_div_fixup_f32 v9, v16, v11, v9
	v_min_f32_e32 v9, 0x43e00000, v9
	v_max_f32_e32 v16, 0xc3e00000, v9
	v_and_b32_e32 v17, 0x7fffffff, v16
	v_cmp_gt_u32_e32 vcc, s21, v17
	v_mov_b32_e32 v9, 0x7f
	s_and_saveexec_b64 s[6:7], vcc
	s_cbranch_execz .LBB57_102
; %bb.97:                               ;   in Loop: Header=BB57_59 Depth=1
	v_cmp_lt_u32_e32 vcc, s22, v17
                                        ; implicit-def: $vgpr9
	s_and_saveexec_b64 s[8:9], vcc
	s_xor_b64 s[8:9], exec, s[8:9]
; %bb.98:                               ;   in Loop: Header=BB57_59 Depth=1
	v_bfe_u32 v9, v16, 20, 1
	v_add3_u32 v9, v16, v9, s23
	v_lshrrev_b32_e32 v9, 20, v9
; %bb.99:                               ;   in Loop: Header=BB57_59 Depth=1
	s_andn2_saveexec_b64 s[8:9], s[8:9]
; %bb.100:                              ;   in Loop: Header=BB57_59 Depth=1
	v_add_f32_e64 v9, |v16|, s24
; %bb.101:                              ;   in Loop: Header=BB57_59 Depth=1
	s_or_b64 exec, exec, s[8:9]
.LBB57_102:                             ;   in Loop: Header=BB57_59 Depth=1
	s_or_b64 exec, exec, s[6:7]
	v_fma_mixlo_f16 v7, v36, v7, 0
	v_mul_f16_sdwa v5, v5, v7 dst_sel:DWORD dst_unused:UNUSED_PAD src0_sel:WORD_1 src1_sel:DWORD
	v_cvt_f32_f16_e32 v5, v5
	v_div_scale_f32 v7, s[6:7], v11, v11, v5
	v_rcp_f32_e32 v17, v7
	v_div_scale_f32 v18, vcc, v5, v11, v5
	v_fma_f32 v19, -v7, v17, 1.0
	v_fmac_f32_e32 v17, v19, v17
	v_mul_f32_e32 v19, v18, v17
	v_fma_f32 v20, -v7, v19, v18
	v_fmac_f32_e32 v19, v20, v17
	v_fma_f32 v7, -v7, v19, v18
	v_div_fmas_f32 v7, v7, v17, v19
	v_div_fixup_f32 v5, v7, v11, v5
	v_min_f32_e32 v5, 0x43e00000, v5
	v_max_f32_e32 v5, 0xc3e00000, v5
	v_and_b32_e32 v7, 0x7fffffff, v5
	v_cmp_gt_u32_e32 vcc, s21, v7
	s_and_saveexec_b64 s[6:7], vcc
	s_cbranch_execz .LBB57_108
; %bb.103:                              ;   in Loop: Header=BB57_59 Depth=1
	v_cmp_lt_u32_e32 vcc, s22, v7
                                        ; implicit-def: $vgpr6
	s_and_saveexec_b64 s[8:9], vcc
	s_xor_b64 s[8:9], exec, s[8:9]
; %bb.104:                              ;   in Loop: Header=BB57_59 Depth=1
	v_bfe_u32 v6, v5, 20, 1
	v_add3_u32 v6, v5, v6, s23
	v_lshrrev_b32_e32 v6, 20, v6
; %bb.105:                              ;   in Loop: Header=BB57_59 Depth=1
	s_andn2_saveexec_b64 s[8:9], s[8:9]
; %bb.106:                              ;   in Loop: Header=BB57_59 Depth=1
	v_add_f32_e64 v6, |v5|, s24
; %bb.107:                              ;   in Loop: Header=BB57_59 Depth=1
	s_or_b64 exec, exec, s[8:9]
.LBB57_108:                             ;   in Loop: Header=BB57_59 Depth=1
	s_or_b64 exec, exec, s[6:7]
	v_and_b32_sdwa v7, v16, s25 dst_sel:DWORD dst_unused:UNUSED_PAD src0_sel:BYTE_3 src1_sel:DWORD
	v_lshlrev_b64 v[16:17], 2, v[2:3]
	v_mov_b32_e32 v3, s18
	v_add_co_u32_e32 v16, vcc, s13, v16
	v_addc_co_u32_e32 v17, vcc, v3, v17, vcc
	v_lshlrev_b32_e32 v3, 24, v6
	v_and_or_b32 v6, v9, s26, v7
	v_and_b32_sdwa v4, v4, s25 dst_sel:DWORD dst_unused:UNUSED_PAD src0_sel:BYTE_3 src1_sel:DWORD
	v_and_b32_e32 v5, 0x80000000, v5
	v_lshlrev_b32_e32 v6, 16, v6
	v_lshrrev_b32_e32 v11, 24, v15
	v_or3_b32 v3, v5, v3, v6
	v_and_or_b32 v4, v10, s26, v4
	v_and_b32_e32 v5, 0xff, v8
	v_lshlrev_b32_e32 v4, 8, v4
	v_and_or_b32 v5, v11, s25, v5
	v_or3_b32 v3, v3, v4, v5
	v_add_u32_e32 v4, s20, v0
	v_cmp_gt_u32_e32 vcc, s12, v4
	s_mov_b64 s[8:9], -1
	global_store_dword v[16:17], v3, off
	s_and_saveexec_b64 s[6:7], vcc
	s_cbranch_execz .LBB57_57
; %bb.109:                              ;   in Loop: Header=BB57_59 Depth=1
	v_mov_b32_e32 v5, v1
	v_lshlrev_b64 v[6:7], 3, v[4:5]
	v_mov_b32_e32 v3, s44
	v_add_co_u32_e32 v8, vcc, s33, v6
	v_addc_co_u32_e32 v9, vcc, v3, v7, vcc
	v_mov_b32_e32 v3, s46
	v_add_co_u32_e32 v16, vcc, s45, v6
	v_addc_co_u32_e32 v17, vcc, v3, v7, vcc
	global_load_dwordx2 v[8:9], v[8:9], off
	v_mov_b32_e32 v3, s15
	global_load_dwordx2 v[10:11], v[16:17], off
	v_add_co_u32_e32 v6, vcc, s14, v6
	v_addc_co_u32_e32 v7, vcc, v3, v7, vcc
	global_load_dwordx2 v[6:7], v[6:7], off
	v_lshrrev_b32_e32 v3, 2, v4
	v_and_b32_e32 v3, 0xffffffc, v3
	global_load_dword v15, v3, s[0:1]
	v_mov_b32_e32 v3, 0x7f
	s_waitcnt vmcnt(3)
	v_cvt_f32_f16_e32 v20, v8
	v_cvt_f32_f16_sdwa v21, v8 dst_sel:DWORD dst_unused:UNUSED_PAD src0_sel:WORD_1
	s_waitcnt vmcnt(2)
	v_cvt_f32_f16_e32 v22, v10
	v_cvt_f32_f16_sdwa v23, v10 dst_sel:DWORD dst_unused:UNUSED_PAD src0_sel:WORD_1
	v_cvt_f32_f16_e32 v18, v9
	v_cvt_f32_f16_sdwa v19, v9 dst_sel:DWORD dst_unused:UNUSED_PAD src0_sel:WORD_1
	;; [unrolled: 2-line block ×3, first 2 shown]
	v_pk_add_f32 v[10:11], v[20:21], v[22:23]
	v_cvt_f16_f32_e32 v21, v10
	v_fma_mixlo_f16 v10, v36, v10, 0
	v_pk_add_f32 v[8:9], v[18:19], v[8:9]
	s_waitcnt vmcnt(1)
	v_mul_f16_e32 v10, v6, v10
	v_cvt_f16_f32_e32 v18, v9
	v_cvt_f16_f32_e32 v19, v8
	;; [unrolled: 1-line block ×3, first 2 shown]
	v_cvt_f32_f16_e32 v10, v10
	v_pack_b32_f16 v19, v19, v18
	v_pack_b32_f16 v18, v21, v20
	s_waitcnt vmcnt(0)
	v_div_scale_f32 v20, s[8:9], v15, v15, v10
	v_rcp_f32_e32 v21, v20
	global_store_dwordx2 v[16:17], v[18:19], off
	v_div_scale_f32 v16, vcc, v10, v15, v10
	v_fma_f32 v17, -v20, v21, 1.0
	v_fmac_f32_e32 v21, v17, v21
	v_mul_f32_e32 v17, v16, v21
	v_fma_f32 v18, -v20, v17, v16
	v_fmac_f32_e32 v17, v18, v21
	v_fma_f32 v16, -v20, v17, v16
	v_div_fmas_f32 v16, v16, v21, v17
	v_div_fixup_f32 v10, v16, v15, v10
	v_min_f32_e32 v10, 0x43e00000, v10
	v_max_f32_e32 v16, 0xc3e00000, v10
	v_and_b32_e32 v17, 0x7fffffff, v16
	v_cmp_gt_u32_e32 vcc, s21, v17
	v_mov_b32_e32 v10, 0x7f
	s_and_saveexec_b64 s[8:9], vcc
	s_cbranch_execz .LBB57_115
; %bb.110:                              ;   in Loop: Header=BB57_59 Depth=1
	v_cmp_lt_u32_e32 vcc, s22, v17
                                        ; implicit-def: $vgpr10
	s_and_saveexec_b64 s[10:11], vcc
	s_xor_b64 s[10:11], exec, s[10:11]
; %bb.111:                              ;   in Loop: Header=BB57_59 Depth=1
	v_bfe_u32 v10, v16, 20, 1
	v_add3_u32 v10, v16, v10, s23
	v_lshrrev_b32_e32 v10, 20, v10
; %bb.112:                              ;   in Loop: Header=BB57_59 Depth=1
	s_andn2_saveexec_b64 s[10:11], s[10:11]
; %bb.113:                              ;   in Loop: Header=BB57_59 Depth=1
	v_add_f32_e64 v10, |v16|, s24
; %bb.114:                              ;   in Loop: Header=BB57_59 Depth=1
	s_or_b64 exec, exec, s[10:11]
.LBB57_115:                             ;   in Loop: Header=BB57_59 Depth=1
	s_or_b64 exec, exec, s[8:9]
	v_fma_mixlo_f16 v11, v36, v11, 0
	v_mul_f16_sdwa v6, v6, v11 dst_sel:DWORD dst_unused:UNUSED_PAD src0_sel:WORD_1 src1_sel:DWORD
	v_cvt_f32_f16_e32 v6, v6
	v_div_scale_f32 v11, s[8:9], v15, v15, v6
	v_rcp_f32_e32 v17, v11
	v_div_scale_f32 v18, vcc, v6, v15, v6
	v_fma_f32 v19, -v11, v17, 1.0
	v_fmac_f32_e32 v17, v19, v17
	v_mul_f32_e32 v19, v18, v17
	v_fma_f32 v20, -v11, v19, v18
	v_fmac_f32_e32 v19, v20, v17
	v_fma_f32 v11, -v11, v19, v18
	v_div_fmas_f32 v11, v11, v17, v19
	v_div_fixup_f32 v6, v11, v15, v6
	v_min_f32_e32 v6, 0x43e00000, v6
	v_max_f32_e32 v6, 0xc3e00000, v6
	v_and_b32_e32 v11, 0x7fffffff, v6
	v_cmp_gt_u32_e32 vcc, s21, v11
	s_and_saveexec_b64 s[8:9], vcc
	s_cbranch_execz .LBB57_121
; %bb.116:                              ;   in Loop: Header=BB57_59 Depth=1
	v_cmp_lt_u32_e32 vcc, s22, v11
                                        ; implicit-def: $vgpr3
	s_and_saveexec_b64 s[10:11], vcc
	s_xor_b64 s[10:11], exec, s[10:11]
; %bb.117:                              ;   in Loop: Header=BB57_59 Depth=1
	v_bfe_u32 v3, v6, 20, 1
	v_add3_u32 v3, v6, v3, s23
	v_lshrrev_b32_e32 v3, 20, v3
; %bb.118:                              ;   in Loop: Header=BB57_59 Depth=1
	s_andn2_saveexec_b64 s[10:11], s[10:11]
; %bb.119:                              ;   in Loop: Header=BB57_59 Depth=1
	v_add_f32_e64 v3, |v6|, s24
; %bb.120:                              ;   in Loop: Header=BB57_59 Depth=1
	s_or_b64 exec, exec, s[10:11]
.LBB57_121:                             ;   in Loop: Header=BB57_59 Depth=1
	s_or_b64 exec, exec, s[8:9]
	v_fma_mixlo_f16 v8, v36, v8, 0
	v_mul_f16_e32 v8, v7, v8
	v_cvt_f32_f16_e32 v11, v8
	v_mov_b32_e32 v8, 0x7f
	v_div_scale_f32 v17, s[8:9], v15, v15, v11
	v_rcp_f32_e32 v18, v17
	v_div_scale_f32 v19, vcc, v11, v15, v11
	v_fma_f32 v20, -v17, v18, 1.0
	v_fmac_f32_e32 v18, v20, v18
	v_mul_f32_e32 v20, v19, v18
	v_fma_f32 v21, -v17, v20, v19
	v_fmac_f32_e32 v20, v21, v18
	v_fma_f32 v17, -v17, v20, v19
	v_div_fmas_f32 v17, v17, v18, v20
	v_div_fixup_f32 v11, v17, v15, v11
	v_min_f32_e32 v11, 0x43e00000, v11
	v_max_f32_e32 v17, 0xc3e00000, v11
	v_and_b32_e32 v18, 0x7fffffff, v17
	v_cmp_gt_u32_e32 vcc, s21, v18
	v_mov_b32_e32 v11, 0x7f
	s_and_saveexec_b64 s[8:9], vcc
	s_cbranch_execz .LBB57_127
; %bb.122:                              ;   in Loop: Header=BB57_59 Depth=1
	v_cmp_lt_u32_e32 vcc, s22, v18
                                        ; implicit-def: $vgpr11
	s_and_saveexec_b64 s[10:11], vcc
	s_xor_b64 s[10:11], exec, s[10:11]
; %bb.123:                              ;   in Loop: Header=BB57_59 Depth=1
	v_bfe_u32 v11, v17, 20, 1
	v_add3_u32 v11, v17, v11, s23
	v_lshrrev_b32_e32 v11, 20, v11
; %bb.124:                              ;   in Loop: Header=BB57_59 Depth=1
	s_andn2_saveexec_b64 s[10:11], s[10:11]
; %bb.125:                              ;   in Loop: Header=BB57_59 Depth=1
	v_add_f32_e64 v11, |v17|, s24
; %bb.126:                              ;   in Loop: Header=BB57_59 Depth=1
	s_or_b64 exec, exec, s[10:11]
.LBB57_127:                             ;   in Loop: Header=BB57_59 Depth=1
	s_or_b64 exec, exec, s[8:9]
	v_fma_mixlo_f16 v9, v36, v9, 0
	v_mul_f16_sdwa v7, v7, v9 dst_sel:DWORD dst_unused:UNUSED_PAD src0_sel:WORD_1 src1_sel:DWORD
	v_cvt_f32_f16_e32 v7, v7
	v_div_scale_f32 v9, s[8:9], v15, v15, v7
	v_rcp_f32_e32 v18, v9
	v_div_scale_f32 v19, vcc, v7, v15, v7
	v_fma_f32 v20, -v9, v18, 1.0
	v_fmac_f32_e32 v18, v20, v18
	v_mul_f32_e32 v20, v19, v18
	v_fma_f32 v21, -v9, v20, v19
	v_fmac_f32_e32 v20, v21, v18
	v_fma_f32 v9, -v9, v20, v19
	v_div_fmas_f32 v9, v9, v18, v20
	v_div_fixup_f32 v7, v9, v15, v7
	v_min_f32_e32 v7, 0x43e00000, v7
	v_max_f32_e32 v7, 0xc3e00000, v7
	v_and_b32_e32 v9, 0x7fffffff, v7
	v_cmp_gt_u32_e32 vcc, s21, v9
	s_and_saveexec_b64 s[8:9], vcc
	s_cbranch_execz .LBB57_133
; %bb.128:                              ;   in Loop: Header=BB57_59 Depth=1
	v_cmp_lt_u32_e32 vcc, s22, v9
                                        ; implicit-def: $vgpr8
	s_and_saveexec_b64 s[10:11], vcc
	s_xor_b64 s[10:11], exec, s[10:11]
; %bb.129:                              ;   in Loop: Header=BB57_59 Depth=1
	v_bfe_u32 v8, v7, 20, 1
	v_add3_u32 v8, v7, v8, s23
	v_lshrrev_b32_e32 v8, 20, v8
; %bb.130:                              ;   in Loop: Header=BB57_59 Depth=1
	s_andn2_saveexec_b64 s[10:11], s[10:11]
; %bb.131:                              ;   in Loop: Header=BB57_59 Depth=1
	v_add_f32_e64 v8, |v7|, s24
; %bb.132:                              ;   in Loop: Header=BB57_59 Depth=1
	s_or_b64 exec, exec, s[10:11]
.LBB57_133:                             ;   in Loop: Header=BB57_59 Depth=1
	s_or_b64 exec, exec, s[8:9]
	v_and_b32_sdwa v9, v17, s25 dst_sel:DWORD dst_unused:UNUSED_PAD src0_sel:BYTE_3 src1_sel:DWORD
	v_and_b32_sdwa v6, v6, s25 dst_sel:DWORD dst_unused:UNUSED_PAD src0_sel:BYTE_3 src1_sel:DWORD
	v_lshlrev_b64 v[4:5], 2, v[4:5]
	v_and_or_b32 v9, v11, s26, v9
	v_lshrrev_b32_e32 v15, 24, v16
	v_mov_b32_e32 v16, s18
	v_add_co_u32_e32 v4, vcc, s13, v4
	v_lshlrev_b32_e32 v8, 24, v8
	v_and_b32_e32 v7, 0x80000000, v7
	v_lshlrev_b32_e32 v9, 16, v9
	v_and_or_b32 v3, v3, s26, v6
	v_and_b32_e32 v6, 0xff, v10
	v_addc_co_u32_e32 v5, vcc, v16, v5, vcc
	v_or3_b32 v7, v7, v8, v9
	v_lshlrev_b32_e32 v3, 8, v3
	v_and_or_b32 v6, v15, s25, v6
	v_add_u32_e32 v0, s19, v0
	v_or3_b32 v3, v7, v3, v6
	v_cmp_gt_u32_e32 vcc, s12, v0
	s_mov_b64 s[10:11], -1
	global_store_dword v[4:5], v3, off
	s_and_saveexec_b64 s[8:9], vcc
	s_cbranch_execz .LBB57_56
; %bb.134:                              ;   in Loop: Header=BB57_59 Depth=1
	v_lshlrev_b64 v[4:5], 3, v[0:1]
	v_mov_b32_e32 v3, s44
	v_add_co_u32_e32 v6, vcc, s33, v4
	v_addc_co_u32_e32 v7, vcc, v3, v5, vcc
	v_mov_b32_e32 v3, s46
	v_add_co_u32_e32 v16, vcc, s45, v4
	v_addc_co_u32_e32 v17, vcc, v3, v5, vcc
	global_load_dwordx2 v[6:7], v[6:7], off
	v_mov_b32_e32 v3, s15
	global_load_dwordx2 v[8:9], v[16:17], off
	v_add_co_u32_e32 v4, vcc, s14, v4
	v_addc_co_u32_e32 v5, vcc, v3, v5, vcc
	global_load_dwordx2 v[4:5], v[4:5], off
	v_lshrrev_b32_e32 v3, 2, v0
	v_and_b32_e32 v3, 0xffffffc, v3
	global_load_dword v10, v3, s[0:1]
	v_mov_b32_e32 v3, 0x7f
	s_waitcnt vmcnt(3)
	v_cvt_f32_f16_e32 v20, v6
	v_cvt_f32_f16_sdwa v21, v6 dst_sel:DWORD dst_unused:UNUSED_PAD src0_sel:WORD_1
	s_waitcnt vmcnt(2)
	v_cvt_f32_f16_e32 v22, v8
	v_cvt_f32_f16_sdwa v23, v8 dst_sel:DWORD dst_unused:UNUSED_PAD src0_sel:WORD_1
	v_cvt_f32_f16_e32 v18, v7
	v_cvt_f32_f16_sdwa v19, v7 dst_sel:DWORD dst_unused:UNUSED_PAD src0_sel:WORD_1
	;; [unrolled: 2-line block ×3, first 2 shown]
	v_pk_add_f32 v[8:9], v[20:21], v[22:23]
	v_cvt_f16_f32_e32 v20, v8
	v_fma_mixlo_f16 v8, v36, v8, 0
	v_pk_add_f32 v[6:7], v[18:19], v[6:7]
	s_waitcnt vmcnt(1)
	v_mul_f16_e32 v8, v4, v8
	v_cvt_f16_f32_e32 v11, v7
	v_cvt_f16_f32_e32 v15, v6
	v_cvt_f32_f16_e32 v8, v8
	v_cvt_f16_f32_e32 v18, v9
	v_pack_b32_f16 v19, v15, v11
	s_waitcnt vmcnt(0)
	v_div_scale_f32 v11, s[10:11], v10, v10, v8
	v_rcp_f32_e32 v15, v11
	v_pack_b32_f16 v18, v20, v18
	global_store_dwordx2 v[16:17], v[18:19], off
	v_div_scale_f32 v16, vcc, v8, v10, v8
	v_fma_f32 v17, -v11, v15, 1.0
	v_fmac_f32_e32 v15, v17, v15
	v_mul_f32_e32 v17, v16, v15
	v_fma_f32 v18, -v11, v17, v16
	v_fmac_f32_e32 v17, v18, v15
	v_fma_f32 v11, -v11, v17, v16
	v_div_fmas_f32 v11, v11, v15, v17
	v_div_fixup_f32 v8, v11, v10, v8
	v_min_f32_e32 v8, 0x43e00000, v8
	v_max_f32_e32 v11, 0xc3e00000, v8
	v_and_b32_e32 v15, 0x7fffffff, v11
	v_cmp_gt_u32_e32 vcc, s21, v15
	v_mov_b32_e32 v8, 0x7f
	s_and_saveexec_b64 s[10:11], vcc
	s_cbranch_execz .LBB57_140
; %bb.135:                              ;   in Loop: Header=BB57_59 Depth=1
	v_cmp_lt_u32_e32 vcc, s22, v15
                                        ; implicit-def: $vgpr8
	s_and_saveexec_b64 s[16:17], vcc
	s_xor_b64 s[16:17], exec, s[16:17]
; %bb.136:                              ;   in Loop: Header=BB57_59 Depth=1
	v_bfe_u32 v8, v11, 20, 1
	v_add3_u32 v8, v11, v8, s23
	v_lshrrev_b32_e32 v8, 20, v8
; %bb.137:                              ;   in Loop: Header=BB57_59 Depth=1
	s_andn2_saveexec_b64 s[16:17], s[16:17]
; %bb.138:                              ;   in Loop: Header=BB57_59 Depth=1
	v_add_f32_e64 v8, |v11|, s24
; %bb.139:                              ;   in Loop: Header=BB57_59 Depth=1
	s_or_b64 exec, exec, s[16:17]
.LBB57_140:                             ;   in Loop: Header=BB57_59 Depth=1
	s_or_b64 exec, exec, s[10:11]
	v_fma_mixlo_f16 v9, v36, v9, 0
	v_mul_f16_sdwa v4, v4, v9 dst_sel:DWORD dst_unused:UNUSED_PAD src0_sel:WORD_1 src1_sel:DWORD
	v_cvt_f32_f16_e32 v4, v4
	v_div_scale_f32 v9, s[10:11], v10, v10, v4
	v_rcp_f32_e32 v15, v9
	v_div_scale_f32 v16, vcc, v4, v10, v4
	v_fma_f32 v17, -v9, v15, 1.0
	v_fmac_f32_e32 v15, v17, v15
	v_mul_f32_e32 v17, v16, v15
	v_fma_f32 v18, -v9, v17, v16
	v_fmac_f32_e32 v17, v18, v15
	v_fma_f32 v9, -v9, v17, v16
	v_div_fmas_f32 v9, v9, v15, v17
	v_div_fixup_f32 v4, v9, v10, v4
	v_min_f32_e32 v4, 0x43e00000, v4
	v_max_f32_e32 v4, 0xc3e00000, v4
	v_and_b32_e32 v9, 0x7fffffff, v4
	v_cmp_gt_u32_e32 vcc, s21, v9
	s_and_saveexec_b64 s[10:11], vcc
	s_cbranch_execz .LBB57_146
; %bb.141:                              ;   in Loop: Header=BB57_59 Depth=1
	v_cmp_lt_u32_e32 vcc, s22, v9
                                        ; implicit-def: $vgpr3
	s_and_saveexec_b64 s[16:17], vcc
	s_xor_b64 s[16:17], exec, s[16:17]
; %bb.142:                              ;   in Loop: Header=BB57_59 Depth=1
	v_bfe_u32 v3, v4, 20, 1
	v_add3_u32 v3, v4, v3, s23
	v_lshrrev_b32_e32 v3, 20, v3
; %bb.143:                              ;   in Loop: Header=BB57_59 Depth=1
	s_andn2_saveexec_b64 s[16:17], s[16:17]
; %bb.144:                              ;   in Loop: Header=BB57_59 Depth=1
	v_add_f32_e64 v3, |v4|, s24
; %bb.145:                              ;   in Loop: Header=BB57_59 Depth=1
	s_or_b64 exec, exec, s[16:17]
.LBB57_146:                             ;   in Loop: Header=BB57_59 Depth=1
	s_or_b64 exec, exec, s[10:11]
	v_fma_mixlo_f16 v6, v36, v6, 0
	v_mul_f16_e32 v6, v5, v6
	v_cvt_f32_f16_e32 v9, v6
	v_mov_b32_e32 v6, 0x7f
	v_div_scale_f32 v15, s[10:11], v10, v10, v9
	v_rcp_f32_e32 v16, v15
	v_div_scale_f32 v17, vcc, v9, v10, v9
	v_fma_f32 v18, -v15, v16, 1.0
	v_fmac_f32_e32 v16, v18, v16
	v_mul_f32_e32 v18, v17, v16
	v_fma_f32 v19, -v15, v18, v17
	v_fmac_f32_e32 v18, v19, v16
	v_fma_f32 v15, -v15, v18, v17
	v_div_fmas_f32 v15, v15, v16, v18
	v_div_fixup_f32 v9, v15, v10, v9
	v_min_f32_e32 v9, 0x43e00000, v9
	v_max_f32_e32 v15, 0xc3e00000, v9
	v_and_b32_e32 v16, 0x7fffffff, v15
	v_cmp_gt_u32_e32 vcc, s21, v16
	v_mov_b32_e32 v9, 0x7f
	s_and_saveexec_b64 s[10:11], vcc
	s_cbranch_execz .LBB57_152
; %bb.147:                              ;   in Loop: Header=BB57_59 Depth=1
	v_cmp_lt_u32_e32 vcc, s22, v16
                                        ; implicit-def: $vgpr9
	s_and_saveexec_b64 s[16:17], vcc
	s_xor_b64 s[16:17], exec, s[16:17]
; %bb.148:                              ;   in Loop: Header=BB57_59 Depth=1
	v_bfe_u32 v9, v15, 20, 1
	v_add3_u32 v9, v15, v9, s23
	v_lshrrev_b32_e32 v9, 20, v9
; %bb.149:                              ;   in Loop: Header=BB57_59 Depth=1
	s_andn2_saveexec_b64 s[16:17], s[16:17]
; %bb.150:                              ;   in Loop: Header=BB57_59 Depth=1
	v_add_f32_e64 v9, |v15|, s24
; %bb.151:                              ;   in Loop: Header=BB57_59 Depth=1
	s_or_b64 exec, exec, s[16:17]
.LBB57_152:                             ;   in Loop: Header=BB57_59 Depth=1
	s_or_b64 exec, exec, s[10:11]
	v_fma_mixlo_f16 v7, v36, v7, 0
	v_mul_f16_sdwa v5, v5, v7 dst_sel:DWORD dst_unused:UNUSED_PAD src0_sel:WORD_1 src1_sel:DWORD
	v_cvt_f32_f16_e32 v5, v5
	v_div_scale_f32 v7, s[10:11], v10, v10, v5
	v_rcp_f32_e32 v16, v7
	v_div_scale_f32 v17, vcc, v5, v10, v5
	v_fma_f32 v18, -v7, v16, 1.0
	v_fmac_f32_e32 v16, v18, v16
	v_mul_f32_e32 v18, v17, v16
	v_fma_f32 v19, -v7, v18, v17
	v_fmac_f32_e32 v18, v19, v16
	v_fma_f32 v7, -v7, v18, v17
	v_div_fmas_f32 v7, v7, v16, v18
	v_div_fixup_f32 v5, v7, v10, v5
	v_min_f32_e32 v5, 0x43e00000, v5
	v_max_f32_e32 v5, 0xc3e00000, v5
	v_and_b32_e32 v7, 0x7fffffff, v5
	v_cmp_gt_u32_e32 vcc, s21, v7
	s_and_saveexec_b64 s[10:11], vcc
	s_cbranch_execz .LBB57_55
; %bb.153:                              ;   in Loop: Header=BB57_59 Depth=1
	v_cmp_lt_u32_e32 vcc, s22, v7
                                        ; implicit-def: $vgpr6
	s_and_saveexec_b64 s[16:17], vcc
	s_xor_b64 s[16:17], exec, s[16:17]
; %bb.154:                              ;   in Loop: Header=BB57_59 Depth=1
	v_bfe_u32 v6, v5, 20, 1
	v_add3_u32 v6, v5, v6, s23
	v_lshrrev_b32_e32 v6, 20, v6
; %bb.155:                              ;   in Loop: Header=BB57_59 Depth=1
	s_andn2_saveexec_b64 s[16:17], s[16:17]
	s_cbranch_execz .LBB57_54
; %bb.156:                              ;   in Loop: Header=BB57_59 Depth=1
	v_add_f32_e64 v6, |v5|, s24
	s_branch .LBB57_54
.LBB57_157:
	s_endpgm
	.section	.rodata,"a",@progbits
	.p2align	6, 0x0
	.amdhsa_kernel _ZN4vllm31rms_norm_per_block_quant_kernelIN3c104HalfENS1_13Float8_e4m3fnELb1ELb0ELi64EEEvPT0_PfPKT_S9_PKffiiPS7_l
		.amdhsa_group_segment_fixed_size 4164
		.amdhsa_private_segment_fixed_size 0
		.amdhsa_kernarg_size 328
		.amdhsa_user_sgpr_count 6
		.amdhsa_user_sgpr_private_segment_buffer 1
		.amdhsa_user_sgpr_dispatch_ptr 0
		.amdhsa_user_sgpr_queue_ptr 0
		.amdhsa_user_sgpr_kernarg_segment_ptr 1
		.amdhsa_user_sgpr_dispatch_id 0
		.amdhsa_user_sgpr_flat_scratch_init 0
		.amdhsa_user_sgpr_kernarg_preload_length 0
		.amdhsa_user_sgpr_kernarg_preload_offset 0
		.amdhsa_user_sgpr_private_segment_size 0
		.amdhsa_uses_dynamic_stack 0
		.amdhsa_system_sgpr_private_segment_wavefront_offset 0
		.amdhsa_system_sgpr_workgroup_id_x 1
		.amdhsa_system_sgpr_workgroup_id_y 0
		.amdhsa_system_sgpr_workgroup_id_z 0
		.amdhsa_system_sgpr_workgroup_info 0
		.amdhsa_system_vgpr_workitem_id 0
		.amdhsa_next_free_vgpr 40
		.amdhsa_next_free_sgpr 48
		.amdhsa_accum_offset 40
		.amdhsa_reserve_vcc 1
		.amdhsa_reserve_flat_scratch 0
		.amdhsa_float_round_mode_32 0
		.amdhsa_float_round_mode_16_64 0
		.amdhsa_float_denorm_mode_32 3
		.amdhsa_float_denorm_mode_16_64 3
		.amdhsa_dx10_clamp 1
		.amdhsa_ieee_mode 1
		.amdhsa_fp16_overflow 0
		.amdhsa_tg_split 0
		.amdhsa_exception_fp_ieee_invalid_op 0
		.amdhsa_exception_fp_denorm_src 0
		.amdhsa_exception_fp_ieee_div_zero 0
		.amdhsa_exception_fp_ieee_overflow 0
		.amdhsa_exception_fp_ieee_underflow 0
		.amdhsa_exception_fp_ieee_inexact 0
		.amdhsa_exception_int_div_zero 0
	.end_amdhsa_kernel
	.section	.text._ZN4vllm31rms_norm_per_block_quant_kernelIN3c104HalfENS1_13Float8_e4m3fnELb1ELb0ELi64EEEvPT0_PfPKT_S9_PKffiiPS7_l,"axG",@progbits,_ZN4vllm31rms_norm_per_block_quant_kernelIN3c104HalfENS1_13Float8_e4m3fnELb1ELb0ELi64EEEvPT0_PfPKT_S9_PKffiiPS7_l,comdat
.Lfunc_end57:
	.size	_ZN4vllm31rms_norm_per_block_quant_kernelIN3c104HalfENS1_13Float8_e4m3fnELb1ELb0ELi64EEEvPT0_PfPKT_S9_PKffiiPS7_l, .Lfunc_end57-_ZN4vllm31rms_norm_per_block_quant_kernelIN3c104HalfENS1_13Float8_e4m3fnELb1ELb0ELi64EEEvPT0_PfPKT_S9_PKffiiPS7_l
                                        ; -- End function
	.section	.AMDGPU.csdata,"",@progbits
; Kernel info:
; codeLenInByte = 9144
; NumSgprs: 52
; NumVgprs: 40
; NumAgprs: 0
; TotalNumVgprs: 40
; ScratchSize: 0
; MemoryBound: 0
; FloatMode: 240
; IeeeMode: 1
; LDSByteSize: 4164 bytes/workgroup (compile time only)
; SGPRBlocks: 6
; VGPRBlocks: 4
; NumSGPRsForWavesPerEU: 52
; NumVGPRsForWavesPerEU: 40
; AccumOffset: 40
; Occupancy: 8
; WaveLimiterHint : 0
; COMPUTE_PGM_RSRC2:SCRATCH_EN: 0
; COMPUTE_PGM_RSRC2:USER_SGPR: 6
; COMPUTE_PGM_RSRC2:TRAP_HANDLER: 0
; COMPUTE_PGM_RSRC2:TGID_X_EN: 1
; COMPUTE_PGM_RSRC2:TGID_Y_EN: 0
; COMPUTE_PGM_RSRC2:TGID_Z_EN: 0
; COMPUTE_PGM_RSRC2:TIDIG_COMP_CNT: 0
; COMPUTE_PGM_RSRC3_GFX90A:ACCUM_OFFSET: 9
; COMPUTE_PGM_RSRC3_GFX90A:TG_SPLIT: 0
	.section	.text._ZN4vllm31rms_norm_per_block_quant_kernelIN3c104HalfENS1_15Float8_e4m3fnuzELb1ELb0ELi64EEEvPT0_PfPKT_S9_PKffiiPS7_l,"axG",@progbits,_ZN4vllm31rms_norm_per_block_quant_kernelIN3c104HalfENS1_15Float8_e4m3fnuzELb1ELb0ELi64EEEvPT0_PfPKT_S9_PKffiiPS7_l,comdat
	.protected	_ZN4vllm31rms_norm_per_block_quant_kernelIN3c104HalfENS1_15Float8_e4m3fnuzELb1ELb0ELi64EEEvPT0_PfPKT_S9_PKffiiPS7_l ; -- Begin function _ZN4vllm31rms_norm_per_block_quant_kernelIN3c104HalfENS1_15Float8_e4m3fnuzELb1ELb0ELi64EEEvPT0_PfPKT_S9_PKffiiPS7_l
	.globl	_ZN4vllm31rms_norm_per_block_quant_kernelIN3c104HalfENS1_15Float8_e4m3fnuzELb1ELb0ELi64EEEvPT0_PfPKT_S9_PKffiiPS7_l
	.p2align	8
	.type	_ZN4vllm31rms_norm_per_block_quant_kernelIN3c104HalfENS1_15Float8_e4m3fnuzELb1ELb0ELi64EEEvPT0_PfPKT_S9_PKffiiPS7_l,@function
_ZN4vllm31rms_norm_per_block_quant_kernelIN3c104HalfENS1_15Float8_e4m3fnuzELb1ELb0ELi64EEEvPT0_PfPKT_S9_PKffiiPS7_l: ; @_ZN4vllm31rms_norm_per_block_quant_kernelIN3c104HalfENS1_15Float8_e4m3fnuzELb1ELb0ELi64EEEvPT0_PfPKT_S9_PKffiiPS7_l
; %bb.0:
	s_load_dwordx4 s[16:19], s[4:5], 0x28
	s_load_dwordx8 s[8:15], s[4:5], 0x0
	s_load_dwordx2 s[0:1], s[4:5], 0x38
	v_mov_b32_e32 v1, 0
	s_waitcnt lgkmcnt(0)
	s_ashr_i32 s2, s18, 31
	s_mul_hi_u32 s3, s18, s6
	s_mul_i32 s2, s2, s6
	s_ashr_i32 s21, s17, 31
	s_add_i32 s3, s3, s2
	s_mul_i32 s2, s18, s6
	s_mul_hi_u32 s7, s17, s6
	s_mul_i32 s18, s21, s6
	s_add_i32 s19, s7, s18
	s_lshl_b64 s[2:3], s[2:3], 1
	s_mul_i32 s18, s17, s6
	s_add_u32 s33, s12, s2
	s_addc_u32 s44, s13, s3
	s_lshl_b64 s[2:3], s[18:19], 1
	s_add_u32 s45, s0, s2
	s_addc_u32 s46, s1, s3
	s_ashr_i32 s12, s17, 2
	s_add_u32 s2, s4, 0x48
	s_mov_b32 s20, s17
	v_cmp_gt_u32_e64 s[0:1], s12, v0
	s_addc_u32 s3, s5, 0
	s_and_saveexec_b64 s[22:23], s[0:1]
	s_cbranch_execz .LBB58_10
; %bb.1:
	s_load_dword s7, s[2:3], 0x0
	v_mov_b32_e32 v3, 0
	v_mov_b32_e32 v9, s44
	;; [unrolled: 1-line block ×4, first 2 shown]
	s_waitcnt lgkmcnt(0)
	s_cmp_lt_u32 s6, s7
	s_cselect_b32 s7, 12, 18
	s_add_u32 s24, s2, s7
	s_addc_u32 s25, s3, 0
	global_load_ushort v8, v3, s[24:25]
	s_mov_b64 s[24:25], 0
	v_mov_b32_e32 v1, v3
                                        ; implicit-def: $sgpr26_sgpr27
	s_waitcnt vmcnt(0)
	v_mul_lo_u32 v11, v8, 3
	v_lshlrev_b32_e32 v12, 1, v8
	s_branch .LBB58_5
.LBB58_2:                               ;   in Loop: Header=BB58_5 Depth=1
	s_or_b64 exec, exec, s[34:35]
	s_orn2_b64 s[34:35], s[36:37], exec
.LBB58_3:                               ;   in Loop: Header=BB58_5 Depth=1
	s_or_b64 exec, exec, s[30:31]
	s_andn2_b64 s[26:27], s[26:27], exec
	s_and_b64 s[30:31], s[34:35], exec
	s_or_b64 s[26:27], s[26:27], s[30:31]
.LBB58_4:                               ;   in Loop: Header=BB58_5 Depth=1
	s_or_b64 exec, exec, s[28:29]
	s_and_b64 s[28:29], exec, s[26:27]
	s_or_b64 s[24:25], s[28:29], s[24:25]
	s_andn2_b64 exec, exec, s[24:25]
	s_cbranch_execz .LBB58_9
.LBB58_5:                               ; =>This Inner Loop Header: Depth=1
	v_lshlrev_b64 v[4:5], 3, v[2:3]
	v_add_co_u32_e32 v6, vcc, s33, v4
	v_addc_co_u32_e32 v7, vcc, v9, v5, vcc
	v_add_co_u32_e32 v4, vcc, s45, v4
	v_addc_co_u32_e32 v5, vcc, v10, v5, vcc
	global_load_dwordx2 v[6:7], v[6:7], off
	s_or_b64 s[26:27], s[26:27], exec
	global_load_dwordx2 v[4:5], v[4:5], off
	s_waitcnt vmcnt(1)
	v_cvt_f32_f16_e32 v14, v6
	v_cvt_f32_f16_sdwa v15, v6 dst_sel:DWORD dst_unused:UNUSED_PAD src0_sel:WORD_1
	s_waitcnt vmcnt(0)
	v_cvt_f32_f16_e32 v16, v4
	v_cvt_f32_f16_sdwa v17, v4 dst_sel:DWORD dst_unused:UNUSED_PAD src0_sel:WORD_1
	v_cvt_f32_f16_e32 v6, v7
	v_cvt_f32_f16_sdwa v7, v7 dst_sel:DWORD dst_unused:UNUSED_PAD src0_sel:WORD_1
	;; [unrolled: 2-line block ×3, first 2 shown]
	v_pk_add_f32 v[14:15], v[14:15], v[16:17]
	v_pk_mul_f32 v[14:15], v[14:15], v[14:15]
	v_add_f32_e32 v1, v1, v14
	v_pk_add_f32 v[6:7], v[6:7], v[18:19]
	v_pk_mul_f32 v[6:7], v[6:7], v[6:7]
	v_add_f32_e32 v1, v1, v15
	v_add_u32_e32 v4, v2, v8
	v_add_f32_e32 v1, v1, v6
	v_cmp_gt_u32_e32 vcc, s12, v4
	v_add_f32_e32 v1, v1, v7
	s_and_saveexec_b64 s[28:29], vcc
	s_cbranch_execz .LBB58_4
; %bb.6:                                ;   in Loop: Header=BB58_5 Depth=1
	v_mov_b32_e32 v5, v3
	v_lshlrev_b64 v[6:7], 3, v[4:5]
	v_add_co_u32_e32 v14, vcc, s33, v6
	v_addc_co_u32_e32 v15, vcc, v9, v7, vcc
	v_add_co_u32_e32 v6, vcc, s45, v6
	v_addc_co_u32_e32 v7, vcc, v10, v7, vcc
	global_load_dwordx2 v[14:15], v[14:15], off
	s_mov_b64 s[34:35], -1
	global_load_dwordx2 v[6:7], v[6:7], off
	s_waitcnt vmcnt(1)
	v_cvt_f32_f16_e32 v16, v14
	v_cvt_f32_f16_sdwa v17, v14 dst_sel:DWORD dst_unused:UNUSED_PAD src0_sel:WORD_1
	s_waitcnt vmcnt(0)
	v_cvt_f32_f16_e32 v18, v6
	v_cvt_f32_f16_sdwa v19, v6 dst_sel:DWORD dst_unused:UNUSED_PAD src0_sel:WORD_1
	v_cvt_f32_f16_e32 v14, v15
	v_cvt_f32_f16_sdwa v15, v15 dst_sel:DWORD dst_unused:UNUSED_PAD src0_sel:WORD_1
	v_cvt_f32_f16_e32 v20, v7
	v_cvt_f32_f16_sdwa v21, v7 dst_sel:DWORD dst_unused:UNUSED_PAD src0_sel:WORD_1
	v_pk_add_f32 v[16:17], v[16:17], v[18:19]
	v_pk_mul_f32 v[16:17], v[16:17], v[16:17]
	v_add_f32_e32 v1, v1, v16
	v_pk_add_f32 v[14:15], v[14:15], v[20:21]
	v_pk_mul_f32 v[14:15], v[14:15], v[14:15]
	v_add_f32_e32 v1, v1, v17
	v_add_u32_e32 v6, v12, v2
	v_add_f32_e32 v1, v1, v14
	v_cmp_gt_u32_e32 vcc, s12, v6
	v_add_f32_e32 v1, v1, v15
	s_and_saveexec_b64 s[30:31], vcc
	s_cbranch_execz .LBB58_3
; %bb.7:                                ;   in Loop: Header=BB58_5 Depth=1
	v_mov_b32_e32 v7, v3
	v_lshlrev_b64 v[6:7], 3, v[6:7]
	v_mov_b32_e32 v5, s44
	v_add_co_u32_e32 v14, vcc, s33, v6
	v_addc_co_u32_e32 v15, vcc, v5, v7, vcc
	v_mov_b32_e32 v5, s46
	v_add_co_u32_e32 v6, vcc, s45, v6
	v_addc_co_u32_e32 v7, vcc, v5, v7, vcc
	global_load_dwordx2 v[14:15], v[14:15], off
	v_add_u32_e32 v2, v11, v2
	global_load_dwordx2 v[6:7], v[6:7], off
	v_cmp_gt_u32_e32 vcc, s12, v2
	s_mov_b64 s[36:37], -1
	s_waitcnt vmcnt(1)
	v_cvt_f32_f16_e32 v16, v14
	v_cvt_f32_f16_sdwa v17, v14 dst_sel:DWORD dst_unused:UNUSED_PAD src0_sel:WORD_1
	s_waitcnt vmcnt(0)
	v_cvt_f32_f16_e32 v18, v6
	v_cvt_f32_f16_sdwa v19, v6 dst_sel:DWORD dst_unused:UNUSED_PAD src0_sel:WORD_1
	v_cvt_f32_f16_e32 v14, v15
	v_cvt_f32_f16_sdwa v15, v15 dst_sel:DWORD dst_unused:UNUSED_PAD src0_sel:WORD_1
	;; [unrolled: 2-line block ×3, first 2 shown]
	v_pk_add_f32 v[16:17], v[16:17], v[18:19]
	v_pk_add_f32 v[6:7], v[14:15], v[6:7]
	v_pk_mul_f32 v[14:15], v[16:17], v[16:17]
	v_add_f32_e32 v1, v1, v14
	v_pk_mul_f32 v[6:7], v[6:7], v[6:7]
	v_add_f32_e32 v1, v1, v15
	v_add_f32_e32 v1, v1, v6
	;; [unrolled: 1-line block ×3, first 2 shown]
	s_and_saveexec_b64 s[34:35], vcc
	s_xor_b64 s[34:35], exec, s[34:35]
	s_cbranch_execz .LBB58_2
; %bb.8:                                ;   in Loop: Header=BB58_5 Depth=1
	v_lshlrev_b64 v[6:7], 3, v[2:3]
	v_mov_b32_e32 v2, s44
	v_add_co_u32_e32 v14, vcc, s33, v6
	v_addc_co_u32_e32 v15, vcc, v2, v7, vcc
	v_mov_b32_e32 v2, s46
	v_add_co_u32_e32 v6, vcc, s45, v6
	v_addc_co_u32_e32 v7, vcc, v2, v7, vcc
	global_load_dwordx2 v[14:15], v[14:15], off
	v_add_u32_e32 v2, v8, v8
	global_load_dwordx2 v[6:7], v[6:7], off
	v_add_u32_e32 v2, v2, v8
	v_add_u32_e32 v2, v2, v4
	v_cmp_le_u32_e32 vcc, s12, v2
	s_orn2_b64 s[36:37], vcc, exec
	s_waitcnt vmcnt(1)
	v_cvt_f32_f16_e32 v16, v14
	v_cvt_f32_f16_sdwa v17, v14 dst_sel:DWORD dst_unused:UNUSED_PAD src0_sel:WORD_1
	s_waitcnt vmcnt(0)
	v_cvt_f32_f16_e32 v18, v6
	v_cvt_f32_f16_sdwa v19, v6 dst_sel:DWORD dst_unused:UNUSED_PAD src0_sel:WORD_1
	v_cvt_f32_f16_e32 v14, v15
	v_cvt_f32_f16_sdwa v15, v15 dst_sel:DWORD dst_unused:UNUSED_PAD src0_sel:WORD_1
	;; [unrolled: 2-line block ×3, first 2 shown]
	v_pk_add_f32 v[4:5], v[16:17], v[18:19]
	v_pk_mul_f32 v[4:5], v[4:5], v[4:5]
	v_add_f32_e32 v1, v1, v4
	v_pk_add_f32 v[6:7], v[14:15], v[6:7]
	v_pk_mul_f32 v[6:7], v[6:7], v[6:7]
	v_add_f32_e32 v1, v1, v5
	v_add_f32_e32 v1, v1, v6
	;; [unrolled: 1-line block ×3, first 2 shown]
	s_branch .LBB58_2
.LBB58_9:
	s_or_b64 exec, exec, s[24:25]
.LBB58_10:
	s_or_b64 exec, exec, s[22:23]
	v_mbcnt_lo_u32_b32 v2, -1, 0
	v_mbcnt_hi_u32_b32 v2, -1, v2
	v_and_b32_e32 v3, 63, v2
	v_cmp_ne_u32_e32 vcc, 63, v3
	s_load_dword s2, s[2:3], 0xc
	v_addc_co_u32_e32 v4, vcc, 0, v2, vcc
	v_lshlrev_b32_e32 v4, 2, v4
	ds_bpermute_b32 v4, v4, v1
	s_waitcnt lgkmcnt(0)
	s_and_b32 s47, s2, 0xffff
	v_and_b32_e32 v5, 0x3c0, v0
	v_sub_u32_e64 v5, s47, v5 clamp
	v_add_u32_e32 v6, 1, v2
	v_add_f32_e32 v4, v1, v4
	v_cmp_lt_u32_e32 vcc, v6, v5
	v_cndmask_b32_e32 v1, v1, v4, vcc
	v_cmp_gt_u32_e32 vcc, 62, v3
	v_cndmask_b32_e64 v4, 0, 1, vcc
	v_lshlrev_b32_e32 v4, 1, v4
	v_add_lshl_u32 v4, v4, v2, 2
	ds_bpermute_b32 v4, v4, v1
	v_add_u32_e32 v6, 2, v2
	v_cmp_lt_u32_e32 vcc, v6, v5
	v_add_u32_e32 v6, 4, v2
	s_waitcnt lgkmcnt(0)
	v_add_f32_e32 v4, v1, v4
	v_cndmask_b32_e32 v1, v1, v4, vcc
	v_cmp_gt_u32_e32 vcc, 60, v3
	v_cndmask_b32_e64 v4, 0, 1, vcc
	v_lshlrev_b32_e32 v4, 2, v4
	v_add_lshl_u32 v4, v4, v2, 2
	ds_bpermute_b32 v4, v4, v1
	v_cmp_lt_u32_e32 vcc, v6, v5
	v_add_u32_e32 v6, 8, v2
	s_waitcnt lgkmcnt(0)
	v_add_f32_e32 v4, v1, v4
	v_cndmask_b32_e32 v1, v1, v4, vcc
	v_cmp_gt_u32_e32 vcc, 56, v3
	v_cndmask_b32_e64 v4, 0, 1, vcc
	v_lshlrev_b32_e32 v4, 3, v4
	v_add_lshl_u32 v4, v4, v2, 2
	ds_bpermute_b32 v4, v4, v1
	;; [unrolled: 10-line block ×3, first 2 shown]
	v_cmp_lt_u32_e32 vcc, v6, v5
	s_waitcnt lgkmcnt(0)
	v_add_f32_e32 v4, v1, v4
	v_cndmask_b32_e32 v1, v1, v4, vcc
	v_cmp_gt_u32_e32 vcc, 32, v3
	v_cndmask_b32_e64 v3, 0, 1, vcc
	v_lshlrev_b32_e32 v3, 5, v3
	v_add_lshl_u32 v3, v3, v2, 2
	ds_bpermute_b32 v3, v3, v1
	v_add_u32_e32 v4, 32, v2
	v_cmp_lt_u32_e32 vcc, v4, v5
	s_waitcnt lgkmcnt(0)
	v_add_f32_e32 v3, v1, v3
	v_cndmask_b32_e32 v1, v1, v3, vcc
	v_cmp_eq_u32_e32 vcc, 0, v2
	s_and_saveexec_b64 s[2:3], vcc
	s_cbranch_execz .LBB58_12
; %bb.11:
	v_lshrrev_b32_e32 v3, 4, v0
	v_and_b32_e32 v3, 60, v3
	ds_write_b32 v3, v1 offset:4096
.LBB58_12:
	s_or_b64 exec, exec, s[2:3]
	v_cmp_gt_u32_e32 vcc, 16, v0
	s_waitcnt lgkmcnt(0)
	s_barrier
	s_and_saveexec_b64 s[22:23], vcc
	s_cbranch_execz .LBB58_14
; %bb.13:
	v_lshlrev_b32_e32 v1, 2, v2
	ds_read_b32 v1, v1 offset:4096
	v_and_b32_e32 v3, 15, v2
	v_cmp_ne_u32_e32 vcc, 15, v3
	v_addc_co_u32_e32 v4, vcc, 0, v2, vcc
	v_lshlrev_b32_e32 v4, 2, v4
	s_waitcnt lgkmcnt(0)
	ds_bpermute_b32 v4, v4, v1
	s_add_i32 s2, s47, 63
	s_lshr_b32 s7, s2, 6
	v_add_u32_e32 v5, 1, v3
	v_cmp_gt_u32_e64 s[2:3], 14, v3
	v_cmp_gt_u32_e32 vcc, s7, v5
	v_cndmask_b32_e64 v5, 0, 1, s[2:3]
	s_waitcnt lgkmcnt(0)
	v_add_f32_e32 v4, v1, v4
	v_lshlrev_b32_e32 v5, 1, v5
	v_cndmask_b32_e32 v4, v1, v4, vcc
	v_add_lshl_u32 v5, v5, v2, 2
	ds_bpermute_b32 v5, v5, v4
	v_add_u32_e32 v6, 2, v3
	v_cmp_gt_u32_e64 s[2:3], s7, v6
	v_add_u32_e32 v6, 4, v3
	s_waitcnt lgkmcnt(0)
	v_add_f32_e32 v5, v4, v5
	v_cndmask_b32_e64 v4, v4, v5, s[2:3]
	v_cmp_gt_u32_e64 s[2:3], 12, v3
	v_cndmask_b32_e64 v5, 0, 1, s[2:3]
	v_lshlrev_b32_e32 v5, 2, v5
	v_add_lshl_u32 v5, v5, v2, 2
	ds_bpermute_b32 v5, v5, v4
	v_cmp_gt_u32_e64 s[2:3], s7, v6
	s_waitcnt lgkmcnt(0)
	v_add_f32_e32 v5, v4, v5
	v_cndmask_b32_e64 v4, v4, v5, s[2:3]
	v_cmp_gt_u32_e64 s[2:3], 8, v3
	v_cndmask_b32_e64 v5, 0, 1, s[2:3]
	v_lshlrev_b32_e32 v5, 3, v5
	v_add_lshl_u32 v2, v5, v2, 2
	ds_bpermute_b32 v2, v2, v4
	v_add_u32_e32 v3, 8, v3
	v_cmp_gt_u32_e64 s[2:3], s7, v3
	s_waitcnt lgkmcnt(0)
	v_add_f32_e32 v2, v4, v2
	v_cndmask_b32_e64 v2, v4, v2, s[2:3]
	v_cndmask_b32_e32 v1, v1, v2, vcc
.LBB58_14:
	s_or_b64 exec, exec, s[22:23]
	v_cmp_eq_u32_e32 vcc, 0, v0
	s_and_saveexec_b64 s[2:3], vcc
	s_cbranch_execz .LBB58_16
; %bb.15:
	v_cvt_f32_i32_e32 v2, s20
	s_mov_b32 s7, 0x800000
	v_div_scale_f32 v3, s[22:23], v2, v2, v1
	v_rcp_f32_e32 v4, v3
	v_div_scale_f32 v5, vcc, v1, v2, v1
	v_fma_f32 v6, -v3, v4, 1.0
	v_fmac_f32_e32 v4, v6, v4
	v_mul_f32_e32 v6, v5, v4
	v_fma_f32 v7, -v3, v6, v5
	v_fmac_f32_e32 v6, v7, v4
	v_fma_f32 v3, -v3, v6, v5
	v_div_fmas_f32 v3, v3, v4, v6
	v_div_fixup_f32 v1, v3, v2, v1
	v_add_f32_e32 v1, s16, v1
	v_mul_f32_e32 v2, 0x4b800000, v1
	v_cmp_gt_f32_e32 vcc, s7, v1
	v_cndmask_b32_e32 v1, v1, v2, vcc
	v_rsq_f32_e32 v1, v1
	v_mul_f32_e32 v2, 0x45800000, v1
	v_cndmask_b32_e32 v1, v1, v2, vcc
	v_mov_b32_e32 v2, 0
	ds_write_b32 v2, v1 offset:4160
.LBB58_16:
	s_or_b64 exec, exec, s[2:3]
	s_ashr_i32 s2, s20, 31
	s_lshr_b32 s2, s2, 26
	s_add_i32 s2, s20, s2
	s_ashr_i32 s16, s2, 6
	s_abs_i32 s3, s16
	v_cvt_f32_u32_e32 v1, s3
	s_sub_i32 s7, 0, s3
	s_ashr_i32 s2, s2, 31
	v_mov_b32_e32 v5, 0
	v_rcp_iflag_f32_e32 v1, v1
	s_waitcnt lgkmcnt(0)
	s_barrier
	v_mul_f32_e32 v1, 0x4f7ffffe, v1
	v_cvt_u32_f32_e32 v1, v1
	ds_read_b32 v36, v5 offset:4160
	v_readfirstlane_b32 s13, v1
	s_mul_i32 s7, s7, s13
	s_mul_hi_u32 s7, s13, s7
	s_add_i32 s13, s13, s7
	s_mul_hi_u32 s7, s47, s13
	s_mul_i32 s13, s7, s3
	s_sub_i32 s13, s47, s13
	s_add_i32 s17, s7, 1
	s_sub_i32 s22, s13, s3
	s_cmp_ge_u32 s13, s3
	s_cselect_b32 s7, s17, s7
	s_cselect_b32 s13, s22, s13
	s_add_i32 s17, s7, 1
	s_cmp_ge_u32 s13, s3
	s_cselect_b32 s3, s17, s7
	s_xor_b32 s3, s3, s2
	s_sub_i32 s2, s3, s2
	s_abs_i32 s7, s2
	v_cvt_f32_u32_e32 v1, s7
	s_sub_i32 s13, 0, s7
	s_ashr_i32 s3, s2, 31
	v_rcp_iflag_f32_e32 v1, v1
	v_mul_f32_e32 v1, 0x4f7ffffe, v1
	v_cvt_u32_f32_e32 v1, v1
	v_mul_lo_u32 v2, s13, v1
	v_mul_hi_u32 v2, v1, v2
	v_add_u32_e32 v1, v1, v2
	v_mul_hi_u32 v1, v0, v1
	v_mul_lo_u32 v2, v1, s7
	v_sub_u32_e32 v2, v0, v2
	v_add_u32_e32 v3, 1, v1
	v_cmp_le_u32_e32 vcc, s7, v2
	v_cndmask_b32_e32 v1, v1, v3, vcc
	v_subrev_u32_e32 v3, s7, v2
	v_cndmask_b32_e32 v2, v2, v3, vcc
	v_add_u32_e32 v3, 1, v1
	v_cmp_le_u32_e32 vcc, s7, v2
	v_cndmask_b32_e32 v1, v1, v3, vcc
	v_xor_b32_e32 v1, s3, v1
	v_subrev_u32_e32 v2, s3, v1
	v_mul_lo_u32 v1, v2, s2
	v_ashrrev_i32_e32 v3, 31, v2
	v_sub_u32_e32 v4, v0, v1
	v_lshlrev_b64 v[8:9], 4, v[2:3]
	v_add_co_u32_e32 v6, vcc, v8, v4
	v_addc_co_u32_e32 v7, vcc, 0, v9, vcc
	v_add_co_u32_e32 v8, vcc, 16, v8
	v_addc_co_u32_e32 v9, vcc, 0, v9, vcc
	s_ashr_i32 s13, s12, 31
	v_mov_b32_e32 v1, s13
	v_cmp_gt_i64_e32 vcc, s[12:13], v[8:9]
	v_cndmask_b32_e32 v9, v1, v9, vcc
	v_mov_b32_e32 v1, s12
	v_cndmask_b32_e32 v8, v1, v8, vcc
	v_ashrrev_i32_e32 v11, 31, v8
	v_mov_b32_e32 v10, v8
	v_cmp_lt_i64_e32 vcc, v[6:7], v[10:11]
	s_and_saveexec_b64 s[22:23], vcc
	s_cbranch_execz .LBB58_26
; %bb.17:
	v_lshlrev_b64 v[12:13], 7, v[2:3]
	v_lshlrev_b64 v[14:15], 3, v[4:5]
	v_add_co_u32_e32 v12, vcc, v12, v14
	v_addc_co_u32_e32 v1, vcc, v13, v15, vcc
	s_lshl_b64 s[24:25], s[2:3], 5
	s_mul_hi_i32 s7, s2, 3
	s_mul_i32 s13, s2, 3
	s_lshl_b64 s[26:27], s[2:3], 1
	s_lshl_b64 s[30:31], s[2:3], 3
	s_mov_b64 s[28:29], 0
	v_mov_b32_e32 v5, 0
	v_mov_b32_e32 v13, s44
	;; [unrolled: 1-line block ×5, first 2 shown]
	v_pk_mov_b32 v[14:15], v[6:7], v[6:7] op_sel:[0,1]
                                        ; implicit-def: $sgpr34_sgpr35
	s_branch .LBB58_21
.LBB58_18:                              ;   in Loop: Header=BB58_21 Depth=1
	s_or_b64 exec, exec, s[40:41]
	s_orn2_b64 s[40:41], s[42:43], exec
.LBB58_19:                              ;   in Loop: Header=BB58_21 Depth=1
	s_or_b64 exec, exec, s[38:39]
	s_andn2_b64 s[34:35], s[34:35], exec
	s_and_b64 s[38:39], s[40:41], exec
	s_or_b64 s[34:35], s[34:35], s[38:39]
.LBB58_20:                              ;   in Loop: Header=BB58_21 Depth=1
	s_or_b64 exec, exec, s[36:37]
	s_and_b64 s[36:37], exec, s[34:35]
	s_or_b64 s[28:29], s[36:37], s[28:29]
	s_andn2_b64 exec, exec, s[28:29]
	s_cbranch_execz .LBB58_25
.LBB58_21:                              ; =>This Inner Loop Header: Depth=1
	v_add_co_u32_e32 v18, vcc, s33, v12
	v_addc_co_u32_e32 v19, vcc, v13, v1, vcc
	v_add_co_u32_e32 v22, vcc, s45, v12
	v_addc_co_u32_e32 v23, vcc, v25, v1, vcc
	global_load_dwordx2 v[16:17], v[18:19], off
	global_load_dwordx2 v[28:29], v[22:23], off
	v_add_co_u32_e32 v20, vcc, s14, v12
	v_addc_co_u32_e32 v21, vcc, v24, v1, vcc
	global_load_dwordx2 v[30:31], v[20:21], off
	s_or_b64 s[34:35], s[34:35], exec
	s_waitcnt vmcnt(2)
	v_cvt_f32_f16_e32 v27, v16
	v_cvt_f32_f16_sdwa v16, v16 dst_sel:DWORD dst_unused:UNUSED_PAD src0_sel:WORD_1
	s_waitcnt vmcnt(1)
	v_cvt_f32_f16_e32 v33, v28
	v_cvt_f32_f16_sdwa v28, v28 dst_sel:DWORD dst_unused:UNUSED_PAD src0_sel:WORD_1
	v_cvt_f32_f16_e32 v32, v17
	v_cvt_f32_f16_sdwa v17, v17 dst_sel:DWORD dst_unused:UNUSED_PAD src0_sel:WORD_1
	;; [unrolled: 2-line block ×3, first 2 shown]
	v_add_f32_e32 v27, v27, v33
	v_add_f32_e32 v16, v16, v28
	v_add_f32_e32 v28, v32, v34
	v_add_f32_e32 v17, v17, v29
	s_waitcnt lgkmcnt(0)
	v_fma_mixlo_f16 v27, v36, v27, 0
	v_fma_mixlo_f16 v16, v36, v16, 0
	;; [unrolled: 1-line block ×4, first 2 shown]
	s_waitcnt vmcnt(0)
	v_mul_f16_e32 v27, v30, v27
	v_mul_f16_sdwa v16, v30, v16 dst_sel:DWORD dst_unused:UNUSED_PAD src0_sel:WORD_1 src1_sel:DWORD
	v_mul_f16_e32 v28, v31, v28
	v_mul_f16_sdwa v17, v31, v17 dst_sel:DWORD dst_unused:UNUSED_PAD src0_sel:WORD_1 src1_sel:DWORD
	v_cvt_f32_f16_e64 v27, |v27|
	v_cvt_f32_f16_e64 v29, |v16|
	;; [unrolled: 1-line block ×4, first 2 shown]
	v_add_co_u32_e32 v16, vcc, s2, v14
	v_addc_co_u32_e32 v17, vcc, v15, v26, vcc
	v_max3_f32 v5, v5, v27, v29
	v_cmp_lt_i64_e32 vcc, v[16:17], v[10:11]
	v_max3_f32 v5, v5, v28, v30
	s_and_saveexec_b64 s[36:37], vcc
	s_cbranch_execz .LBB58_20
; %bb.22:                               ;   in Loop: Header=BB58_21 Depth=1
	v_mov_b32_e32 v27, s31
	v_add_co_u32_e32 v18, vcc, s30, v18
	v_addc_co_u32_e32 v19, vcc, v19, v27, vcc
	v_add_co_u32_e32 v22, vcc, s30, v22
	v_addc_co_u32_e32 v23, vcc, v23, v27, vcc
	global_load_dwordx2 v[28:29], v[18:19], off
	global_load_dwordx2 v[30:31], v[22:23], off
	v_add_co_u32_e32 v20, vcc, s30, v20
	v_addc_co_u32_e32 v21, vcc, v21, v27, vcc
	global_load_dwordx2 v[32:33], v[20:21], off
	v_mov_b32_e32 v27, s27
	s_mov_b64 s[40:41], -1
	s_waitcnt vmcnt(2)
	v_cvt_f32_f16_e32 v34, v28
	v_cvt_f32_f16_sdwa v28, v28 dst_sel:DWORD dst_unused:UNUSED_PAD src0_sel:WORD_1
	s_waitcnt vmcnt(1)
	v_cvt_f32_f16_e32 v37, v30
	v_cvt_f32_f16_sdwa v30, v30 dst_sel:DWORD dst_unused:UNUSED_PAD src0_sel:WORD_1
	v_cvt_f32_f16_e32 v35, v29
	v_cvt_f32_f16_sdwa v29, v29 dst_sel:DWORD dst_unused:UNUSED_PAD src0_sel:WORD_1
	v_cvt_f32_f16_e32 v38, v31
	v_cvt_f32_f16_sdwa v31, v31 dst_sel:DWORD dst_unused:UNUSED_PAD src0_sel:WORD_1
	v_add_f32_e32 v34, v34, v37
	v_add_f32_e32 v28, v28, v30
	;; [unrolled: 1-line block ×4, first 2 shown]
	v_fma_mixlo_f16 v31, v36, v34, 0
	v_fma_mixlo_f16 v28, v36, v28, 0
	v_fma_mixlo_f16 v30, v36, v30, 0
	v_fma_mixlo_f16 v29, v36, v29, 0
	s_waitcnt vmcnt(0)
	v_mul_f16_e32 v31, v32, v31
	v_mul_f16_sdwa v28, v32, v28 dst_sel:DWORD dst_unused:UNUSED_PAD src0_sel:WORD_1 src1_sel:DWORD
	v_mul_f16_e32 v30, v33, v30
	v_mul_f16_sdwa v29, v33, v29 dst_sel:DWORD dst_unused:UNUSED_PAD src0_sel:WORD_1 src1_sel:DWORD
	v_cvt_f32_f16_e64 v31, |v31|
	v_cvt_f32_f16_e64 v32, |v28|
	;; [unrolled: 1-line block ×4, first 2 shown]
	v_add_co_u32_e32 v28, vcc, s26, v14
	v_addc_co_u32_e32 v29, vcc, v27, v15, vcc
	v_max3_f32 v5, v5, v31, v32
	v_cmp_lt_i64_e32 vcc, v[28:29], v[10:11]
	v_max3_f32 v5, v5, v30, v33
	s_and_saveexec_b64 s[38:39], vcc
	s_cbranch_execz .LBB58_19
; %bb.23:                               ;   in Loop: Header=BB58_21 Depth=1
	v_mov_b32_e32 v27, s31
	v_add_co_u32_e32 v18, vcc, s30, v18
	v_addc_co_u32_e32 v19, vcc, v19, v27, vcc
	v_add_co_u32_e32 v22, vcc, s30, v22
	v_addc_co_u32_e32 v23, vcc, v23, v27, vcc
	global_load_dwordx2 v[28:29], v[18:19], off
	global_load_dwordx2 v[30:31], v[22:23], off
	v_add_co_u32_e32 v20, vcc, s30, v20
	v_addc_co_u32_e32 v21, vcc, v21, v27, vcc
	global_load_dwordx2 v[32:33], v[20:21], off
	v_mov_b32_e32 v27, s7
	v_add_co_u32_e32 v14, vcc, s13, v14
	v_addc_co_u32_e32 v15, vcc, v27, v15, vcc
	v_cmp_lt_i64_e32 vcc, v[14:15], v[10:11]
	s_mov_b64 s[42:43], -1
                                        ; implicit-def: $vgpr14_vgpr15
	s_waitcnt vmcnt(2)
	v_cvt_f32_f16_e32 v34, v28
	v_cvt_f32_f16_sdwa v28, v28 dst_sel:DWORD dst_unused:UNUSED_PAD src0_sel:WORD_1
	s_waitcnt vmcnt(1)
	v_cvt_f32_f16_e32 v37, v30
	v_cvt_f32_f16_sdwa v30, v30 dst_sel:DWORD dst_unused:UNUSED_PAD src0_sel:WORD_1
	v_cvt_f32_f16_e32 v35, v29
	v_cvt_f32_f16_sdwa v29, v29 dst_sel:DWORD dst_unused:UNUSED_PAD src0_sel:WORD_1
	;; [unrolled: 2-line block ×3, first 2 shown]
	v_add_f32_e32 v34, v34, v37
	v_add_f32_e32 v28, v28, v30
	;; [unrolled: 1-line block ×4, first 2 shown]
	v_fma_mixlo_f16 v31, v36, v34, 0
	v_fma_mixlo_f16 v28, v36, v28, 0
	;; [unrolled: 1-line block ×4, first 2 shown]
	s_waitcnt vmcnt(0)
	v_mul_f16_e32 v31, v32, v31
	v_mul_f16_sdwa v28, v32, v28 dst_sel:DWORD dst_unused:UNUSED_PAD src0_sel:WORD_1 src1_sel:DWORD
	v_mul_f16_e32 v30, v33, v30
	v_mul_f16_sdwa v29, v33, v29 dst_sel:DWORD dst_unused:UNUSED_PAD src0_sel:WORD_1 src1_sel:DWORD
	v_cvt_f32_f16_e64 v31, |v31|
	v_cvt_f32_f16_e64 v28, |v28|
	;; [unrolled: 1-line block ×4, first 2 shown]
	v_max3_f32 v5, v5, v31, v28
	v_max3_f32 v5, v5, v30, v29
	s_and_saveexec_b64 s[40:41], vcc
	s_xor_b64 s[40:41], exec, s[40:41]
	s_cbranch_execz .LBB58_18
; %bb.24:                               ;   in Loop: Header=BB58_21 Depth=1
	v_mov_b32_e32 v27, s31
	v_add_co_u32_e32 v14, vcc, s30, v18
	v_addc_co_u32_e32 v15, vcc, v19, v27, vcc
	v_add_co_u32_e32 v18, vcc, s30, v22
	v_addc_co_u32_e32 v19, vcc, v23, v27, vcc
	global_load_dwordx2 v[14:15], v[14:15], off
	v_add_co_u32_e32 v20, vcc, s30, v20
	global_load_dwordx2 v[18:19], v[18:19], off
	v_addc_co_u32_e32 v21, vcc, v21, v27, vcc
	global_load_dwordx2 v[20:21], v[20:21], off
	s_add_u32 s17, s2, s2
	s_addc_u32 s42, s3, s3
	v_mov_b32_e32 v22, s25
	v_add_co_u32_e32 v12, vcc, s24, v12
	s_add_u32 s17, s17, s2
	v_addc_co_u32_e32 v1, vcc, v1, v22, vcc
	s_addc_u32 s42, s42, s3
	v_mov_b32_e32 v22, s42
	s_waitcnt vmcnt(2)
	v_cvt_f32_f16_e32 v23, v14
	v_cvt_f32_f16_sdwa v14, v14 dst_sel:DWORD dst_unused:UNUSED_PAD src0_sel:WORD_1
	v_cvt_f32_f16_e32 v27, v15
	s_waitcnt vmcnt(1)
	v_cvt_f32_f16_e32 v28, v18
	v_cvt_f32_f16_sdwa v18, v18 dst_sel:DWORD dst_unused:UNUSED_PAD src0_sel:WORD_1
	v_cvt_f32_f16_sdwa v15, v15 dst_sel:DWORD dst_unused:UNUSED_PAD src0_sel:WORD_1
	v_cvt_f32_f16_e32 v29, v19
	v_cvt_f32_f16_sdwa v19, v19 dst_sel:DWORD dst_unused:UNUSED_PAD src0_sel:WORD_1
	v_add_f32_e32 v23, v23, v28
	v_add_f32_e32 v14, v14, v18
	;; [unrolled: 1-line block ×4, first 2 shown]
	v_fma_mixlo_f16 v19, v36, v23, 0
	v_fma_mixlo_f16 v14, v36, v14, 0
	;; [unrolled: 1-line block ×4, first 2 shown]
	s_waitcnt vmcnt(0)
	v_mul_f16_e32 v19, v20, v19
	v_mul_f16_sdwa v14, v20, v14 dst_sel:DWORD dst_unused:UNUSED_PAD src0_sel:WORD_1 src1_sel:DWORD
	v_mul_f16_e32 v18, v21, v18
	v_mul_f16_sdwa v15, v21, v15 dst_sel:DWORD dst_unused:UNUSED_PAD src0_sel:WORD_1 src1_sel:DWORD
	v_cvt_f32_f16_e64 v19, |v19|
	v_cvt_f32_f16_e64 v20, |v14|
	;; [unrolled: 1-line block ×4, first 2 shown]
	v_add_co_u32_e32 v14, vcc, s17, v16
	v_addc_co_u32_e32 v15, vcc, v22, v17, vcc
	v_cmp_ge_i64_e32 vcc, v[14:15], v[10:11]
	v_max3_f32 v5, v5, v19, v20
	v_max3_f32 v5, v5, v18, v21
	s_orn2_b64 s[42:43], vcc, exec
	s_branch .LBB58_18
.LBB58_25:
	s_or_b64 exec, exec, s[28:29]
.LBB58_26:
	s_or_b64 exec, exec, s[22:23]
	s_lshr_b32 s7, s47, 6
	v_cvt_f32_u32_e32 v10, s7
	v_lshlrev_b32_e32 v1, 2, v0
	ds_write_b32 v1, v5
	s_sub_i32 s23, 0, s7
	v_rcp_iflag_f32_e32 v5, v10
	s_add_i32 s13, s16, s7
	s_add_i32 s13, s13, -1
	s_ashr_i32 s22, s13, 31
	v_mul_f32_e32 v5, 0x4f7ffffe, v5
	v_cvt_u32_f32_e32 v5, v5
	s_abs_i32 s13, s13
	s_ashr_i32 s17, s16, 31
	s_waitcnt lgkmcnt(0)
	v_readfirstlane_b32 s24, v5
	s_mul_i32 s23, s23, s24
	s_mul_hi_u32 s23, s24, s23
	s_add_i32 s24, s24, s23
	s_mul_hi_u32 s23, s13, s24
	s_mul_i32 s24, s23, s7
	s_sub_i32 s13, s13, s24
	s_add_i32 s24, s23, 1
	s_sub_i32 s25, s13, s7
	s_cmp_ge_u32 s13, s7
	s_cselect_b32 s23, s24, s23
	s_cselect_b32 s13, s25, s13
	s_add_i32 s24, s23, 1
	s_cmp_ge_u32 s13, s7
	s_cselect_b32 s13, s24, s23
	s_xor_b32 s13, s13, s22
	s_sub_i32 s22, s13, s22
	s_ashr_i32 s23, s22, 31
	v_cmp_lt_i64_e64 s[24:25], s[22:23], 1
	s_and_b64 vcc, exec, s[24:25]
	s_barrier
	s_cbranch_vccnz .LBB58_48
; %bb.27:
	v_and_b32_e32 v12, 63, v0
	v_add_co_u32_e32 v14, vcc, 32, v12
	v_addc_co_u32_e64 v15, s[24:25], 0, 0, vcc
	v_add_co_u32_e32 v16, vcc, 16, v12
	v_addc_co_u32_e64 v17, s[24:25], 0, 0, vcc
	v_add_co_u32_e32 v18, vcc, 8, v12
	v_lshrrev_b32_e32 v10, 6, v0
	v_addc_co_u32_e64 v19, s[24:25], 0, 0, vcc
	v_add_co_u32_e32 v20, vcc, 4, v12
	v_addc_co_u32_e64 v21, s[24:25], 0, 0, vcc
	v_add_co_u32_e32 v22, vcc, 2, v12
	v_mul_lo_u32 v5, s2, v10
	v_addc_co_u32_e64 v23, s[24:25], 0, 0, vcc
	v_add_co_u32_e32 v24, vcc, 1, v12
	v_lshlrev_b32_e32 v5, 2, v5
	v_lshlrev_b32_e32 v26, 2, v12
	s_movk_i32 s13, 0x100
	v_mov_b32_e32 v11, 0
	v_addc_co_u32_e64 v25, s[24:25], 0, 0, vcc
	v_add3_u32 v5, v5, v26, s13
	s_mul_i32 s13, s2, s7
	v_mov_b32_e32 v13, v11
	s_lshl_b32 s13, s13, 2
	s_mov_b64 s[24:25], 0
	v_mov_b32_e32 v37, s7
	s_mov_b64 s[26:27], src_shared_base
	s_branch .LBB58_30
.LBB58_28:                              ;   in Loop: Header=BB58_30 Depth=1
	s_or_b64 exec, exec, s[30:31]
	v_mov_b32_e32 v27, s27
	flat_load_dword v26, v[26:27] glc
	s_waitcnt vmcnt(0)
.LBB58_29:                              ;   in Loop: Header=BB58_30 Depth=1
	s_or_b64 exec, exec, s[28:29]
	s_add_u32 s24, s24, 1
	s_addc_u32 s25, s25, 0
	s_cmp_eq_u64 s[24:25], s[22:23]
	v_add_u32_e32 v5, s13, v5
	s_cbranch_scc1 .LBB58_48
.LBB58_30:                              ; =>This Loop Header: Depth=1
                                        ;     Child Loop BB58_33 Depth 2
	v_mad_u64_u32 v[30:31], s[28:29], s24, v37, v[10:11]
	s_mul_i32 s26, s25, s7
	v_add_u32_e32 v31, s26, v31
	v_cmp_gt_i64_e32 vcc, s[16:17], v[30:31]
	s_and_saveexec_b64 s[28:29], vcc
	s_cbranch_execz .LBB58_29
; %bb.31:                               ;   in Loop: Header=BB58_30 Depth=1
	v_pk_mov_b32 v[32:33], s[2:3], s[2:3] op_sel:[0,1]
	v_mul_lo_u32 v29, v31, s2
	v_mul_lo_u32 v38, v30, s3
	v_mad_u64_u32 v[32:33], s[30:31], v30, s2, v[32:33]
	v_add3_u32 v33, v29, v33, v38
	v_mov_b32_e32 v28, s21
	v_cmp_gt_i64_e32 vcc, s[20:21], v[32:33]
	s_waitcnt lgkmcnt(0)
	v_mad_u64_u32 v[26:27], s[30:31], v30, s2, v[12:13]
	v_cndmask_b32_e32 v33, v28, v33, vcc
	v_mov_b32_e32 v28, s20
	v_add3_u32 v27, v29, v27, v38
	v_cndmask_b32_e32 v32, v28, v32, vcc
	v_add_co_u32_e32 v34, vcc, 64, v26
	v_addc_co_u32_e32 v35, vcc, 0, v27, vcc
	v_cmp_lt_i64_e32 vcc, v[34:35], v[32:33]
	v_lshlrev_b32_e32 v28, 2, v26
	s_and_saveexec_b64 s[30:31], vcc
	s_cbranch_execz .LBB58_34
; %bb.32:                               ;   in Loop: Header=BB58_30 Depth=1
	ds_read_b32 v31, v28
	s_mov_b64 s[34:35], 0
	v_mov_b32_e32 v27, v5
.LBB58_33:                              ;   Parent Loop BB58_30 Depth=1
                                        ; =>  This Inner Loop Header: Depth=2
	ds_read_b32 v39, v27
	v_add_co_u32_e32 v34, vcc, 64, v34
	v_addc_co_u32_e32 v35, vcc, 0, v35, vcc
	s_waitcnt lgkmcnt(1)
	v_max_f32_e32 v31, v31, v31
	v_cmp_ge_i64_e32 vcc, v[34:35], v[32:33]
	s_waitcnt lgkmcnt(0)
	v_max_f32_e32 v39, v39, v39
	v_add_u32_e32 v27, 0x100, v27
	s_or_b64 s[34:35], vcc, s[34:35]
	v_max_f32_e32 v31, v31, v39
	ds_write_b32 v28, v31
	s_andn2_b64 exec, exec, s[34:35]
	s_cbranch_execnz .LBB58_33
.LBB58_34:                              ;   in Loop: Header=BB58_30 Depth=1
	s_or_b64 exec, exec, s[30:31]
	v_mad_u64_u32 v[30:31], s[30:31], v30, s2, 0
	v_add3_u32 v27, v31, v38, v29
	v_sub_co_u32_e32 v30, vcc, v32, v30
	v_subb_co_u32_e32 v31, vcc, v33, v27, vcc
	v_cmp_gt_i64_e32 vcc, 64, v[30:31]
	v_cndmask_b32_e32 v31, 0, v31, vcc
	v_cndmask_b32_e32 v30, 64, v30, vcc
	v_cmp_lt_i64_e32 vcc, v[14:15], v[30:31]
	s_and_saveexec_b64 s[30:31], vcc
	s_cbranch_execnz .LBB58_46
; %bb.35:                               ;   in Loop: Header=BB58_30 Depth=1
	s_or_b64 exec, exec, s[30:31]
	v_cmp_lt_i64_e32 vcc, v[16:17], v[30:31]
	s_and_saveexec_b64 s[30:31], vcc
	s_cbranch_execnz .LBB58_47
.LBB58_36:                              ;   in Loop: Header=BB58_30 Depth=1
	s_or_b64 exec, exec, s[30:31]
	v_cmp_lt_i64_e32 vcc, v[18:19], v[30:31]
	s_and_saveexec_b64 s[30:31], vcc
	s_cbranch_execz .LBB58_38
.LBB58_37:                              ;   in Loop: Header=BB58_30 Depth=1
	v_mov_b32_e32 v29, s27
	v_add_u32_e32 v32, 32, v28
	v_mov_b32_e32 v33, s27
	flat_load_dword v27, v[28:29] glc
	s_waitcnt vmcnt(0)
	flat_load_dword v34, v[32:33] glc
	s_waitcnt vmcnt(0) lgkmcnt(0)
	v_max_f32_e32 v27, v27, v27
	v_max_f32_e32 v32, v34, v34
	;; [unrolled: 1-line block ×3, first 2 shown]
	flat_store_dword v[28:29], v27
	s_waitcnt vmcnt(0)
.LBB58_38:                              ;   in Loop: Header=BB58_30 Depth=1
	s_or_b64 exec, exec, s[30:31]
	v_cmp_ge_i64_e32 vcc, v[20:21], v[30:31]
	s_and_saveexec_b64 s[30:31], vcc
	s_xor_b64 s[30:31], exec, s[30:31]
; %bb.39:                               ;   in Loop: Header=BB58_30 Depth=1
                                        ; implicit-def: $vgpr28
; %bb.40:                               ;   in Loop: Header=BB58_30 Depth=1
	s_andn2_saveexec_b64 s[30:31], s[30:31]
	s_cbranch_execz .LBB58_42
; %bb.41:                               ;   in Loop: Header=BB58_30 Depth=1
	v_mov_b32_e32 v29, s27
	v_add_u32_e32 v32, 16, v28
	v_mov_b32_e32 v33, s27
	flat_load_dword v27, v[28:29] glc
	s_waitcnt vmcnt(0)
	flat_load_dword v34, v[32:33] glc
	s_waitcnt vmcnt(0) lgkmcnt(0)
	v_max_f32_e32 v27, v27, v27
	v_max_f32_e32 v32, v34, v34
	;; [unrolled: 1-line block ×3, first 2 shown]
	flat_store_dword v[28:29], v27
	s_waitcnt vmcnt(0)
.LBB58_42:                              ;   in Loop: Header=BB58_30 Depth=1
	s_or_b64 exec, exec, s[30:31]
	v_cmp_lt_i64_e32 vcc, v[22:23], v[30:31]
	v_lshlrev_b32_e32 v26, 2, v26
	s_and_saveexec_b64 s[30:31], vcc
	s_cbranch_execz .LBB58_44
; %bb.43:                               ;   in Loop: Header=BB58_30 Depth=1
	v_mov_b32_e32 v27, s27
	v_add_u32_e32 v28, 8, v26
	v_mov_b32_e32 v29, s27
	flat_load_dword v32, v[26:27] glc
	s_waitcnt vmcnt(0)
	flat_load_dword v33, v[28:29] glc
	s_waitcnt vmcnt(0) lgkmcnt(0)
	v_max_f32_e32 v28, v32, v32
	v_max_f32_e32 v29, v33, v33
	;; [unrolled: 1-line block ×3, first 2 shown]
	flat_store_dword v[26:27], v28
	s_waitcnt vmcnt(0)
.LBB58_44:                              ;   in Loop: Header=BB58_30 Depth=1
	s_or_b64 exec, exec, s[30:31]
	v_cmp_lt_i64_e32 vcc, v[24:25], v[30:31]
	s_and_saveexec_b64 s[30:31], vcc
	s_cbranch_execz .LBB58_28
; %bb.45:                               ;   in Loop: Header=BB58_30 Depth=1
	v_mov_b32_e32 v27, s27
	v_add_u32_e32 v28, 4, v26
	v_mov_b32_e32 v29, s27
	flat_load_dword v30, v[26:27] glc
	s_waitcnt vmcnt(0)
	flat_load_dword v31, v[28:29] glc
	s_waitcnt vmcnt(0) lgkmcnt(0)
	v_max_f32_e32 v28, v30, v30
	v_max_f32_e32 v29, v31, v31
	;; [unrolled: 1-line block ×3, first 2 shown]
	flat_store_dword v[26:27], v28
	s_waitcnt vmcnt(0)
	s_branch .LBB58_28
.LBB58_46:                              ;   in Loop: Header=BB58_30 Depth=1
	v_mov_b32_e32 v29, s27
	v_add_u32_e32 v32, 0x80, v28
	v_mov_b32_e32 v33, s27
	flat_load_dword v27, v[28:29] glc
	s_waitcnt vmcnt(0)
	flat_load_dword v34, v[32:33] glc
	s_waitcnt vmcnt(0) lgkmcnt(0)
	v_max_f32_e32 v27, v27, v27
	v_max_f32_e32 v32, v34, v34
	;; [unrolled: 1-line block ×3, first 2 shown]
	flat_store_dword v[28:29], v27
	s_waitcnt vmcnt(0)
	s_or_b64 exec, exec, s[30:31]
	v_cmp_lt_i64_e32 vcc, v[16:17], v[30:31]
	s_and_saveexec_b64 s[30:31], vcc
	s_cbranch_execz .LBB58_36
.LBB58_47:                              ;   in Loop: Header=BB58_30 Depth=1
	v_mov_b32_e32 v29, s27
	v_add_u32_e32 v32, 64, v28
	v_mov_b32_e32 v33, s27
	flat_load_dword v27, v[28:29] glc
	s_waitcnt vmcnt(0)
	flat_load_dword v34, v[32:33] glc
	s_waitcnt vmcnt(0) lgkmcnt(0)
	v_max_f32_e32 v27, v27, v27
	v_max_f32_e32 v32, v34, v34
	;; [unrolled: 1-line block ×3, first 2 shown]
	flat_store_dword v[28:29], v27
	s_waitcnt vmcnt(0)
	s_or_b64 exec, exec, s[30:31]
	v_cmp_lt_i64_e32 vcc, v[18:19], v[30:31]
	s_and_saveexec_b64 s[30:31], vcc
	s_cbranch_execnz .LBB58_37
	s_branch .LBB58_38
.LBB58_48:
	v_cmp_eq_u32_e32 vcc, 0, v4
	v_cmp_lt_i64_e64 s[2:3], v[6:7], v[8:9]
	s_and_b64 s[22:23], vcc, s[2:3]
	s_mul_i32 s17, s17, s6
	s_mul_hi_u32 s21, s16, s6
	s_mul_i32 s2, s16, s6
	s_waitcnt lgkmcnt(0)
	s_barrier
	s_and_saveexec_b64 s[6:7], s[22:23]
	s_cbranch_execz .LBB58_52
; %bb.49:
	s_load_dwordx2 s[4:5], s[4:5], 0x20
	ds_read_b32 v1, v1
	s_waitcnt lgkmcnt(0)
	s_cmp_eq_u64 s[4:5], 0
	s_cbranch_scc1 .LBB58_51
; %bb.50:
	s_load_dword s3, s[4:5], 0x0
	v_max_f32_e32 v1, v1, v1
	s_waitcnt lgkmcnt(0)
	v_max_f32_e64 v4, s3, s3
	v_min_f32_e32 v1, v1, v4
.LBB58_51:
	s_mov_b32 s3, 0x43600000
	v_div_scale_f32 v4, s[4:5], s3, s3, v1
	v_rcp_f32_e32 v5, v4
	v_div_scale_f32 v6, vcc, v1, s3, v1
	v_lshlrev_b64 v[2:3], 2, v[2:3]
	v_fma_f32 v7, -v4, v5, 1.0
	v_fmac_f32_e32 v5, v7, v5
	v_mul_f32_e32 v7, v6, v5
	v_fma_f32 v8, -v4, v7, v6
	v_fmac_f32_e32 v7, v8, v5
	v_fma_f32 v4, -v4, v7, v6
	v_div_fmas_f32 v4, v4, v5, v7
	v_div_fixup_f32 v1, v4, s3, v1
	s_add_i32 s3, s21, s17
	s_lshl_b64 s[4:5], s[2:3], 2
	s_add_u32 s3, s10, s4
	s_addc_u32 s4, s11, s5
	v_mov_b32_e32 v4, s4
	v_add_co_u32_e32 v2, vcc, s3, v2
	v_max_f32_e32 v1, 0x37124925, v1
	v_addc_co_u32_e32 v3, vcc, v4, v3, vcc
	global_store_dword v[2:3], v1, off
.LBB58_52:
	s_or_b64 exec, exec, s[6:7]
	s_barrier
	s_and_saveexec_b64 s[4:5], s[0:1]
	s_cbranch_execz .LBB58_189
; %bb.53:
	s_add_u32 s13, s8, s18
	s_addc_u32 s20, s9, s19
	s_add_i32 s3, s21, s17
	s_lshl_b64 s[0:1], s[2:3], 2
	s_add_u32 s0, s10, s0
	s_addc_u32 s1, s11, s1
	s_mul_i32 s21, s47, 3
	s_lshl_b32 s22, s47, 1
	s_mov_b64 s[2:3], 0
	v_mov_b32_e32 v1, 0
	v_mov_b32_e32 v12, s44
	;; [unrolled: 1-line block ×4, first 2 shown]
	s_mov_b32 s23, 0x43800000
	s_mov_b32 s24, 0x3bffffff
	;; [unrolled: 1-line block ×4, first 2 shown]
	s_movk_i32 s27, 0x80
	s_mov_b32 s28, 0x4020c0c
	s_branch .LBB58_59
.LBB58_54:                              ;   in Loop: Header=BB58_59 Depth=1
	s_or_b64 exec, exec, s[18:19]
.LBB58_55:                              ;   in Loop: Header=BB58_59 Depth=1
	s_or_b64 exec, exec, s[10:11]
	v_lshlrev_b64 v[10:11], 2, v[0:1]
	v_mov_b32_e32 v0, s20
	v_add_co_u32_e32 v10, vcc, s13, v10
	v_addc_co_u32_e32 v11, vcc, v0, v11, vcc
	v_lshlrev_b32_e32 v0, 16, v6
	v_lshlrev_b32_e32 v3, 8, v3
	v_perm_b32 v0, v4, v0, s28
	v_and_b32_e32 v3, 0xff00, v3
	v_and_b32_e32 v4, 0xff, v8
	s_add_i32 s10, s47, s47
	v_or3_b32 v0, v0, v3, v4
	s_add_i32 s10, s10, s47
	global_store_dword v[10:11], v0, off
	v_add_u32_e32 v0, s10, v2
	v_cmp_le_u32_e32 vcc, s12, v0
	s_orn2_b64 s[10:11], vcc, exec
.LBB58_56:                              ;   in Loop: Header=BB58_59 Depth=1
	s_or_b64 exec, exec, s[8:9]
	s_orn2_b64 s[8:9], s[10:11], exec
.LBB58_57:                              ;   in Loop: Header=BB58_59 Depth=1
	s_or_b64 exec, exec, s[6:7]
	s_orn2_b64 s[6:7], s[8:9], exec
.LBB58_58:                              ;   in Loop: Header=BB58_59 Depth=1
	s_or_b64 exec, exec, s[4:5]
	s_and_b64 s[4:5], exec, s[6:7]
	s_or_b64 s[2:3], s[4:5], s[2:3]
	s_andn2_b64 exec, exec, s[2:3]
	s_cbranch_execz .LBB58_189
.LBB58_59:                              ; =>This Inner Loop Header: Depth=1
	v_lshlrev_b64 v[2:3], 3, v[0:1]
	v_add_co_u32_e32 v4, vcc, s33, v2
	v_addc_co_u32_e32 v5, vcc, v12, v3, vcc
	v_add_co_u32_e32 v10, vcc, s45, v2
	v_addc_co_u32_e32 v11, vcc, v14, v3, vcc
	global_load_dwordx2 v[4:5], v[4:5], off
	v_add_co_u32_e32 v2, vcc, s14, v2
	global_load_dwordx2 v[6:7], v[10:11], off
	v_addc_co_u32_e32 v3, vcc, v13, v3, vcc
	global_load_dwordx2 v[2:3], v[2:3], off
	v_lshrrev_b32_e32 v8, 2, v0
	v_and_b32_e32 v8, 0xffffffc, v8
	global_load_dword v9, v8, s[0:1]
	v_mov_b32_e32 v8, 0x80
	s_waitcnt vmcnt(3)
	v_cvt_f32_f16_e32 v18, v4
	v_cvt_f32_f16_sdwa v19, v4 dst_sel:DWORD dst_unused:UNUSED_PAD src0_sel:WORD_1
	v_cvt_f32_f16_e32 v16, v5
	s_waitcnt vmcnt(2)
	v_cvt_f32_f16_e32 v20, v6
	v_cvt_f32_f16_sdwa v21, v6 dst_sel:DWORD dst_unused:UNUSED_PAD src0_sel:WORD_1
	v_cvt_f32_f16_sdwa v17, v5 dst_sel:DWORD dst_unused:UNUSED_PAD src0_sel:WORD_1
	v_cvt_f32_f16_e32 v4, v7
	v_cvt_f32_f16_sdwa v5, v7 dst_sel:DWORD dst_unused:UNUSED_PAD src0_sel:WORD_1
	v_pk_add_f32 v[6:7], v[18:19], v[20:21]
	v_cvt_f16_f32_e32 v19, v6
	v_fma_mixlo_f16 v6, v36, v6, 0
	v_pk_add_f32 v[4:5], v[16:17], v[4:5]
	s_waitcnt vmcnt(1)
	v_mul_f16_e32 v6, v2, v6
	v_cvt_f16_f32_e32 v15, v5
	v_cvt_f16_f32_e32 v16, v4
	v_cvt_f32_f16_e32 v6, v6
	v_cvt_f16_f32_e32 v18, v7
	v_pack_b32_f16 v17, v16, v15
	s_waitcnt vmcnt(0)
	v_div_scale_f32 v15, s[4:5], v9, v9, v6
	v_pack_b32_f16 v16, v19, v18
	v_rcp_f32_e32 v18, v15
	global_store_dwordx2 v[10:11], v[16:17], off
	v_div_scale_f32 v10, vcc, v6, v9, v6
	v_fma_f32 v11, -v15, v18, 1.0
	v_fmac_f32_e32 v18, v11, v18
	v_mul_f32_e32 v11, v10, v18
	v_fma_f32 v16, -v15, v11, v10
	v_fmac_f32_e32 v11, v16, v18
	v_fma_f32 v10, -v15, v11, v10
	v_div_fmas_f32 v10, v10, v18, v11
	v_div_fixup_f32 v6, v10, v9, v6
	v_min_f32_e32 v6, 0x43600000, v6
	v_max_f32_e32 v10, 0xc3600000, v6
	v_and_b32_e32 v11, 0x7fffffff, v10
	v_cmp_gt_u32_e32 vcc, s23, v11
	v_mov_b32_e32 v6, 0x80
	s_and_saveexec_b64 s[4:5], vcc
	s_cbranch_execz .LBB58_65
; %bb.60:                               ;   in Loop: Header=BB58_59 Depth=1
	v_cmp_lt_u32_e32 vcc, s24, v11
	s_mov_b64 s[6:7], 0
                                        ; implicit-def: $vgpr11
	s_and_saveexec_b64 s[8:9], vcc
	s_xor_b64 s[8:9], exec, s[8:9]
	s_cbranch_execnz .LBB58_156
; %bb.61:                               ;   in Loop: Header=BB58_59 Depth=1
	s_or_saveexec_b64 s[8:9], s[8:9]
                                        ; implicit-def: $sgpr10
	s_xor_b64 exec, exec, s[8:9]
	s_cbranch_execnz .LBB58_157
.LBB58_62:                              ;   in Loop: Header=BB58_59 Depth=1
	s_or_b64 exec, exec, s[8:9]
	v_mov_b32_e32 v6, s10
	s_and_saveexec_b64 s[8:9], s[6:7]
.LBB58_63:                              ;   in Loop: Header=BB58_59 Depth=1
	v_lshrrev_b32_e32 v6, 24, v10
	v_and_or_b32 v6, v6, s27, v11
.LBB58_64:                              ;   in Loop: Header=BB58_59 Depth=1
	s_or_b64 exec, exec, s[8:9]
.LBB58_65:                              ;   in Loop: Header=BB58_59 Depth=1
	s_or_b64 exec, exec, s[4:5]
	v_fma_mixlo_f16 v7, v36, v7, 0
	v_mul_f16_sdwa v2, v2, v7 dst_sel:DWORD dst_unused:UNUSED_PAD src0_sel:WORD_1 src1_sel:DWORD
	v_cvt_f32_f16_e32 v2, v2
	v_div_scale_f32 v7, s[4:5], v9, v9, v2
	v_rcp_f32_e32 v10, v7
	v_div_scale_f32 v11, vcc, v2, v9, v2
	v_fma_f32 v15, -v7, v10, 1.0
	v_fmac_f32_e32 v10, v15, v10
	v_mul_f32_e32 v15, v11, v10
	v_fma_f32 v16, -v7, v15, v11
	v_fmac_f32_e32 v15, v16, v10
	v_fma_f32 v7, -v7, v15, v11
	v_div_fmas_f32 v7, v7, v10, v15
	v_div_fixup_f32 v2, v7, v9, v2
	v_min_f32_e32 v2, 0x43600000, v2
	v_max_f32_e32 v2, 0xc3600000, v2
	v_and_b32_e32 v7, 0x7fffffff, v2
	v_cmp_gt_u32_e32 vcc, s23, v7
	s_and_saveexec_b64 s[4:5], vcc
	s_cbranch_execz .LBB58_71
; %bb.66:                               ;   in Loop: Header=BB58_59 Depth=1
	v_cmp_lt_u32_e32 vcc, s24, v7
	s_mov_b64 s[6:7], 0
                                        ; implicit-def: $vgpr7
	s_and_saveexec_b64 s[8:9], vcc
	s_xor_b64 s[8:9], exec, s[8:9]
	s_cbranch_execnz .LBB58_158
; %bb.67:                               ;   in Loop: Header=BB58_59 Depth=1
	s_or_saveexec_b64 s[8:9], s[8:9]
                                        ; implicit-def: $sgpr10
	s_xor_b64 exec, exec, s[8:9]
	s_cbranch_execnz .LBB58_159
.LBB58_68:                              ;   in Loop: Header=BB58_59 Depth=1
	s_or_b64 exec, exec, s[8:9]
	v_mov_b32_e32 v8, s10
	s_and_saveexec_b64 s[8:9], s[6:7]
.LBB58_69:                              ;   in Loop: Header=BB58_59 Depth=1
	v_lshrrev_b32_e32 v2, 24, v2
	v_and_or_b32 v8, v2, s27, v7
.LBB58_70:                              ;   in Loop: Header=BB58_59 Depth=1
	s_or_b64 exec, exec, s[8:9]
.LBB58_71:                              ;   in Loop: Header=BB58_59 Depth=1
	s_or_b64 exec, exec, s[4:5]
	v_fma_mixlo_f16 v2, v36, v4, 0
	v_mul_f16_e32 v2, v3, v2
	v_cvt_f32_f16_e32 v4, v2
	v_mov_b32_e32 v2, 0x80
	v_div_scale_f32 v7, s[4:5], v9, v9, v4
	v_rcp_f32_e32 v10, v7
	v_div_scale_f32 v11, vcc, v4, v9, v4
	v_fma_f32 v15, -v7, v10, 1.0
	v_fmac_f32_e32 v10, v15, v10
	v_mul_f32_e32 v15, v11, v10
	v_fma_f32 v16, -v7, v15, v11
	v_fmac_f32_e32 v15, v16, v10
	v_fma_f32 v7, -v7, v15, v11
	v_div_fmas_f32 v7, v7, v10, v15
	v_div_fixup_f32 v4, v7, v9, v4
	v_min_f32_e32 v4, 0x43600000, v4
	v_max_f32_e32 v7, 0xc3600000, v4
	v_and_b32_e32 v10, 0x7fffffff, v7
	v_cmp_gt_u32_e32 vcc, s23, v10
	v_mov_b32_e32 v4, 0x80
	s_and_saveexec_b64 s[4:5], vcc
	s_cbranch_execz .LBB58_77
; %bb.72:                               ;   in Loop: Header=BB58_59 Depth=1
	v_cmp_lt_u32_e32 vcc, s24, v10
	s_mov_b64 s[6:7], 0
                                        ; implicit-def: $vgpr10
	s_and_saveexec_b64 s[8:9], vcc
	s_xor_b64 s[8:9], exec, s[8:9]
	s_cbranch_execnz .LBB58_160
; %bb.73:                               ;   in Loop: Header=BB58_59 Depth=1
	s_or_saveexec_b64 s[8:9], s[8:9]
                                        ; implicit-def: $sgpr10
	s_xor_b64 exec, exec, s[8:9]
	s_cbranch_execnz .LBB58_161
.LBB58_74:                              ;   in Loop: Header=BB58_59 Depth=1
	s_or_b64 exec, exec, s[8:9]
	v_mov_b32_e32 v4, s10
	s_and_saveexec_b64 s[8:9], s[6:7]
.LBB58_75:                              ;   in Loop: Header=BB58_59 Depth=1
	v_lshrrev_b32_e32 v4, 24, v7
	v_and_or_b32 v4, v4, s27, v10
.LBB58_76:                              ;   in Loop: Header=BB58_59 Depth=1
	s_or_b64 exec, exec, s[8:9]
.LBB58_77:                              ;   in Loop: Header=BB58_59 Depth=1
	s_or_b64 exec, exec, s[4:5]
	v_fma_mixlo_f16 v5, v36, v5, 0
	v_mul_f16_sdwa v3, v3, v5 dst_sel:DWORD dst_unused:UNUSED_PAD src0_sel:WORD_1 src1_sel:DWORD
	v_cvt_f32_f16_e32 v3, v3
	v_div_scale_f32 v5, s[4:5], v9, v9, v3
	v_rcp_f32_e32 v7, v5
	v_div_scale_f32 v10, vcc, v3, v9, v3
	v_fma_f32 v11, -v5, v7, 1.0
	v_fmac_f32_e32 v7, v11, v7
	v_mul_f32_e32 v11, v10, v7
	v_fma_f32 v15, -v5, v11, v10
	v_fmac_f32_e32 v11, v15, v7
	v_fma_f32 v5, -v5, v11, v10
	v_div_fmas_f32 v5, v5, v7, v11
	v_div_fixup_f32 v3, v5, v9, v3
	v_min_f32_e32 v3, 0x43600000, v3
	v_max_f32_e32 v3, 0xc3600000, v3
	v_and_b32_e32 v5, 0x7fffffff, v3
	v_cmp_gt_u32_e32 vcc, s23, v5
	s_and_saveexec_b64 s[4:5], vcc
	s_cbranch_execz .LBB58_83
; %bb.78:                               ;   in Loop: Header=BB58_59 Depth=1
	v_cmp_lt_u32_e32 vcc, s24, v5
	s_mov_b64 s[6:7], 0
                                        ; implicit-def: $vgpr5
	s_and_saveexec_b64 s[8:9], vcc
	s_xor_b64 s[8:9], exec, s[8:9]
	s_cbranch_execnz .LBB58_162
; %bb.79:                               ;   in Loop: Header=BB58_59 Depth=1
	s_or_saveexec_b64 s[8:9], s[8:9]
                                        ; implicit-def: $sgpr10
	s_xor_b64 exec, exec, s[8:9]
	s_cbranch_execnz .LBB58_163
.LBB58_80:                              ;   in Loop: Header=BB58_59 Depth=1
	s_or_b64 exec, exec, s[8:9]
	v_mov_b32_e32 v2, s10
	s_and_saveexec_b64 s[8:9], s[6:7]
.LBB58_81:                              ;   in Loop: Header=BB58_59 Depth=1
	v_lshrrev_b32_e32 v2, 24, v3
	v_and_or_b32 v2, v2, s27, v5
.LBB58_82:                              ;   in Loop: Header=BB58_59 Depth=1
	s_or_b64 exec, exec, s[8:9]
.LBB58_83:                              ;   in Loop: Header=BB58_59 Depth=1
	s_or_b64 exec, exec, s[4:5]
	v_lshlrev_b64 v[10:11], 2, v[0:1]
	v_mov_b32_e32 v3, s20
	v_add_co_u32_e32 v10, vcc, s13, v10
	v_addc_co_u32_e32 v11, vcc, v3, v11, vcc
	v_lshlrev_b32_e32 v3, 16, v4
	v_perm_b32 v2, v2, v3, s28
	v_lshlrev_b32_e32 v3, 8, v8
	v_and_b32_e32 v3, 0xff00, v3
	v_and_b32_e32 v4, 0xff, v6
	v_or3_b32 v2, v2, v3, v4
	global_store_dword v[10:11], v2, off
	v_add_u32_e32 v2, s47, v0
	v_cmp_gt_u32_e32 vcc, s12, v2
	s_mov_b64 s[6:7], -1
	s_and_saveexec_b64 s[4:5], vcc
	s_cbranch_execz .LBB58_58
; %bb.84:                               ;   in Loop: Header=BB58_59 Depth=1
	v_mov_b32_e32 v3, v1
	v_lshlrev_b64 v[4:5], 3, v[2:3]
	v_mov_b32_e32 v7, s44
	v_add_co_u32_e32 v6, vcc, s33, v4
	v_addc_co_u32_e32 v7, vcc, v7, v5, vcc
	v_mov_b32_e32 v8, s46
	v_add_co_u32_e32 v16, vcc, s45, v4
	v_addc_co_u32_e32 v17, vcc, v8, v5, vcc
	global_load_dwordx2 v[6:7], v[6:7], off
	v_mov_b32_e32 v10, s15
	global_load_dwordx2 v[8:9], v[16:17], off
	v_add_co_u32_e32 v4, vcc, s14, v4
	v_addc_co_u32_e32 v5, vcc, v10, v5, vcc
	global_load_dwordx2 v[4:5], v[4:5], off
	v_lshrrev_b32_e32 v10, 2, v2
	v_and_b32_e32 v10, 0xffffffc, v10
	global_load_dword v11, v10, s[0:1]
	v_mov_b32_e32 v10, 0x80
	s_waitcnt vmcnt(3)
	v_cvt_f32_f16_e32 v20, v6
	v_cvt_f32_f16_sdwa v21, v6 dst_sel:DWORD dst_unused:UNUSED_PAD src0_sel:WORD_1
	s_waitcnt vmcnt(2)
	v_cvt_f32_f16_e32 v22, v8
	v_cvt_f32_f16_sdwa v23, v8 dst_sel:DWORD dst_unused:UNUSED_PAD src0_sel:WORD_1
	v_cvt_f32_f16_e32 v18, v7
	v_cvt_f32_f16_sdwa v19, v7 dst_sel:DWORD dst_unused:UNUSED_PAD src0_sel:WORD_1
	;; [unrolled: 2-line block ×3, first 2 shown]
	v_pk_add_f32 v[8:9], v[20:21], v[22:23]
	v_cvt_f16_f32_e32 v21, v8
	v_fma_mixlo_f16 v8, v36, v8, 0
	v_pk_add_f32 v[6:7], v[18:19], v[6:7]
	s_waitcnt vmcnt(1)
	v_mul_f16_e32 v8, v4, v8
	v_cvt_f16_f32_e32 v15, v7
	v_cvt_f16_f32_e32 v18, v6
	v_cvt_f32_f16_e32 v8, v8
	v_cvt_f16_f32_e32 v20, v9
	v_pack_b32_f16 v19, v18, v15
	s_waitcnt vmcnt(0)
	v_div_scale_f32 v15, s[6:7], v11, v11, v8
	v_pack_b32_f16 v18, v21, v20
	v_rcp_f32_e32 v20, v15
	global_store_dwordx2 v[16:17], v[18:19], off
	v_div_scale_f32 v16, vcc, v8, v11, v8
	v_fma_f32 v17, -v15, v20, 1.0
	v_fmac_f32_e32 v20, v17, v20
	v_mul_f32_e32 v17, v16, v20
	v_fma_f32 v18, -v15, v17, v16
	v_fmac_f32_e32 v17, v18, v20
	v_fma_f32 v15, -v15, v17, v16
	v_div_fmas_f32 v15, v15, v20, v17
	v_div_fixup_f32 v8, v15, v11, v8
	v_min_f32_e32 v8, 0x43600000, v8
	v_max_f32_e32 v15, 0xc3600000, v8
	v_and_b32_e32 v16, 0x7fffffff, v15
	v_cmp_gt_u32_e32 vcc, s23, v16
	v_mov_b32_e32 v8, 0x80
	s_and_saveexec_b64 s[6:7], vcc
	s_cbranch_execz .LBB58_90
; %bb.85:                               ;   in Loop: Header=BB58_59 Depth=1
	v_cmp_lt_u32_e32 vcc, s24, v16
	s_mov_b64 s[8:9], 0
                                        ; implicit-def: $vgpr16
	s_and_saveexec_b64 s[10:11], vcc
	s_xor_b64 s[10:11], exec, s[10:11]
	s_cbranch_execnz .LBB58_164
; %bb.86:                               ;   in Loop: Header=BB58_59 Depth=1
	s_or_saveexec_b64 s[10:11], s[10:11]
                                        ; implicit-def: $sgpr16
	s_xor_b64 exec, exec, s[10:11]
	s_cbranch_execnz .LBB58_165
.LBB58_87:                              ;   in Loop: Header=BB58_59 Depth=1
	s_or_b64 exec, exec, s[10:11]
	v_mov_b32_e32 v8, s16
	s_and_saveexec_b64 s[10:11], s[8:9]
.LBB58_88:                              ;   in Loop: Header=BB58_59 Depth=1
	v_lshrrev_b32_e32 v8, 24, v15
	v_and_or_b32 v8, v8, s27, v16
.LBB58_89:                              ;   in Loop: Header=BB58_59 Depth=1
	s_or_b64 exec, exec, s[10:11]
.LBB58_90:                              ;   in Loop: Header=BB58_59 Depth=1
	s_or_b64 exec, exec, s[6:7]
	v_fma_mixlo_f16 v9, v36, v9, 0
	v_mul_f16_sdwa v4, v4, v9 dst_sel:DWORD dst_unused:UNUSED_PAD src0_sel:WORD_1 src1_sel:DWORD
	v_cvt_f32_f16_e32 v4, v4
	v_div_scale_f32 v9, s[6:7], v11, v11, v4
	v_rcp_f32_e32 v15, v9
	v_div_scale_f32 v16, vcc, v4, v11, v4
	v_fma_f32 v17, -v9, v15, 1.0
	v_fmac_f32_e32 v15, v17, v15
	v_mul_f32_e32 v17, v16, v15
	v_fma_f32 v18, -v9, v17, v16
	v_fmac_f32_e32 v17, v18, v15
	v_fma_f32 v9, -v9, v17, v16
	v_div_fmas_f32 v9, v9, v15, v17
	v_div_fixup_f32 v4, v9, v11, v4
	v_min_f32_e32 v4, 0x43600000, v4
	v_max_f32_e32 v4, 0xc3600000, v4
	v_and_b32_e32 v9, 0x7fffffff, v4
	v_cmp_gt_u32_e32 vcc, s23, v9
	s_and_saveexec_b64 s[6:7], vcc
	s_cbranch_execz .LBB58_96
; %bb.91:                               ;   in Loop: Header=BB58_59 Depth=1
	v_cmp_lt_u32_e32 vcc, s24, v9
	s_mov_b64 s[8:9], 0
                                        ; implicit-def: $vgpr9
	s_and_saveexec_b64 s[10:11], vcc
	s_xor_b64 s[10:11], exec, s[10:11]
	s_cbranch_execnz .LBB58_166
; %bb.92:                               ;   in Loop: Header=BB58_59 Depth=1
	s_or_saveexec_b64 s[10:11], s[10:11]
                                        ; implicit-def: $sgpr16
	s_xor_b64 exec, exec, s[10:11]
	s_cbranch_execnz .LBB58_167
.LBB58_93:                              ;   in Loop: Header=BB58_59 Depth=1
	s_or_b64 exec, exec, s[10:11]
	v_mov_b32_e32 v10, s16
	s_and_saveexec_b64 s[10:11], s[8:9]
.LBB58_94:                              ;   in Loop: Header=BB58_59 Depth=1
	v_lshrrev_b32_e32 v4, 24, v4
	v_and_or_b32 v10, v4, s27, v9
.LBB58_95:                              ;   in Loop: Header=BB58_59 Depth=1
	s_or_b64 exec, exec, s[10:11]
.LBB58_96:                              ;   in Loop: Header=BB58_59 Depth=1
	s_or_b64 exec, exec, s[6:7]
	v_fma_mixlo_f16 v4, v36, v6, 0
	v_mul_f16_e32 v4, v5, v4
	v_cvt_f32_f16_e32 v6, v4
	v_mov_b32_e32 v4, 0x80
	v_div_scale_f32 v9, s[6:7], v11, v11, v6
	v_rcp_f32_e32 v15, v9
	v_div_scale_f32 v16, vcc, v6, v11, v6
	v_fma_f32 v17, -v9, v15, 1.0
	v_fmac_f32_e32 v15, v17, v15
	v_mul_f32_e32 v17, v16, v15
	v_fma_f32 v18, -v9, v17, v16
	v_fmac_f32_e32 v17, v18, v15
	v_fma_f32 v9, -v9, v17, v16
	v_div_fmas_f32 v9, v9, v15, v17
	v_div_fixup_f32 v6, v9, v11, v6
	v_min_f32_e32 v6, 0x43600000, v6
	v_max_f32_e32 v9, 0xc3600000, v6
	v_and_b32_e32 v15, 0x7fffffff, v9
	v_cmp_gt_u32_e32 vcc, s23, v15
	v_mov_b32_e32 v6, 0x80
	s_and_saveexec_b64 s[6:7], vcc
	s_cbranch_execz .LBB58_102
; %bb.97:                               ;   in Loop: Header=BB58_59 Depth=1
	v_cmp_lt_u32_e32 vcc, s24, v15
	s_mov_b64 s[8:9], 0
                                        ; implicit-def: $vgpr15
	s_and_saveexec_b64 s[10:11], vcc
	s_xor_b64 s[10:11], exec, s[10:11]
	s_cbranch_execnz .LBB58_168
; %bb.98:                               ;   in Loop: Header=BB58_59 Depth=1
	s_or_saveexec_b64 s[10:11], s[10:11]
                                        ; implicit-def: $sgpr16
	s_xor_b64 exec, exec, s[10:11]
	s_cbranch_execnz .LBB58_169
.LBB58_99:                              ;   in Loop: Header=BB58_59 Depth=1
	s_or_b64 exec, exec, s[10:11]
	v_mov_b32_e32 v6, s16
	s_and_saveexec_b64 s[10:11], s[8:9]
.LBB58_100:                             ;   in Loop: Header=BB58_59 Depth=1
	v_lshrrev_b32_e32 v6, 24, v9
	v_and_or_b32 v6, v6, s27, v15
.LBB58_101:                             ;   in Loop: Header=BB58_59 Depth=1
	s_or_b64 exec, exec, s[10:11]
.LBB58_102:                             ;   in Loop: Header=BB58_59 Depth=1
	s_or_b64 exec, exec, s[6:7]
	v_fma_mixlo_f16 v7, v36, v7, 0
	v_mul_f16_sdwa v5, v5, v7 dst_sel:DWORD dst_unused:UNUSED_PAD src0_sel:WORD_1 src1_sel:DWORD
	v_cvt_f32_f16_e32 v5, v5
	v_div_scale_f32 v7, s[6:7], v11, v11, v5
	v_rcp_f32_e32 v9, v7
	v_div_scale_f32 v15, vcc, v5, v11, v5
	v_fma_f32 v16, -v7, v9, 1.0
	v_fmac_f32_e32 v9, v16, v9
	v_mul_f32_e32 v16, v15, v9
	v_fma_f32 v17, -v7, v16, v15
	v_fmac_f32_e32 v16, v17, v9
	v_fma_f32 v7, -v7, v16, v15
	v_div_fmas_f32 v7, v7, v9, v16
	v_div_fixup_f32 v5, v7, v11, v5
	v_min_f32_e32 v5, 0x43600000, v5
	v_max_f32_e32 v5, 0xc3600000, v5
	v_and_b32_e32 v7, 0x7fffffff, v5
	v_cmp_gt_u32_e32 vcc, s23, v7
	s_and_saveexec_b64 s[6:7], vcc
	s_cbranch_execz .LBB58_108
; %bb.103:                              ;   in Loop: Header=BB58_59 Depth=1
	v_cmp_lt_u32_e32 vcc, s24, v7
	s_mov_b64 s[8:9], 0
                                        ; implicit-def: $vgpr7
	s_and_saveexec_b64 s[10:11], vcc
	s_xor_b64 s[10:11], exec, s[10:11]
	s_cbranch_execnz .LBB58_170
; %bb.104:                              ;   in Loop: Header=BB58_59 Depth=1
	s_or_saveexec_b64 s[10:11], s[10:11]
                                        ; implicit-def: $sgpr16
	s_xor_b64 exec, exec, s[10:11]
	s_cbranch_execnz .LBB58_171
.LBB58_105:                             ;   in Loop: Header=BB58_59 Depth=1
	s_or_b64 exec, exec, s[10:11]
	v_mov_b32_e32 v4, s16
	s_and_saveexec_b64 s[10:11], s[8:9]
.LBB58_106:                             ;   in Loop: Header=BB58_59 Depth=1
	v_lshrrev_b32_e32 v4, 24, v5
	v_and_or_b32 v4, v4, s27, v7
.LBB58_107:                             ;   in Loop: Header=BB58_59 Depth=1
	s_or_b64 exec, exec, s[10:11]
.LBB58_108:                             ;   in Loop: Header=BB58_59 Depth=1
	s_or_b64 exec, exec, s[6:7]
	v_lshlrev_b64 v[16:17], 2, v[2:3]
	v_mov_b32_e32 v3, s20
	v_add_co_u32_e32 v16, vcc, s13, v16
	v_addc_co_u32_e32 v17, vcc, v3, v17, vcc
	v_lshlrev_b32_e32 v3, 16, v6
	v_perm_b32 v3, v4, v3, s28
	v_lshlrev_b32_e32 v4, 8, v10
	v_and_b32_e32 v4, 0xff00, v4
	v_and_b32_e32 v5, 0xff, v8
	v_or3_b32 v3, v3, v4, v5
	v_add_u32_e32 v4, s22, v0
	v_cmp_gt_u32_e32 vcc, s12, v4
	s_mov_b64 s[8:9], -1
	global_store_dword v[16:17], v3, off
	s_and_saveexec_b64 s[6:7], vcc
	s_cbranch_execz .LBB58_57
; %bb.109:                              ;   in Loop: Header=BB58_59 Depth=1
	v_mov_b32_e32 v5, v1
	v_lshlrev_b64 v[6:7], 3, v[4:5]
	v_mov_b32_e32 v3, s44
	v_add_co_u32_e32 v8, vcc, s33, v6
	v_addc_co_u32_e32 v9, vcc, v3, v7, vcc
	v_mov_b32_e32 v3, s46
	v_add_co_u32_e32 v16, vcc, s45, v6
	v_addc_co_u32_e32 v17, vcc, v3, v7, vcc
	global_load_dwordx2 v[8:9], v[8:9], off
	v_mov_b32_e32 v3, s15
	global_load_dwordx2 v[10:11], v[16:17], off
	v_add_co_u32_e32 v6, vcc, s14, v6
	v_addc_co_u32_e32 v7, vcc, v3, v7, vcc
	global_load_dwordx2 v[6:7], v[6:7], off
	v_lshrrev_b32_e32 v3, 2, v4
	v_and_b32_e32 v3, 0xffffffc, v3
	global_load_dword v15, v3, s[0:1]
	v_mov_b32_e32 v3, 0x80
	s_waitcnt vmcnt(3)
	v_cvt_f32_f16_e32 v20, v8
	v_cvt_f32_f16_sdwa v21, v8 dst_sel:DWORD dst_unused:UNUSED_PAD src0_sel:WORD_1
	s_waitcnt vmcnt(2)
	v_cvt_f32_f16_e32 v22, v10
	v_cvt_f32_f16_sdwa v23, v10 dst_sel:DWORD dst_unused:UNUSED_PAD src0_sel:WORD_1
	v_cvt_f32_f16_e32 v18, v9
	v_cvt_f32_f16_sdwa v19, v9 dst_sel:DWORD dst_unused:UNUSED_PAD src0_sel:WORD_1
	;; [unrolled: 2-line block ×3, first 2 shown]
	v_pk_add_f32 v[10:11], v[20:21], v[22:23]
	v_cvt_f16_f32_e32 v21, v10
	v_fma_mixlo_f16 v10, v36, v10, 0
	v_pk_add_f32 v[8:9], v[18:19], v[8:9]
	s_waitcnt vmcnt(1)
	v_mul_f16_e32 v10, v6, v10
	v_cvt_f16_f32_e32 v18, v9
	v_cvt_f16_f32_e32 v19, v8
	;; [unrolled: 1-line block ×3, first 2 shown]
	v_cvt_f32_f16_e32 v10, v10
	v_pack_b32_f16 v19, v19, v18
	v_pack_b32_f16 v18, v21, v20
	s_waitcnt vmcnt(0)
	v_div_scale_f32 v20, s[8:9], v15, v15, v10
	v_rcp_f32_e32 v21, v20
	global_store_dwordx2 v[16:17], v[18:19], off
	v_div_scale_f32 v16, vcc, v10, v15, v10
	v_fma_f32 v17, -v20, v21, 1.0
	v_fmac_f32_e32 v21, v17, v21
	v_mul_f32_e32 v17, v16, v21
	v_fma_f32 v18, -v20, v17, v16
	v_fmac_f32_e32 v17, v18, v21
	v_fma_f32 v16, -v20, v17, v16
	v_div_fmas_f32 v16, v16, v21, v17
	v_div_fixup_f32 v10, v16, v15, v10
	v_min_f32_e32 v10, 0x43600000, v10
	v_max_f32_e32 v16, 0xc3600000, v10
	v_and_b32_e32 v17, 0x7fffffff, v16
	v_cmp_gt_u32_e32 vcc, s23, v17
	v_mov_b32_e32 v10, 0x80
	s_and_saveexec_b64 s[8:9], vcc
	s_cbranch_execz .LBB58_115
; %bb.110:                              ;   in Loop: Header=BB58_59 Depth=1
	v_cmp_lt_u32_e32 vcc, s24, v17
	s_mov_b64 s[10:11], 0
                                        ; implicit-def: $vgpr17
	s_and_saveexec_b64 s[16:17], vcc
	s_xor_b64 s[16:17], exec, s[16:17]
	s_cbranch_execnz .LBB58_172
; %bb.111:                              ;   in Loop: Header=BB58_59 Depth=1
	s_or_saveexec_b64 s[16:17], s[16:17]
                                        ; implicit-def: $sgpr18
	s_xor_b64 exec, exec, s[16:17]
	s_cbranch_execnz .LBB58_173
.LBB58_112:                             ;   in Loop: Header=BB58_59 Depth=1
	s_or_b64 exec, exec, s[16:17]
	v_mov_b32_e32 v10, s18
	s_and_saveexec_b64 s[16:17], s[10:11]
.LBB58_113:                             ;   in Loop: Header=BB58_59 Depth=1
	v_lshrrev_b32_e32 v10, 24, v16
	v_and_or_b32 v10, v10, s27, v17
.LBB58_114:                             ;   in Loop: Header=BB58_59 Depth=1
	s_or_b64 exec, exec, s[16:17]
.LBB58_115:                             ;   in Loop: Header=BB58_59 Depth=1
	s_or_b64 exec, exec, s[8:9]
	v_fma_mixlo_f16 v11, v36, v11, 0
	v_mul_f16_sdwa v6, v6, v11 dst_sel:DWORD dst_unused:UNUSED_PAD src0_sel:WORD_1 src1_sel:DWORD
	v_cvt_f32_f16_e32 v6, v6
	v_div_scale_f32 v11, s[8:9], v15, v15, v6
	v_rcp_f32_e32 v16, v11
	v_div_scale_f32 v17, vcc, v6, v15, v6
	v_fma_f32 v18, -v11, v16, 1.0
	v_fmac_f32_e32 v16, v18, v16
	v_mul_f32_e32 v18, v17, v16
	v_fma_f32 v19, -v11, v18, v17
	v_fmac_f32_e32 v18, v19, v16
	v_fma_f32 v11, -v11, v18, v17
	v_div_fmas_f32 v11, v11, v16, v18
	v_div_fixup_f32 v6, v11, v15, v6
	v_min_f32_e32 v6, 0x43600000, v6
	v_max_f32_e32 v6, 0xc3600000, v6
	v_and_b32_e32 v11, 0x7fffffff, v6
	v_cmp_gt_u32_e32 vcc, s23, v11
	s_and_saveexec_b64 s[8:9], vcc
	s_cbranch_execz .LBB58_121
; %bb.116:                              ;   in Loop: Header=BB58_59 Depth=1
	v_cmp_lt_u32_e32 vcc, s24, v11
	s_mov_b64 s[10:11], 0
                                        ; implicit-def: $vgpr11
	s_and_saveexec_b64 s[16:17], vcc
	s_xor_b64 s[16:17], exec, s[16:17]
	s_cbranch_execnz .LBB58_174
; %bb.117:                              ;   in Loop: Header=BB58_59 Depth=1
	s_or_saveexec_b64 s[16:17], s[16:17]
                                        ; implicit-def: $sgpr18
	s_xor_b64 exec, exec, s[16:17]
	s_cbranch_execnz .LBB58_175
.LBB58_118:                             ;   in Loop: Header=BB58_59 Depth=1
	s_or_b64 exec, exec, s[16:17]
	v_mov_b32_e32 v3, s18
	s_and_saveexec_b64 s[16:17], s[10:11]
.LBB58_119:                             ;   in Loop: Header=BB58_59 Depth=1
	v_lshrrev_b32_e32 v3, 24, v6
	v_and_or_b32 v3, v3, s27, v11
.LBB58_120:                             ;   in Loop: Header=BB58_59 Depth=1
	s_or_b64 exec, exec, s[16:17]
.LBB58_121:                             ;   in Loop: Header=BB58_59 Depth=1
	s_or_b64 exec, exec, s[8:9]
	v_fma_mixlo_f16 v6, v36, v8, 0
	v_mul_f16_e32 v6, v7, v6
	v_cvt_f32_f16_e32 v8, v6
	v_mov_b32_e32 v6, 0x80
	v_div_scale_f32 v11, s[8:9], v15, v15, v8
	v_rcp_f32_e32 v16, v11
	v_div_scale_f32 v17, vcc, v8, v15, v8
	v_fma_f32 v18, -v11, v16, 1.0
	v_fmac_f32_e32 v16, v18, v16
	v_mul_f32_e32 v18, v17, v16
	v_fma_f32 v19, -v11, v18, v17
	v_fmac_f32_e32 v18, v19, v16
	v_fma_f32 v11, -v11, v18, v17
	v_div_fmas_f32 v11, v11, v16, v18
	v_div_fixup_f32 v8, v11, v15, v8
	v_min_f32_e32 v8, 0x43600000, v8
	v_max_f32_e32 v11, 0xc3600000, v8
	v_and_b32_e32 v16, 0x7fffffff, v11
	v_cmp_gt_u32_e32 vcc, s23, v16
	v_mov_b32_e32 v8, 0x80
	s_and_saveexec_b64 s[8:9], vcc
	s_cbranch_execz .LBB58_127
; %bb.122:                              ;   in Loop: Header=BB58_59 Depth=1
	v_cmp_lt_u32_e32 vcc, s24, v16
	s_mov_b64 s[10:11], 0
                                        ; implicit-def: $vgpr16
	s_and_saveexec_b64 s[16:17], vcc
	s_xor_b64 s[16:17], exec, s[16:17]
	s_cbranch_execnz .LBB58_176
; %bb.123:                              ;   in Loop: Header=BB58_59 Depth=1
	s_or_saveexec_b64 s[16:17], s[16:17]
                                        ; implicit-def: $sgpr18
	s_xor_b64 exec, exec, s[16:17]
	s_cbranch_execnz .LBB58_177
.LBB58_124:                             ;   in Loop: Header=BB58_59 Depth=1
	s_or_b64 exec, exec, s[16:17]
	v_mov_b32_e32 v8, s18
	s_and_saveexec_b64 s[16:17], s[10:11]
.LBB58_125:                             ;   in Loop: Header=BB58_59 Depth=1
	v_lshrrev_b32_e32 v8, 24, v11
	v_and_or_b32 v8, v8, s27, v16
.LBB58_126:                             ;   in Loop: Header=BB58_59 Depth=1
	s_or_b64 exec, exec, s[16:17]
.LBB58_127:                             ;   in Loop: Header=BB58_59 Depth=1
	s_or_b64 exec, exec, s[8:9]
	v_fma_mixlo_f16 v9, v36, v9, 0
	v_mul_f16_sdwa v7, v7, v9 dst_sel:DWORD dst_unused:UNUSED_PAD src0_sel:WORD_1 src1_sel:DWORD
	v_cvt_f32_f16_e32 v7, v7
	v_div_scale_f32 v9, s[8:9], v15, v15, v7
	v_rcp_f32_e32 v11, v9
	v_div_scale_f32 v16, vcc, v7, v15, v7
	v_fma_f32 v17, -v9, v11, 1.0
	v_fmac_f32_e32 v11, v17, v11
	v_mul_f32_e32 v17, v16, v11
	v_fma_f32 v18, -v9, v17, v16
	v_fmac_f32_e32 v17, v18, v11
	v_fma_f32 v9, -v9, v17, v16
	v_div_fmas_f32 v9, v9, v11, v17
	v_div_fixup_f32 v7, v9, v15, v7
	v_min_f32_e32 v7, 0x43600000, v7
	v_max_f32_e32 v7, 0xc3600000, v7
	v_and_b32_e32 v9, 0x7fffffff, v7
	v_cmp_gt_u32_e32 vcc, s23, v9
	s_and_saveexec_b64 s[8:9], vcc
	s_cbranch_execz .LBB58_133
; %bb.128:                              ;   in Loop: Header=BB58_59 Depth=1
	v_cmp_lt_u32_e32 vcc, s24, v9
	s_mov_b64 s[10:11], 0
                                        ; implicit-def: $vgpr9
	s_and_saveexec_b64 s[16:17], vcc
	s_xor_b64 s[16:17], exec, s[16:17]
	s_cbranch_execnz .LBB58_178
; %bb.129:                              ;   in Loop: Header=BB58_59 Depth=1
	s_or_saveexec_b64 s[16:17], s[16:17]
                                        ; implicit-def: $sgpr18
	s_xor_b64 exec, exec, s[16:17]
	s_cbranch_execnz .LBB58_179
.LBB58_130:                             ;   in Loop: Header=BB58_59 Depth=1
	s_or_b64 exec, exec, s[16:17]
	v_mov_b32_e32 v6, s18
	s_and_saveexec_b64 s[16:17], s[10:11]
.LBB58_131:                             ;   in Loop: Header=BB58_59 Depth=1
	v_lshrrev_b32_e32 v6, 24, v7
	v_and_or_b32 v6, v6, s27, v9
.LBB58_132:                             ;   in Loop: Header=BB58_59 Depth=1
	s_or_b64 exec, exec, s[16:17]
.LBB58_133:                             ;   in Loop: Header=BB58_59 Depth=1
	s_or_b64 exec, exec, s[8:9]
	v_lshlrev_b64 v[4:5], 2, v[4:5]
	v_mov_b32_e32 v7, s20
	v_add_co_u32_e32 v4, vcc, s13, v4
	v_addc_co_u32_e32 v5, vcc, v7, v5, vcc
	v_lshlrev_b32_e32 v7, 16, v8
	v_lshlrev_b32_e32 v3, 8, v3
	v_perm_b32 v6, v6, v7, s28
	v_and_b32_e32 v3, 0xff00, v3
	v_and_b32_e32 v7, 0xff, v10
	v_add_u32_e32 v0, s21, v0
	v_or3_b32 v3, v6, v3, v7
	v_cmp_gt_u32_e32 vcc, s12, v0
	s_mov_b64 s[10:11], -1
	global_store_dword v[4:5], v3, off
	s_and_saveexec_b64 s[8:9], vcc
	s_cbranch_execz .LBB58_56
; %bb.134:                              ;   in Loop: Header=BB58_59 Depth=1
	v_lshlrev_b64 v[4:5], 3, v[0:1]
	v_mov_b32_e32 v3, s44
	v_add_co_u32_e32 v6, vcc, s33, v4
	v_addc_co_u32_e32 v7, vcc, v3, v5, vcc
	v_mov_b32_e32 v3, s46
	v_add_co_u32_e32 v16, vcc, s45, v4
	v_addc_co_u32_e32 v17, vcc, v3, v5, vcc
	global_load_dwordx2 v[6:7], v[6:7], off
	v_mov_b32_e32 v3, s15
	global_load_dwordx2 v[8:9], v[16:17], off
	v_add_co_u32_e32 v4, vcc, s14, v4
	v_addc_co_u32_e32 v5, vcc, v3, v5, vcc
	global_load_dwordx2 v[4:5], v[4:5], off
	v_lshrrev_b32_e32 v3, 2, v0
	v_and_b32_e32 v3, 0xffffffc, v3
	global_load_dword v10, v3, s[0:1]
	v_mov_b32_e32 v3, 0x80
	s_waitcnt vmcnt(3)
	v_cvt_f32_f16_e32 v20, v6
	v_cvt_f32_f16_sdwa v21, v6 dst_sel:DWORD dst_unused:UNUSED_PAD src0_sel:WORD_1
	s_waitcnt vmcnt(2)
	v_cvt_f32_f16_e32 v22, v8
	v_cvt_f32_f16_sdwa v23, v8 dst_sel:DWORD dst_unused:UNUSED_PAD src0_sel:WORD_1
	v_cvt_f32_f16_e32 v18, v7
	v_cvt_f32_f16_sdwa v19, v7 dst_sel:DWORD dst_unused:UNUSED_PAD src0_sel:WORD_1
	;; [unrolled: 2-line block ×3, first 2 shown]
	v_pk_add_f32 v[8:9], v[20:21], v[22:23]
	v_cvt_f16_f32_e32 v20, v8
	v_fma_mixlo_f16 v8, v36, v8, 0
	v_pk_add_f32 v[6:7], v[18:19], v[6:7]
	s_waitcnt vmcnt(1)
	v_mul_f16_e32 v8, v4, v8
	v_cvt_f16_f32_e32 v11, v7
	v_cvt_f16_f32_e32 v15, v6
	v_cvt_f32_f16_e32 v8, v8
	v_cvt_f16_f32_e32 v18, v9
	v_pack_b32_f16 v19, v15, v11
	s_waitcnt vmcnt(0)
	v_div_scale_f32 v11, s[10:11], v10, v10, v8
	v_rcp_f32_e32 v15, v11
	v_pack_b32_f16 v18, v20, v18
	global_store_dwordx2 v[16:17], v[18:19], off
	v_div_scale_f32 v16, vcc, v8, v10, v8
	v_fma_f32 v17, -v11, v15, 1.0
	v_fmac_f32_e32 v15, v17, v15
	v_mul_f32_e32 v17, v16, v15
	v_fma_f32 v18, -v11, v17, v16
	v_fmac_f32_e32 v17, v18, v15
	v_fma_f32 v11, -v11, v17, v16
	v_div_fmas_f32 v11, v11, v15, v17
	v_div_fixup_f32 v8, v11, v10, v8
	v_min_f32_e32 v8, 0x43600000, v8
	v_max_f32_e32 v11, 0xc3600000, v8
	v_and_b32_e32 v15, 0x7fffffff, v11
	v_cmp_gt_u32_e32 vcc, s23, v15
	v_mov_b32_e32 v8, 0x80
	s_and_saveexec_b64 s[10:11], vcc
	s_cbranch_execz .LBB58_140
; %bb.135:                              ;   in Loop: Header=BB58_59 Depth=1
	v_cmp_lt_u32_e32 vcc, s24, v15
	s_mov_b64 s[16:17], 0
                                        ; implicit-def: $vgpr15
	s_and_saveexec_b64 s[18:19], vcc
	s_xor_b64 s[18:19], exec, s[18:19]
	s_cbranch_execnz .LBB58_180
; %bb.136:                              ;   in Loop: Header=BB58_59 Depth=1
	s_or_saveexec_b64 s[18:19], s[18:19]
                                        ; implicit-def: $sgpr29
	s_xor_b64 exec, exec, s[18:19]
	s_cbranch_execnz .LBB58_181
.LBB58_137:                             ;   in Loop: Header=BB58_59 Depth=1
	s_or_b64 exec, exec, s[18:19]
	v_mov_b32_e32 v8, s29
	s_and_saveexec_b64 s[18:19], s[16:17]
.LBB58_138:                             ;   in Loop: Header=BB58_59 Depth=1
	v_lshrrev_b32_e32 v8, 24, v11
	v_and_or_b32 v8, v8, s27, v15
.LBB58_139:                             ;   in Loop: Header=BB58_59 Depth=1
	s_or_b64 exec, exec, s[18:19]
.LBB58_140:                             ;   in Loop: Header=BB58_59 Depth=1
	s_or_b64 exec, exec, s[10:11]
	v_fma_mixlo_f16 v9, v36, v9, 0
	v_mul_f16_sdwa v4, v4, v9 dst_sel:DWORD dst_unused:UNUSED_PAD src0_sel:WORD_1 src1_sel:DWORD
	v_cvt_f32_f16_e32 v4, v4
	v_div_scale_f32 v9, s[10:11], v10, v10, v4
	v_rcp_f32_e32 v11, v9
	v_div_scale_f32 v15, vcc, v4, v10, v4
	v_fma_f32 v16, -v9, v11, 1.0
	v_fmac_f32_e32 v11, v16, v11
	v_mul_f32_e32 v16, v15, v11
	v_fma_f32 v17, -v9, v16, v15
	v_fmac_f32_e32 v16, v17, v11
	v_fma_f32 v9, -v9, v16, v15
	v_div_fmas_f32 v9, v9, v11, v16
	v_div_fixup_f32 v4, v9, v10, v4
	v_min_f32_e32 v4, 0x43600000, v4
	v_max_f32_e32 v4, 0xc3600000, v4
	v_and_b32_e32 v9, 0x7fffffff, v4
	v_cmp_gt_u32_e32 vcc, s23, v9
	s_and_saveexec_b64 s[10:11], vcc
	s_cbranch_execz .LBB58_146
; %bb.141:                              ;   in Loop: Header=BB58_59 Depth=1
	v_cmp_lt_u32_e32 vcc, s24, v9
	s_mov_b64 s[16:17], 0
                                        ; implicit-def: $vgpr9
	s_and_saveexec_b64 s[18:19], vcc
	s_xor_b64 s[18:19], exec, s[18:19]
	s_cbranch_execnz .LBB58_182
; %bb.142:                              ;   in Loop: Header=BB58_59 Depth=1
	s_or_saveexec_b64 s[18:19], s[18:19]
                                        ; implicit-def: $sgpr29
	s_xor_b64 exec, exec, s[18:19]
	s_cbranch_execnz .LBB58_183
.LBB58_143:                             ;   in Loop: Header=BB58_59 Depth=1
	s_or_b64 exec, exec, s[18:19]
	v_mov_b32_e32 v3, s29
	s_and_saveexec_b64 s[18:19], s[16:17]
.LBB58_144:                             ;   in Loop: Header=BB58_59 Depth=1
	v_lshrrev_b32_e32 v3, 24, v4
	v_and_or_b32 v3, v3, s27, v9
.LBB58_145:                             ;   in Loop: Header=BB58_59 Depth=1
	s_or_b64 exec, exec, s[18:19]
.LBB58_146:                             ;   in Loop: Header=BB58_59 Depth=1
	s_or_b64 exec, exec, s[10:11]
	v_fma_mixlo_f16 v4, v36, v6, 0
	v_mul_f16_e32 v4, v5, v4
	v_cvt_f32_f16_e32 v6, v4
	v_mov_b32_e32 v4, 0x80
	v_div_scale_f32 v9, s[10:11], v10, v10, v6
	v_rcp_f32_e32 v11, v9
	v_div_scale_f32 v15, vcc, v6, v10, v6
	v_fma_f32 v16, -v9, v11, 1.0
	v_fmac_f32_e32 v11, v16, v11
	v_mul_f32_e32 v16, v15, v11
	v_fma_f32 v17, -v9, v16, v15
	v_fmac_f32_e32 v16, v17, v11
	v_fma_f32 v9, -v9, v16, v15
	v_div_fmas_f32 v9, v9, v11, v16
	v_div_fixup_f32 v6, v9, v10, v6
	v_min_f32_e32 v6, 0x43600000, v6
	v_max_f32_e32 v9, 0xc3600000, v6
	v_and_b32_e32 v11, 0x7fffffff, v9
	v_cmp_gt_u32_e32 vcc, s23, v11
	v_mov_b32_e32 v6, 0x80
	s_and_saveexec_b64 s[10:11], vcc
	s_cbranch_execz .LBB58_152
; %bb.147:                              ;   in Loop: Header=BB58_59 Depth=1
	v_cmp_lt_u32_e32 vcc, s24, v11
	s_mov_b64 s[16:17], 0
                                        ; implicit-def: $vgpr11
	s_and_saveexec_b64 s[18:19], vcc
	s_xor_b64 s[18:19], exec, s[18:19]
	s_cbranch_execnz .LBB58_184
; %bb.148:                              ;   in Loop: Header=BB58_59 Depth=1
	s_or_saveexec_b64 s[18:19], s[18:19]
                                        ; implicit-def: $sgpr29
	s_xor_b64 exec, exec, s[18:19]
	s_cbranch_execnz .LBB58_185
.LBB58_149:                             ;   in Loop: Header=BB58_59 Depth=1
	s_or_b64 exec, exec, s[18:19]
	v_mov_b32_e32 v6, s29
	s_and_saveexec_b64 s[18:19], s[16:17]
.LBB58_150:                             ;   in Loop: Header=BB58_59 Depth=1
	v_lshrrev_b32_e32 v6, 24, v9
	v_and_or_b32 v6, v6, s27, v11
.LBB58_151:                             ;   in Loop: Header=BB58_59 Depth=1
	s_or_b64 exec, exec, s[18:19]
.LBB58_152:                             ;   in Loop: Header=BB58_59 Depth=1
	s_or_b64 exec, exec, s[10:11]
	v_fma_mixlo_f16 v7, v36, v7, 0
	v_mul_f16_sdwa v5, v5, v7 dst_sel:DWORD dst_unused:UNUSED_PAD src0_sel:WORD_1 src1_sel:DWORD
	v_cvt_f32_f16_e32 v5, v5
	v_div_scale_f32 v7, s[10:11], v10, v10, v5
	v_rcp_f32_e32 v9, v7
	v_div_scale_f32 v11, vcc, v5, v10, v5
	v_fma_f32 v15, -v7, v9, 1.0
	v_fmac_f32_e32 v9, v15, v9
	v_mul_f32_e32 v15, v11, v9
	v_fma_f32 v16, -v7, v15, v11
	v_fmac_f32_e32 v15, v16, v9
	v_fma_f32 v7, -v7, v15, v11
	v_div_fmas_f32 v7, v7, v9, v15
	v_div_fixup_f32 v5, v7, v10, v5
	v_min_f32_e32 v5, 0x43600000, v5
	v_max_f32_e32 v5, 0xc3600000, v5
	v_and_b32_e32 v7, 0x7fffffff, v5
	v_cmp_gt_u32_e32 vcc, s23, v7
	s_and_saveexec_b64 s[10:11], vcc
	s_cbranch_execz .LBB58_55
; %bb.153:                              ;   in Loop: Header=BB58_59 Depth=1
	v_cmp_lt_u32_e32 vcc, s24, v7
	s_mov_b64 s[16:17], 0
                                        ; implicit-def: $vgpr7
	s_and_saveexec_b64 s[18:19], vcc
	s_xor_b64 s[18:19], exec, s[18:19]
	s_cbranch_execnz .LBB58_186
; %bb.154:                              ;   in Loop: Header=BB58_59 Depth=1
	s_or_saveexec_b64 s[18:19], s[18:19]
                                        ; implicit-def: $sgpr29
	s_xor_b64 exec, exec, s[18:19]
	s_cbranch_execnz .LBB58_187
.LBB58_155:                             ;   in Loop: Header=BB58_59 Depth=1
	s_or_b64 exec, exec, s[18:19]
	v_mov_b32_e32 v4, s29
	s_and_saveexec_b64 s[18:19], s[16:17]
	s_cbranch_execz .LBB58_54
	s_branch .LBB58_188
.LBB58_156:                             ;   in Loop: Header=BB58_59 Depth=1
	v_bfe_u32 v6, v10, 20, 1
	v_add3_u32 v6, v10, v6, s25
	s_mov_b64 s[6:7], exec
	v_lshrrev_b32_e32 v11, 20, v6
	s_or_saveexec_b64 s[8:9], s[8:9]
                                        ; implicit-def: $sgpr10
	s_xor_b64 exec, exec, s[8:9]
	s_cbranch_execz .LBB58_62
.LBB58_157:                             ;   in Loop: Header=BB58_59 Depth=1
	v_add_f32_e64 v6, |v10|, s26
	v_and_b32_e32 v11, 0xff, v6
	v_cmp_ne_u32_e32 vcc, 0, v11
	s_andn2_b64 s[6:7], s[6:7], exec
	s_and_b64 s[16:17], vcc, exec
	s_mov_b32 s10, 0
	s_or_b64 s[6:7], s[6:7], s[16:17]
	s_or_b64 exec, exec, s[8:9]
	v_mov_b32_e32 v6, s10
	s_and_saveexec_b64 s[8:9], s[6:7]
	s_cbranch_execnz .LBB58_63
	s_branch .LBB58_64
.LBB58_158:                             ;   in Loop: Header=BB58_59 Depth=1
	v_bfe_u32 v7, v2, 20, 1
	v_add3_u32 v7, v2, v7, s25
	s_mov_b64 s[6:7], exec
	v_lshrrev_b32_e32 v7, 20, v7
	s_or_saveexec_b64 s[8:9], s[8:9]
                                        ; implicit-def: $sgpr10
	s_xor_b64 exec, exec, s[8:9]
	s_cbranch_execz .LBB58_68
.LBB58_159:                             ;   in Loop: Header=BB58_59 Depth=1
	v_add_f32_e64 v7, |v2|, s26
	v_and_b32_e32 v7, 0xff, v7
	v_cmp_ne_u32_e32 vcc, 0, v7
	s_andn2_b64 s[6:7], s[6:7], exec
	s_and_b64 s[16:17], vcc, exec
	s_mov_b32 s10, 0
	s_or_b64 s[6:7], s[6:7], s[16:17]
	s_or_b64 exec, exec, s[8:9]
	v_mov_b32_e32 v8, s10
	s_and_saveexec_b64 s[8:9], s[6:7]
	s_cbranch_execnz .LBB58_69
	s_branch .LBB58_70
.LBB58_160:                             ;   in Loop: Header=BB58_59 Depth=1
	v_bfe_u32 v4, v7, 20, 1
	v_add3_u32 v4, v7, v4, s25
	s_mov_b64 s[6:7], exec
	v_lshrrev_b32_e32 v10, 20, v4
	s_or_saveexec_b64 s[8:9], s[8:9]
                                        ; implicit-def: $sgpr10
	s_xor_b64 exec, exec, s[8:9]
	s_cbranch_execz .LBB58_74
.LBB58_161:                             ;   in Loop: Header=BB58_59 Depth=1
	v_add_f32_e64 v4, |v7|, s26
	v_and_b32_e32 v10, 0xff, v4
	v_cmp_ne_u32_e32 vcc, 0, v10
	s_andn2_b64 s[6:7], s[6:7], exec
	s_and_b64 s[16:17], vcc, exec
	s_mov_b32 s10, 0
	s_or_b64 s[6:7], s[6:7], s[16:17]
	s_or_b64 exec, exec, s[8:9]
	v_mov_b32_e32 v4, s10
	s_and_saveexec_b64 s[8:9], s[6:7]
	s_cbranch_execnz .LBB58_75
	s_branch .LBB58_76
.LBB58_162:                             ;   in Loop: Header=BB58_59 Depth=1
	v_bfe_u32 v2, v3, 20, 1
	v_add3_u32 v2, v3, v2, s25
	s_mov_b64 s[6:7], exec
	v_lshrrev_b32_e32 v5, 20, v2
	s_or_saveexec_b64 s[8:9], s[8:9]
                                        ; implicit-def: $sgpr10
	s_xor_b64 exec, exec, s[8:9]
	s_cbranch_execz .LBB58_80
.LBB58_163:                             ;   in Loop: Header=BB58_59 Depth=1
	v_add_f32_e64 v2, |v3|, s26
	v_and_b32_e32 v5, 0xff, v2
	v_cmp_ne_u32_e32 vcc, 0, v5
	s_andn2_b64 s[6:7], s[6:7], exec
	s_and_b64 s[16:17], vcc, exec
	s_mov_b32 s10, 0
	s_or_b64 s[6:7], s[6:7], s[16:17]
	s_or_b64 exec, exec, s[8:9]
	v_mov_b32_e32 v2, s10
	s_and_saveexec_b64 s[8:9], s[6:7]
	s_cbranch_execnz .LBB58_81
	s_branch .LBB58_82
.LBB58_164:                             ;   in Loop: Header=BB58_59 Depth=1
	v_bfe_u32 v8, v15, 20, 1
	v_add3_u32 v8, v15, v8, s25
	s_mov_b64 s[8:9], exec
	v_lshrrev_b32_e32 v16, 20, v8
	s_or_saveexec_b64 s[10:11], s[10:11]
                                        ; implicit-def: $sgpr16
	s_xor_b64 exec, exec, s[10:11]
	s_cbranch_execz .LBB58_87
.LBB58_165:                             ;   in Loop: Header=BB58_59 Depth=1
	v_add_f32_e64 v8, |v15|, s26
	v_and_b32_e32 v16, 0xff, v8
	v_cmp_ne_u32_e32 vcc, 0, v16
	s_andn2_b64 s[8:9], s[8:9], exec
	s_and_b64 s[18:19], vcc, exec
	s_mov_b32 s16, 0
	s_or_b64 s[8:9], s[8:9], s[18:19]
	s_or_b64 exec, exec, s[10:11]
	v_mov_b32_e32 v8, s16
	s_and_saveexec_b64 s[10:11], s[8:9]
	s_cbranch_execnz .LBB58_88
	s_branch .LBB58_89
.LBB58_166:                             ;   in Loop: Header=BB58_59 Depth=1
	v_bfe_u32 v9, v4, 20, 1
	v_add3_u32 v9, v4, v9, s25
	s_mov_b64 s[8:9], exec
	v_lshrrev_b32_e32 v9, 20, v9
	s_or_saveexec_b64 s[10:11], s[10:11]
                                        ; implicit-def: $sgpr16
	s_xor_b64 exec, exec, s[10:11]
	s_cbranch_execz .LBB58_93
.LBB58_167:                             ;   in Loop: Header=BB58_59 Depth=1
	v_add_f32_e64 v9, |v4|, s26
	v_and_b32_e32 v9, 0xff, v9
	v_cmp_ne_u32_e32 vcc, 0, v9
	s_andn2_b64 s[8:9], s[8:9], exec
	s_and_b64 s[18:19], vcc, exec
	s_mov_b32 s16, 0
	s_or_b64 s[8:9], s[8:9], s[18:19]
	s_or_b64 exec, exec, s[10:11]
	v_mov_b32_e32 v10, s16
	s_and_saveexec_b64 s[10:11], s[8:9]
	s_cbranch_execnz .LBB58_94
	s_branch .LBB58_95
.LBB58_168:                             ;   in Loop: Header=BB58_59 Depth=1
	v_bfe_u32 v6, v9, 20, 1
	v_add3_u32 v6, v9, v6, s25
	s_mov_b64 s[8:9], exec
	v_lshrrev_b32_e32 v15, 20, v6
	s_or_saveexec_b64 s[10:11], s[10:11]
                                        ; implicit-def: $sgpr16
	s_xor_b64 exec, exec, s[10:11]
	s_cbranch_execz .LBB58_99
.LBB58_169:                             ;   in Loop: Header=BB58_59 Depth=1
	v_add_f32_e64 v6, |v9|, s26
	v_and_b32_e32 v15, 0xff, v6
	v_cmp_ne_u32_e32 vcc, 0, v15
	s_andn2_b64 s[8:9], s[8:9], exec
	s_and_b64 s[18:19], vcc, exec
	s_mov_b32 s16, 0
	s_or_b64 s[8:9], s[8:9], s[18:19]
	s_or_b64 exec, exec, s[10:11]
	v_mov_b32_e32 v6, s16
	s_and_saveexec_b64 s[10:11], s[8:9]
	s_cbranch_execnz .LBB58_100
	s_branch .LBB58_101
.LBB58_170:                             ;   in Loop: Header=BB58_59 Depth=1
	v_bfe_u32 v4, v5, 20, 1
	v_add3_u32 v4, v5, v4, s25
	s_mov_b64 s[8:9], exec
	v_lshrrev_b32_e32 v7, 20, v4
	s_or_saveexec_b64 s[10:11], s[10:11]
                                        ; implicit-def: $sgpr16
	s_xor_b64 exec, exec, s[10:11]
	s_cbranch_execz .LBB58_105
.LBB58_171:                             ;   in Loop: Header=BB58_59 Depth=1
	v_add_f32_e64 v4, |v5|, s26
	v_and_b32_e32 v7, 0xff, v4
	v_cmp_ne_u32_e32 vcc, 0, v7
	s_andn2_b64 s[8:9], s[8:9], exec
	s_and_b64 s[18:19], vcc, exec
	s_mov_b32 s16, 0
	s_or_b64 s[8:9], s[8:9], s[18:19]
	s_or_b64 exec, exec, s[10:11]
	v_mov_b32_e32 v4, s16
	s_and_saveexec_b64 s[10:11], s[8:9]
	s_cbranch_execnz .LBB58_106
	s_branch .LBB58_107
.LBB58_172:                             ;   in Loop: Header=BB58_59 Depth=1
	v_bfe_u32 v10, v16, 20, 1
	v_add3_u32 v10, v16, v10, s25
	s_mov_b64 s[10:11], exec
	v_lshrrev_b32_e32 v17, 20, v10
	s_or_saveexec_b64 s[16:17], s[16:17]
                                        ; implicit-def: $sgpr18
	s_xor_b64 exec, exec, s[16:17]
	s_cbranch_execz .LBB58_112
.LBB58_173:                             ;   in Loop: Header=BB58_59 Depth=1
	v_add_f32_e64 v10, |v16|, s26
	v_and_b32_e32 v17, 0xff, v10
	v_cmp_ne_u32_e32 vcc, 0, v17
	s_andn2_b64 s[10:11], s[10:11], exec
	s_and_b64 s[30:31], vcc, exec
	s_mov_b32 s18, 0
	s_or_b64 s[10:11], s[10:11], s[30:31]
	s_or_b64 exec, exec, s[16:17]
	v_mov_b32_e32 v10, s18
	s_and_saveexec_b64 s[16:17], s[10:11]
	s_cbranch_execnz .LBB58_113
	s_branch .LBB58_114
.LBB58_174:                             ;   in Loop: Header=BB58_59 Depth=1
	v_bfe_u32 v3, v6, 20, 1
	v_add3_u32 v3, v6, v3, s25
	s_mov_b64 s[10:11], exec
	v_lshrrev_b32_e32 v11, 20, v3
	s_or_saveexec_b64 s[16:17], s[16:17]
                                        ; implicit-def: $sgpr18
	s_xor_b64 exec, exec, s[16:17]
	s_cbranch_execz .LBB58_118
.LBB58_175:                             ;   in Loop: Header=BB58_59 Depth=1
	v_add_f32_e64 v3, |v6|, s26
	v_and_b32_e32 v11, 0xff, v3
	v_cmp_ne_u32_e32 vcc, 0, v11
	s_andn2_b64 s[10:11], s[10:11], exec
	s_and_b64 s[30:31], vcc, exec
	s_mov_b32 s18, 0
	s_or_b64 s[10:11], s[10:11], s[30:31]
	s_or_b64 exec, exec, s[16:17]
	v_mov_b32_e32 v3, s18
	s_and_saveexec_b64 s[16:17], s[10:11]
	s_cbranch_execnz .LBB58_119
	s_branch .LBB58_120
.LBB58_176:                             ;   in Loop: Header=BB58_59 Depth=1
	v_bfe_u32 v8, v11, 20, 1
	v_add3_u32 v8, v11, v8, s25
	s_mov_b64 s[10:11], exec
	v_lshrrev_b32_e32 v16, 20, v8
	s_or_saveexec_b64 s[16:17], s[16:17]
                                        ; implicit-def: $sgpr18
	s_xor_b64 exec, exec, s[16:17]
	s_cbranch_execz .LBB58_124
.LBB58_177:                             ;   in Loop: Header=BB58_59 Depth=1
	v_add_f32_e64 v8, |v11|, s26
	v_and_b32_e32 v16, 0xff, v8
	v_cmp_ne_u32_e32 vcc, 0, v16
	s_andn2_b64 s[10:11], s[10:11], exec
	s_and_b64 s[30:31], vcc, exec
	s_mov_b32 s18, 0
	s_or_b64 s[10:11], s[10:11], s[30:31]
	s_or_b64 exec, exec, s[16:17]
	v_mov_b32_e32 v8, s18
	s_and_saveexec_b64 s[16:17], s[10:11]
	s_cbranch_execnz .LBB58_125
	s_branch .LBB58_126
.LBB58_178:                             ;   in Loop: Header=BB58_59 Depth=1
	v_bfe_u32 v6, v7, 20, 1
	v_add3_u32 v6, v7, v6, s25
	s_mov_b64 s[10:11], exec
	v_lshrrev_b32_e32 v9, 20, v6
	s_or_saveexec_b64 s[16:17], s[16:17]
                                        ; implicit-def: $sgpr18
	s_xor_b64 exec, exec, s[16:17]
	s_cbranch_execz .LBB58_130
.LBB58_179:                             ;   in Loop: Header=BB58_59 Depth=1
	v_add_f32_e64 v6, |v7|, s26
	v_and_b32_e32 v9, 0xff, v6
	v_cmp_ne_u32_e32 vcc, 0, v9
	s_andn2_b64 s[10:11], s[10:11], exec
	s_and_b64 s[30:31], vcc, exec
	s_mov_b32 s18, 0
	s_or_b64 s[10:11], s[10:11], s[30:31]
	s_or_b64 exec, exec, s[16:17]
	v_mov_b32_e32 v6, s18
	s_and_saveexec_b64 s[16:17], s[10:11]
	s_cbranch_execnz .LBB58_131
	s_branch .LBB58_132
.LBB58_180:                             ;   in Loop: Header=BB58_59 Depth=1
	v_bfe_u32 v8, v11, 20, 1
	v_add3_u32 v8, v11, v8, s25
	s_mov_b64 s[16:17], exec
	v_lshrrev_b32_e32 v15, 20, v8
	s_or_saveexec_b64 s[18:19], s[18:19]
                                        ; implicit-def: $sgpr29
	s_xor_b64 exec, exec, s[18:19]
	s_cbranch_execz .LBB58_137
.LBB58_181:                             ;   in Loop: Header=BB58_59 Depth=1
	v_add_f32_e64 v8, |v11|, s26
	v_and_b32_e32 v15, 0xff, v8
	v_cmp_ne_u32_e32 vcc, 0, v15
	s_andn2_b64 s[16:17], s[16:17], exec
	s_and_b64 s[30:31], vcc, exec
	s_mov_b32 s29, 0
	s_or_b64 s[16:17], s[16:17], s[30:31]
	s_or_b64 exec, exec, s[18:19]
	v_mov_b32_e32 v8, s29
	s_and_saveexec_b64 s[18:19], s[16:17]
	s_cbranch_execnz .LBB58_138
	s_branch .LBB58_139
.LBB58_182:                             ;   in Loop: Header=BB58_59 Depth=1
	v_bfe_u32 v3, v4, 20, 1
	v_add3_u32 v3, v4, v3, s25
	s_mov_b64 s[16:17], exec
	v_lshrrev_b32_e32 v9, 20, v3
	s_or_saveexec_b64 s[18:19], s[18:19]
                                        ; implicit-def: $sgpr29
	s_xor_b64 exec, exec, s[18:19]
	s_cbranch_execz .LBB58_143
.LBB58_183:                             ;   in Loop: Header=BB58_59 Depth=1
	v_add_f32_e64 v3, |v4|, s26
	v_and_b32_e32 v9, 0xff, v3
	v_cmp_ne_u32_e32 vcc, 0, v9
	s_andn2_b64 s[16:17], s[16:17], exec
	s_and_b64 s[30:31], vcc, exec
	s_mov_b32 s29, 0
	s_or_b64 s[16:17], s[16:17], s[30:31]
	s_or_b64 exec, exec, s[18:19]
	v_mov_b32_e32 v3, s29
	s_and_saveexec_b64 s[18:19], s[16:17]
	s_cbranch_execnz .LBB58_144
	s_branch .LBB58_145
.LBB58_184:                             ;   in Loop: Header=BB58_59 Depth=1
	v_bfe_u32 v6, v9, 20, 1
	v_add3_u32 v6, v9, v6, s25
	s_mov_b64 s[16:17], exec
	v_lshrrev_b32_e32 v11, 20, v6
	s_or_saveexec_b64 s[18:19], s[18:19]
                                        ; implicit-def: $sgpr29
	s_xor_b64 exec, exec, s[18:19]
	s_cbranch_execz .LBB58_149
.LBB58_185:                             ;   in Loop: Header=BB58_59 Depth=1
	v_add_f32_e64 v6, |v9|, s26
	v_and_b32_e32 v11, 0xff, v6
	v_cmp_ne_u32_e32 vcc, 0, v11
	s_andn2_b64 s[16:17], s[16:17], exec
	s_and_b64 s[30:31], vcc, exec
	s_mov_b32 s29, 0
	s_or_b64 s[16:17], s[16:17], s[30:31]
	s_or_b64 exec, exec, s[18:19]
	v_mov_b32_e32 v6, s29
	s_and_saveexec_b64 s[18:19], s[16:17]
	s_cbranch_execnz .LBB58_150
	s_branch .LBB58_151
.LBB58_186:                             ;   in Loop: Header=BB58_59 Depth=1
	v_bfe_u32 v4, v5, 20, 1
	v_add3_u32 v4, v5, v4, s25
	s_mov_b64 s[16:17], exec
	v_lshrrev_b32_e32 v7, 20, v4
	s_or_saveexec_b64 s[18:19], s[18:19]
                                        ; implicit-def: $sgpr29
	s_xor_b64 exec, exec, s[18:19]
	s_cbranch_execz .LBB58_155
.LBB58_187:                             ;   in Loop: Header=BB58_59 Depth=1
	v_add_f32_e64 v4, |v5|, s26
	v_and_b32_e32 v7, 0xff, v4
	v_cmp_ne_u32_e32 vcc, 0, v7
	s_andn2_b64 s[16:17], s[16:17], exec
	s_and_b64 s[30:31], vcc, exec
	s_mov_b32 s29, 0
	s_or_b64 s[16:17], s[16:17], s[30:31]
	s_or_b64 exec, exec, s[18:19]
	v_mov_b32_e32 v4, s29
	s_and_saveexec_b64 s[18:19], s[16:17]
	s_cbranch_execz .LBB58_54
.LBB58_188:                             ;   in Loop: Header=BB58_59 Depth=1
	v_lshrrev_b32_e32 v4, 24, v5
	v_and_or_b32 v4, v4, s27, v7
	s_branch .LBB58_54
.LBB58_189:
	s_endpgm
	.section	.rodata,"a",@progbits
	.p2align	6, 0x0
	.amdhsa_kernel _ZN4vllm31rms_norm_per_block_quant_kernelIN3c104HalfENS1_15Float8_e4m3fnuzELb1ELb0ELi64EEEvPT0_PfPKT_S9_PKffiiPS7_l
		.amdhsa_group_segment_fixed_size 4164
		.amdhsa_private_segment_fixed_size 0
		.amdhsa_kernarg_size 328
		.amdhsa_user_sgpr_count 6
		.amdhsa_user_sgpr_private_segment_buffer 1
		.amdhsa_user_sgpr_dispatch_ptr 0
		.amdhsa_user_sgpr_queue_ptr 0
		.amdhsa_user_sgpr_kernarg_segment_ptr 1
		.amdhsa_user_sgpr_dispatch_id 0
		.amdhsa_user_sgpr_flat_scratch_init 0
		.amdhsa_user_sgpr_kernarg_preload_length 0
		.amdhsa_user_sgpr_kernarg_preload_offset 0
		.amdhsa_user_sgpr_private_segment_size 0
		.amdhsa_uses_dynamic_stack 0
		.amdhsa_system_sgpr_private_segment_wavefront_offset 0
		.amdhsa_system_sgpr_workgroup_id_x 1
		.amdhsa_system_sgpr_workgroup_id_y 0
		.amdhsa_system_sgpr_workgroup_id_z 0
		.amdhsa_system_sgpr_workgroup_info 0
		.amdhsa_system_vgpr_workitem_id 0
		.amdhsa_next_free_vgpr 40
		.amdhsa_next_free_sgpr 48
		.amdhsa_accum_offset 40
		.amdhsa_reserve_vcc 1
		.amdhsa_reserve_flat_scratch 0
		.amdhsa_float_round_mode_32 0
		.amdhsa_float_round_mode_16_64 0
		.amdhsa_float_denorm_mode_32 3
		.amdhsa_float_denorm_mode_16_64 3
		.amdhsa_dx10_clamp 1
		.amdhsa_ieee_mode 1
		.amdhsa_fp16_overflow 0
		.amdhsa_tg_split 0
		.amdhsa_exception_fp_ieee_invalid_op 0
		.amdhsa_exception_fp_denorm_src 0
		.amdhsa_exception_fp_ieee_div_zero 0
		.amdhsa_exception_fp_ieee_overflow 0
		.amdhsa_exception_fp_ieee_underflow 0
		.amdhsa_exception_fp_ieee_inexact 0
		.amdhsa_exception_int_div_zero 0
	.end_amdhsa_kernel
	.section	.text._ZN4vllm31rms_norm_per_block_quant_kernelIN3c104HalfENS1_15Float8_e4m3fnuzELb1ELb0ELi64EEEvPT0_PfPKT_S9_PKffiiPS7_l,"axG",@progbits,_ZN4vllm31rms_norm_per_block_quant_kernelIN3c104HalfENS1_15Float8_e4m3fnuzELb1ELb0ELi64EEEvPT0_PfPKT_S9_PKffiiPS7_l,comdat
.Lfunc_end58:
	.size	_ZN4vllm31rms_norm_per_block_quant_kernelIN3c104HalfENS1_15Float8_e4m3fnuzELb1ELb0ELi64EEEvPT0_PfPKT_S9_PKffiiPS7_l, .Lfunc_end58-_ZN4vllm31rms_norm_per_block_quant_kernelIN3c104HalfENS1_15Float8_e4m3fnuzELb1ELb0ELi64EEEvPT0_PfPKT_S9_PKffiiPS7_l
                                        ; -- End function
	.section	.AMDGPU.csdata,"",@progbits
; Kernel info:
; codeLenInByte = 10620
; NumSgprs: 52
; NumVgprs: 40
; NumAgprs: 0
; TotalNumVgprs: 40
; ScratchSize: 0
; MemoryBound: 0
; FloatMode: 240
; IeeeMode: 1
; LDSByteSize: 4164 bytes/workgroup (compile time only)
; SGPRBlocks: 6
; VGPRBlocks: 4
; NumSGPRsForWavesPerEU: 52
; NumVGPRsForWavesPerEU: 40
; AccumOffset: 40
; Occupancy: 8
; WaveLimiterHint : 0
; COMPUTE_PGM_RSRC2:SCRATCH_EN: 0
; COMPUTE_PGM_RSRC2:USER_SGPR: 6
; COMPUTE_PGM_RSRC2:TRAP_HANDLER: 0
; COMPUTE_PGM_RSRC2:TGID_X_EN: 1
; COMPUTE_PGM_RSRC2:TGID_Y_EN: 0
; COMPUTE_PGM_RSRC2:TGID_Z_EN: 0
; COMPUTE_PGM_RSRC2:TIDIG_COMP_CNT: 0
; COMPUTE_PGM_RSRC3_GFX90A:ACCUM_OFFSET: 9
; COMPUTE_PGM_RSRC3_GFX90A:TG_SPLIT: 0
	.section	.text._ZN4vllm31rms_norm_per_block_quant_kernelIN3c104HalfEaLb1ELb0ELi64EEEvPT0_PfPKT_S8_PKffiiPS6_l,"axG",@progbits,_ZN4vllm31rms_norm_per_block_quant_kernelIN3c104HalfEaLb1ELb0ELi64EEEvPT0_PfPKT_S8_PKffiiPS6_l,comdat
	.protected	_ZN4vllm31rms_norm_per_block_quant_kernelIN3c104HalfEaLb1ELb0ELi64EEEvPT0_PfPKT_S8_PKffiiPS6_l ; -- Begin function _ZN4vllm31rms_norm_per_block_quant_kernelIN3c104HalfEaLb1ELb0ELi64EEEvPT0_PfPKT_S8_PKffiiPS6_l
	.globl	_ZN4vllm31rms_norm_per_block_quant_kernelIN3c104HalfEaLb1ELb0ELi64EEEvPT0_PfPKT_S8_PKffiiPS6_l
	.p2align	8
	.type	_ZN4vllm31rms_norm_per_block_quant_kernelIN3c104HalfEaLb1ELb0ELi64EEEvPT0_PfPKT_S8_PKffiiPS6_l,@function
_ZN4vllm31rms_norm_per_block_quant_kernelIN3c104HalfEaLb1ELb0ELi64EEEvPT0_PfPKT_S8_PKffiiPS6_l: ; @_ZN4vllm31rms_norm_per_block_quant_kernelIN3c104HalfEaLb1ELb0ELi64EEEvPT0_PfPKT_S8_PKffiiPS6_l
; %bb.0:
	s_load_dwordx4 s[16:19], s[4:5], 0x28
	s_load_dwordx8 s[8:15], s[4:5], 0x0
	s_load_dwordx2 s[0:1], s[4:5], 0x38
	v_mov_b32_e32 v1, 0
	s_waitcnt lgkmcnt(0)
	s_ashr_i32 s2, s18, 31
	s_mul_hi_u32 s3, s18, s6
	s_mul_i32 s2, s2, s6
	s_ashr_i32 s21, s17, 31
	s_add_i32 s3, s3, s2
	s_mul_i32 s2, s18, s6
	s_mul_hi_u32 s7, s17, s6
	s_mul_i32 s18, s21, s6
	s_add_i32 s19, s7, s18
	s_lshl_b64 s[2:3], s[2:3], 1
	s_mul_i32 s18, s17, s6
	s_add_u32 s33, s12, s2
	s_addc_u32 s44, s13, s3
	s_lshl_b64 s[2:3], s[18:19], 1
	s_add_u32 s45, s0, s2
	s_addc_u32 s46, s1, s3
	s_ashr_i32 s12, s17, 2
	s_add_u32 s2, s4, 0x48
	s_mov_b32 s20, s17
	v_cmp_gt_u32_e64 s[0:1], s12, v0
	s_addc_u32 s3, s5, 0
	s_and_saveexec_b64 s[22:23], s[0:1]
	s_cbranch_execz .LBB59_10
; %bb.1:
	s_load_dword s7, s[2:3], 0x0
	v_mov_b32_e32 v3, 0
	v_mov_b32_e32 v9, s44
	;; [unrolled: 1-line block ×4, first 2 shown]
	s_waitcnt lgkmcnt(0)
	s_cmp_lt_u32 s6, s7
	s_cselect_b32 s7, 12, 18
	s_add_u32 s24, s2, s7
	s_addc_u32 s25, s3, 0
	global_load_ushort v8, v3, s[24:25]
	s_mov_b64 s[24:25], 0
	v_mov_b32_e32 v1, v3
                                        ; implicit-def: $sgpr26_sgpr27
	s_waitcnt vmcnt(0)
	v_mul_lo_u32 v11, v8, 3
	v_lshlrev_b32_e32 v12, 1, v8
	s_branch .LBB59_5
.LBB59_2:                               ;   in Loop: Header=BB59_5 Depth=1
	s_or_b64 exec, exec, s[34:35]
	s_orn2_b64 s[34:35], s[36:37], exec
.LBB59_3:                               ;   in Loop: Header=BB59_5 Depth=1
	s_or_b64 exec, exec, s[30:31]
	s_andn2_b64 s[26:27], s[26:27], exec
	s_and_b64 s[30:31], s[34:35], exec
	s_or_b64 s[26:27], s[26:27], s[30:31]
.LBB59_4:                               ;   in Loop: Header=BB59_5 Depth=1
	s_or_b64 exec, exec, s[28:29]
	s_and_b64 s[28:29], exec, s[26:27]
	s_or_b64 s[24:25], s[28:29], s[24:25]
	s_andn2_b64 exec, exec, s[24:25]
	s_cbranch_execz .LBB59_9
.LBB59_5:                               ; =>This Inner Loop Header: Depth=1
	v_lshlrev_b64 v[4:5], 3, v[2:3]
	v_add_co_u32_e32 v6, vcc, s33, v4
	v_addc_co_u32_e32 v7, vcc, v9, v5, vcc
	v_add_co_u32_e32 v4, vcc, s45, v4
	v_addc_co_u32_e32 v5, vcc, v10, v5, vcc
	global_load_dwordx2 v[6:7], v[6:7], off
	s_or_b64 s[26:27], s[26:27], exec
	global_load_dwordx2 v[4:5], v[4:5], off
	s_waitcnt vmcnt(1)
	v_cvt_f32_f16_e32 v14, v6
	v_cvt_f32_f16_sdwa v15, v6 dst_sel:DWORD dst_unused:UNUSED_PAD src0_sel:WORD_1
	s_waitcnt vmcnt(0)
	v_cvt_f32_f16_e32 v16, v4
	v_cvt_f32_f16_sdwa v17, v4 dst_sel:DWORD dst_unused:UNUSED_PAD src0_sel:WORD_1
	v_cvt_f32_f16_e32 v6, v7
	v_cvt_f32_f16_sdwa v7, v7 dst_sel:DWORD dst_unused:UNUSED_PAD src0_sel:WORD_1
	;; [unrolled: 2-line block ×3, first 2 shown]
	v_pk_add_f32 v[14:15], v[14:15], v[16:17]
	v_pk_mul_f32 v[14:15], v[14:15], v[14:15]
	v_add_f32_e32 v1, v1, v14
	v_pk_add_f32 v[6:7], v[6:7], v[18:19]
	v_pk_mul_f32 v[6:7], v[6:7], v[6:7]
	v_add_f32_e32 v1, v1, v15
	v_add_u32_e32 v4, v2, v8
	v_add_f32_e32 v1, v1, v6
	v_cmp_gt_u32_e32 vcc, s12, v4
	v_add_f32_e32 v1, v1, v7
	s_and_saveexec_b64 s[28:29], vcc
	s_cbranch_execz .LBB59_4
; %bb.6:                                ;   in Loop: Header=BB59_5 Depth=1
	v_mov_b32_e32 v5, v3
	v_lshlrev_b64 v[6:7], 3, v[4:5]
	v_add_co_u32_e32 v14, vcc, s33, v6
	v_addc_co_u32_e32 v15, vcc, v9, v7, vcc
	v_add_co_u32_e32 v6, vcc, s45, v6
	v_addc_co_u32_e32 v7, vcc, v10, v7, vcc
	global_load_dwordx2 v[14:15], v[14:15], off
	s_mov_b64 s[34:35], -1
	global_load_dwordx2 v[6:7], v[6:7], off
	s_waitcnt vmcnt(1)
	v_cvt_f32_f16_e32 v16, v14
	v_cvt_f32_f16_sdwa v17, v14 dst_sel:DWORD dst_unused:UNUSED_PAD src0_sel:WORD_1
	s_waitcnt vmcnt(0)
	v_cvt_f32_f16_e32 v18, v6
	v_cvt_f32_f16_sdwa v19, v6 dst_sel:DWORD dst_unused:UNUSED_PAD src0_sel:WORD_1
	v_cvt_f32_f16_e32 v14, v15
	v_cvt_f32_f16_sdwa v15, v15 dst_sel:DWORD dst_unused:UNUSED_PAD src0_sel:WORD_1
	v_cvt_f32_f16_e32 v20, v7
	v_cvt_f32_f16_sdwa v21, v7 dst_sel:DWORD dst_unused:UNUSED_PAD src0_sel:WORD_1
	v_pk_add_f32 v[16:17], v[16:17], v[18:19]
	v_pk_mul_f32 v[16:17], v[16:17], v[16:17]
	v_add_f32_e32 v1, v1, v16
	v_pk_add_f32 v[14:15], v[14:15], v[20:21]
	v_pk_mul_f32 v[14:15], v[14:15], v[14:15]
	v_add_f32_e32 v1, v1, v17
	v_add_u32_e32 v6, v12, v2
	v_add_f32_e32 v1, v1, v14
	v_cmp_gt_u32_e32 vcc, s12, v6
	v_add_f32_e32 v1, v1, v15
	s_and_saveexec_b64 s[30:31], vcc
	s_cbranch_execz .LBB59_3
; %bb.7:                                ;   in Loop: Header=BB59_5 Depth=1
	v_mov_b32_e32 v7, v3
	v_lshlrev_b64 v[6:7], 3, v[6:7]
	v_mov_b32_e32 v5, s44
	v_add_co_u32_e32 v14, vcc, s33, v6
	v_addc_co_u32_e32 v15, vcc, v5, v7, vcc
	v_mov_b32_e32 v5, s46
	v_add_co_u32_e32 v6, vcc, s45, v6
	v_addc_co_u32_e32 v7, vcc, v5, v7, vcc
	global_load_dwordx2 v[14:15], v[14:15], off
	v_add_u32_e32 v2, v11, v2
	global_load_dwordx2 v[6:7], v[6:7], off
	v_cmp_gt_u32_e32 vcc, s12, v2
	s_mov_b64 s[36:37], -1
	s_waitcnt vmcnt(1)
	v_cvt_f32_f16_e32 v16, v14
	v_cvt_f32_f16_sdwa v17, v14 dst_sel:DWORD dst_unused:UNUSED_PAD src0_sel:WORD_1
	s_waitcnt vmcnt(0)
	v_cvt_f32_f16_e32 v18, v6
	v_cvt_f32_f16_sdwa v19, v6 dst_sel:DWORD dst_unused:UNUSED_PAD src0_sel:WORD_1
	v_cvt_f32_f16_e32 v14, v15
	v_cvt_f32_f16_sdwa v15, v15 dst_sel:DWORD dst_unused:UNUSED_PAD src0_sel:WORD_1
	;; [unrolled: 2-line block ×3, first 2 shown]
	v_pk_add_f32 v[16:17], v[16:17], v[18:19]
	v_pk_add_f32 v[6:7], v[14:15], v[6:7]
	v_pk_mul_f32 v[14:15], v[16:17], v[16:17]
	v_add_f32_e32 v1, v1, v14
	v_pk_mul_f32 v[6:7], v[6:7], v[6:7]
	v_add_f32_e32 v1, v1, v15
	v_add_f32_e32 v1, v1, v6
	;; [unrolled: 1-line block ×3, first 2 shown]
	s_and_saveexec_b64 s[34:35], vcc
	s_xor_b64 s[34:35], exec, s[34:35]
	s_cbranch_execz .LBB59_2
; %bb.8:                                ;   in Loop: Header=BB59_5 Depth=1
	v_lshlrev_b64 v[6:7], 3, v[2:3]
	v_mov_b32_e32 v2, s44
	v_add_co_u32_e32 v14, vcc, s33, v6
	v_addc_co_u32_e32 v15, vcc, v2, v7, vcc
	v_mov_b32_e32 v2, s46
	v_add_co_u32_e32 v6, vcc, s45, v6
	v_addc_co_u32_e32 v7, vcc, v2, v7, vcc
	global_load_dwordx2 v[14:15], v[14:15], off
	v_add_u32_e32 v2, v8, v8
	global_load_dwordx2 v[6:7], v[6:7], off
	v_add_u32_e32 v2, v2, v8
	v_add_u32_e32 v2, v2, v4
	v_cmp_le_u32_e32 vcc, s12, v2
	s_orn2_b64 s[36:37], vcc, exec
	s_waitcnt vmcnt(1)
	v_cvt_f32_f16_e32 v16, v14
	v_cvt_f32_f16_sdwa v17, v14 dst_sel:DWORD dst_unused:UNUSED_PAD src0_sel:WORD_1
	s_waitcnt vmcnt(0)
	v_cvt_f32_f16_e32 v18, v6
	v_cvt_f32_f16_sdwa v19, v6 dst_sel:DWORD dst_unused:UNUSED_PAD src0_sel:WORD_1
	v_cvt_f32_f16_e32 v14, v15
	v_cvt_f32_f16_sdwa v15, v15 dst_sel:DWORD dst_unused:UNUSED_PAD src0_sel:WORD_1
	;; [unrolled: 2-line block ×3, first 2 shown]
	v_pk_add_f32 v[4:5], v[16:17], v[18:19]
	v_pk_mul_f32 v[4:5], v[4:5], v[4:5]
	v_add_f32_e32 v1, v1, v4
	v_pk_add_f32 v[6:7], v[14:15], v[6:7]
	v_pk_mul_f32 v[6:7], v[6:7], v[6:7]
	v_add_f32_e32 v1, v1, v5
	v_add_f32_e32 v1, v1, v6
	;; [unrolled: 1-line block ×3, first 2 shown]
	s_branch .LBB59_2
.LBB59_9:
	s_or_b64 exec, exec, s[24:25]
.LBB59_10:
	s_or_b64 exec, exec, s[22:23]
	v_mbcnt_lo_u32_b32 v2, -1, 0
	v_mbcnt_hi_u32_b32 v2, -1, v2
	v_and_b32_e32 v3, 63, v2
	v_cmp_ne_u32_e32 vcc, 63, v3
	s_load_dword s2, s[2:3], 0xc
	v_addc_co_u32_e32 v4, vcc, 0, v2, vcc
	v_lshlrev_b32_e32 v4, 2, v4
	ds_bpermute_b32 v4, v4, v1
	s_waitcnt lgkmcnt(0)
	s_and_b32 s47, s2, 0xffff
	v_and_b32_e32 v5, 0x3c0, v0
	v_sub_u32_e64 v5, s47, v5 clamp
	v_add_u32_e32 v6, 1, v2
	v_add_f32_e32 v4, v1, v4
	v_cmp_lt_u32_e32 vcc, v6, v5
	v_cndmask_b32_e32 v1, v1, v4, vcc
	v_cmp_gt_u32_e32 vcc, 62, v3
	v_cndmask_b32_e64 v4, 0, 1, vcc
	v_lshlrev_b32_e32 v4, 1, v4
	v_add_lshl_u32 v4, v4, v2, 2
	ds_bpermute_b32 v4, v4, v1
	v_add_u32_e32 v6, 2, v2
	v_cmp_lt_u32_e32 vcc, v6, v5
	v_add_u32_e32 v6, 4, v2
	s_waitcnt lgkmcnt(0)
	v_add_f32_e32 v4, v1, v4
	v_cndmask_b32_e32 v1, v1, v4, vcc
	v_cmp_gt_u32_e32 vcc, 60, v3
	v_cndmask_b32_e64 v4, 0, 1, vcc
	v_lshlrev_b32_e32 v4, 2, v4
	v_add_lshl_u32 v4, v4, v2, 2
	ds_bpermute_b32 v4, v4, v1
	v_cmp_lt_u32_e32 vcc, v6, v5
	v_add_u32_e32 v6, 8, v2
	s_waitcnt lgkmcnt(0)
	v_add_f32_e32 v4, v1, v4
	v_cndmask_b32_e32 v1, v1, v4, vcc
	v_cmp_gt_u32_e32 vcc, 56, v3
	v_cndmask_b32_e64 v4, 0, 1, vcc
	v_lshlrev_b32_e32 v4, 3, v4
	v_add_lshl_u32 v4, v4, v2, 2
	ds_bpermute_b32 v4, v4, v1
	;; [unrolled: 10-line block ×3, first 2 shown]
	v_cmp_lt_u32_e32 vcc, v6, v5
	s_waitcnt lgkmcnt(0)
	v_add_f32_e32 v4, v1, v4
	v_cndmask_b32_e32 v1, v1, v4, vcc
	v_cmp_gt_u32_e32 vcc, 32, v3
	v_cndmask_b32_e64 v3, 0, 1, vcc
	v_lshlrev_b32_e32 v3, 5, v3
	v_add_lshl_u32 v3, v3, v2, 2
	ds_bpermute_b32 v3, v3, v1
	v_add_u32_e32 v4, 32, v2
	v_cmp_lt_u32_e32 vcc, v4, v5
	s_waitcnt lgkmcnt(0)
	v_add_f32_e32 v3, v1, v3
	v_cndmask_b32_e32 v1, v1, v3, vcc
	v_cmp_eq_u32_e32 vcc, 0, v2
	s_and_saveexec_b64 s[2:3], vcc
	s_cbranch_execz .LBB59_12
; %bb.11:
	v_lshrrev_b32_e32 v3, 4, v0
	v_and_b32_e32 v3, 60, v3
	ds_write_b32 v3, v1 offset:4096
.LBB59_12:
	s_or_b64 exec, exec, s[2:3]
	v_cmp_gt_u32_e32 vcc, 16, v0
	s_waitcnt lgkmcnt(0)
	s_barrier
	s_and_saveexec_b64 s[22:23], vcc
	s_cbranch_execz .LBB59_14
; %bb.13:
	v_lshlrev_b32_e32 v1, 2, v2
	ds_read_b32 v1, v1 offset:4096
	v_and_b32_e32 v3, 15, v2
	v_cmp_ne_u32_e32 vcc, 15, v3
	v_addc_co_u32_e32 v4, vcc, 0, v2, vcc
	v_lshlrev_b32_e32 v4, 2, v4
	s_waitcnt lgkmcnt(0)
	ds_bpermute_b32 v4, v4, v1
	s_add_i32 s2, s47, 63
	s_lshr_b32 s7, s2, 6
	v_add_u32_e32 v5, 1, v3
	v_cmp_gt_u32_e64 s[2:3], 14, v3
	v_cmp_gt_u32_e32 vcc, s7, v5
	v_cndmask_b32_e64 v5, 0, 1, s[2:3]
	s_waitcnt lgkmcnt(0)
	v_add_f32_e32 v4, v1, v4
	v_lshlrev_b32_e32 v5, 1, v5
	v_cndmask_b32_e32 v4, v1, v4, vcc
	v_add_lshl_u32 v5, v5, v2, 2
	ds_bpermute_b32 v5, v5, v4
	v_add_u32_e32 v6, 2, v3
	v_cmp_gt_u32_e64 s[2:3], s7, v6
	v_add_u32_e32 v6, 4, v3
	s_waitcnt lgkmcnt(0)
	v_add_f32_e32 v5, v4, v5
	v_cndmask_b32_e64 v4, v4, v5, s[2:3]
	v_cmp_gt_u32_e64 s[2:3], 12, v3
	v_cndmask_b32_e64 v5, 0, 1, s[2:3]
	v_lshlrev_b32_e32 v5, 2, v5
	v_add_lshl_u32 v5, v5, v2, 2
	ds_bpermute_b32 v5, v5, v4
	v_cmp_gt_u32_e64 s[2:3], s7, v6
	s_waitcnt lgkmcnt(0)
	v_add_f32_e32 v5, v4, v5
	v_cndmask_b32_e64 v4, v4, v5, s[2:3]
	v_cmp_gt_u32_e64 s[2:3], 8, v3
	v_cndmask_b32_e64 v5, 0, 1, s[2:3]
	v_lshlrev_b32_e32 v5, 3, v5
	v_add_lshl_u32 v2, v5, v2, 2
	ds_bpermute_b32 v2, v2, v4
	v_add_u32_e32 v3, 8, v3
	v_cmp_gt_u32_e64 s[2:3], s7, v3
	s_waitcnt lgkmcnt(0)
	v_add_f32_e32 v2, v4, v2
	v_cndmask_b32_e64 v2, v4, v2, s[2:3]
	v_cndmask_b32_e32 v1, v1, v2, vcc
.LBB59_14:
	s_or_b64 exec, exec, s[22:23]
	v_cmp_eq_u32_e32 vcc, 0, v0
	s_and_saveexec_b64 s[2:3], vcc
	s_cbranch_execz .LBB59_16
; %bb.15:
	v_cvt_f32_i32_e32 v2, s20
	s_mov_b32 s7, 0x800000
	v_div_scale_f32 v3, s[22:23], v2, v2, v1
	v_rcp_f32_e32 v4, v3
	v_div_scale_f32 v5, vcc, v1, v2, v1
	v_fma_f32 v6, -v3, v4, 1.0
	v_fmac_f32_e32 v4, v6, v4
	v_mul_f32_e32 v6, v5, v4
	v_fma_f32 v7, -v3, v6, v5
	v_fmac_f32_e32 v6, v7, v4
	v_fma_f32 v3, -v3, v6, v5
	v_div_fmas_f32 v3, v3, v4, v6
	v_div_fixup_f32 v1, v3, v2, v1
	v_add_f32_e32 v1, s16, v1
	v_mul_f32_e32 v2, 0x4b800000, v1
	v_cmp_gt_f32_e32 vcc, s7, v1
	v_cndmask_b32_e32 v1, v1, v2, vcc
	v_rsq_f32_e32 v1, v1
	v_mul_f32_e32 v2, 0x45800000, v1
	v_cndmask_b32_e32 v1, v1, v2, vcc
	v_mov_b32_e32 v2, 0
	ds_write_b32 v2, v1 offset:4160
.LBB59_16:
	s_or_b64 exec, exec, s[2:3]
	s_ashr_i32 s2, s20, 31
	s_lshr_b32 s2, s2, 26
	s_add_i32 s2, s20, s2
	s_ashr_i32 s16, s2, 6
	s_abs_i32 s3, s16
	v_cvt_f32_u32_e32 v1, s3
	s_sub_i32 s7, 0, s3
	s_ashr_i32 s2, s2, 31
	v_mov_b32_e32 v5, 0
	v_rcp_iflag_f32_e32 v1, v1
	s_waitcnt lgkmcnt(0)
	s_barrier
	v_mul_f32_e32 v1, 0x4f7ffffe, v1
	v_cvt_u32_f32_e32 v1, v1
	ds_read_b32 v36, v5 offset:4160
	v_readfirstlane_b32 s13, v1
	s_mul_i32 s7, s7, s13
	s_mul_hi_u32 s7, s13, s7
	s_add_i32 s13, s13, s7
	s_mul_hi_u32 s7, s47, s13
	s_mul_i32 s13, s7, s3
	s_sub_i32 s13, s47, s13
	s_add_i32 s17, s7, 1
	s_sub_i32 s22, s13, s3
	s_cmp_ge_u32 s13, s3
	s_cselect_b32 s7, s17, s7
	s_cselect_b32 s13, s22, s13
	s_add_i32 s17, s7, 1
	s_cmp_ge_u32 s13, s3
	s_cselect_b32 s3, s17, s7
	s_xor_b32 s3, s3, s2
	s_sub_i32 s2, s3, s2
	s_abs_i32 s7, s2
	v_cvt_f32_u32_e32 v1, s7
	s_sub_i32 s13, 0, s7
	s_ashr_i32 s3, s2, 31
	v_rcp_iflag_f32_e32 v1, v1
	v_mul_f32_e32 v1, 0x4f7ffffe, v1
	v_cvt_u32_f32_e32 v1, v1
	v_mul_lo_u32 v2, s13, v1
	v_mul_hi_u32 v2, v1, v2
	v_add_u32_e32 v1, v1, v2
	v_mul_hi_u32 v1, v0, v1
	v_mul_lo_u32 v2, v1, s7
	v_sub_u32_e32 v2, v0, v2
	v_add_u32_e32 v3, 1, v1
	v_cmp_le_u32_e32 vcc, s7, v2
	v_cndmask_b32_e32 v1, v1, v3, vcc
	v_subrev_u32_e32 v3, s7, v2
	v_cndmask_b32_e32 v2, v2, v3, vcc
	v_add_u32_e32 v3, 1, v1
	v_cmp_le_u32_e32 vcc, s7, v2
	v_cndmask_b32_e32 v1, v1, v3, vcc
	v_xor_b32_e32 v1, s3, v1
	v_subrev_u32_e32 v2, s3, v1
	v_mul_lo_u32 v1, v2, s2
	v_ashrrev_i32_e32 v3, 31, v2
	v_sub_u32_e32 v4, v0, v1
	v_lshlrev_b64 v[8:9], 4, v[2:3]
	v_add_co_u32_e32 v6, vcc, v8, v4
	v_addc_co_u32_e32 v7, vcc, 0, v9, vcc
	v_add_co_u32_e32 v8, vcc, 16, v8
	v_addc_co_u32_e32 v9, vcc, 0, v9, vcc
	s_ashr_i32 s13, s12, 31
	v_mov_b32_e32 v1, s13
	v_cmp_gt_i64_e32 vcc, s[12:13], v[8:9]
	v_cndmask_b32_e32 v9, v1, v9, vcc
	v_mov_b32_e32 v1, s12
	v_cndmask_b32_e32 v8, v1, v8, vcc
	v_ashrrev_i32_e32 v11, 31, v8
	v_mov_b32_e32 v10, v8
	v_cmp_lt_i64_e32 vcc, v[6:7], v[10:11]
	s_and_saveexec_b64 s[22:23], vcc
	s_cbranch_execz .LBB59_26
; %bb.17:
	v_lshlrev_b64 v[12:13], 7, v[2:3]
	v_lshlrev_b64 v[14:15], 3, v[4:5]
	v_add_co_u32_e32 v12, vcc, v12, v14
	v_addc_co_u32_e32 v1, vcc, v13, v15, vcc
	s_lshl_b64 s[24:25], s[2:3], 5
	s_mul_hi_i32 s7, s2, 3
	s_mul_i32 s13, s2, 3
	s_lshl_b64 s[26:27], s[2:3], 1
	s_lshl_b64 s[30:31], s[2:3], 3
	s_mov_b64 s[28:29], 0
	v_mov_b32_e32 v5, 0
	v_mov_b32_e32 v13, s44
	;; [unrolled: 1-line block ×5, first 2 shown]
	v_pk_mov_b32 v[14:15], v[6:7], v[6:7] op_sel:[0,1]
                                        ; implicit-def: $sgpr34_sgpr35
	s_branch .LBB59_21
.LBB59_18:                              ;   in Loop: Header=BB59_21 Depth=1
	s_or_b64 exec, exec, s[40:41]
	s_orn2_b64 s[40:41], s[42:43], exec
.LBB59_19:                              ;   in Loop: Header=BB59_21 Depth=1
	s_or_b64 exec, exec, s[38:39]
	s_andn2_b64 s[34:35], s[34:35], exec
	s_and_b64 s[38:39], s[40:41], exec
	s_or_b64 s[34:35], s[34:35], s[38:39]
.LBB59_20:                              ;   in Loop: Header=BB59_21 Depth=1
	s_or_b64 exec, exec, s[36:37]
	s_and_b64 s[36:37], exec, s[34:35]
	s_or_b64 s[28:29], s[36:37], s[28:29]
	s_andn2_b64 exec, exec, s[28:29]
	s_cbranch_execz .LBB59_25
.LBB59_21:                              ; =>This Inner Loop Header: Depth=1
	v_add_co_u32_e32 v18, vcc, s33, v12
	v_addc_co_u32_e32 v19, vcc, v13, v1, vcc
	v_add_co_u32_e32 v22, vcc, s45, v12
	v_addc_co_u32_e32 v23, vcc, v25, v1, vcc
	global_load_dwordx2 v[16:17], v[18:19], off
	global_load_dwordx2 v[28:29], v[22:23], off
	v_add_co_u32_e32 v20, vcc, s14, v12
	v_addc_co_u32_e32 v21, vcc, v24, v1, vcc
	global_load_dwordx2 v[30:31], v[20:21], off
	s_or_b64 s[34:35], s[34:35], exec
	s_waitcnt vmcnt(2)
	v_cvt_f32_f16_e32 v27, v16
	v_cvt_f32_f16_sdwa v16, v16 dst_sel:DWORD dst_unused:UNUSED_PAD src0_sel:WORD_1
	s_waitcnt vmcnt(1)
	v_cvt_f32_f16_e32 v33, v28
	v_cvt_f32_f16_sdwa v28, v28 dst_sel:DWORD dst_unused:UNUSED_PAD src0_sel:WORD_1
	v_cvt_f32_f16_e32 v32, v17
	v_cvt_f32_f16_sdwa v17, v17 dst_sel:DWORD dst_unused:UNUSED_PAD src0_sel:WORD_1
	;; [unrolled: 2-line block ×3, first 2 shown]
	v_add_f32_e32 v27, v27, v33
	v_add_f32_e32 v16, v16, v28
	;; [unrolled: 1-line block ×4, first 2 shown]
	s_waitcnt lgkmcnt(0)
	v_fma_mixlo_f16 v27, v36, v27, 0
	v_fma_mixlo_f16 v16, v36, v16, 0
	;; [unrolled: 1-line block ×4, first 2 shown]
	s_waitcnt vmcnt(0)
	v_mul_f16_e32 v27, v30, v27
	v_mul_f16_sdwa v16, v30, v16 dst_sel:DWORD dst_unused:UNUSED_PAD src0_sel:WORD_1 src1_sel:DWORD
	v_mul_f16_e32 v28, v31, v28
	v_mul_f16_sdwa v17, v31, v17 dst_sel:DWORD dst_unused:UNUSED_PAD src0_sel:WORD_1 src1_sel:DWORD
	v_cvt_f32_f16_e64 v27, |v27|
	v_cvt_f32_f16_e64 v29, |v16|
	;; [unrolled: 1-line block ×4, first 2 shown]
	v_add_co_u32_e32 v16, vcc, s2, v14
	v_addc_co_u32_e32 v17, vcc, v15, v26, vcc
	v_max3_f32 v5, v5, v27, v29
	v_cmp_lt_i64_e32 vcc, v[16:17], v[10:11]
	v_max3_f32 v5, v5, v28, v30
	s_and_saveexec_b64 s[36:37], vcc
	s_cbranch_execz .LBB59_20
; %bb.22:                               ;   in Loop: Header=BB59_21 Depth=1
	v_mov_b32_e32 v27, s31
	v_add_co_u32_e32 v18, vcc, s30, v18
	v_addc_co_u32_e32 v19, vcc, v19, v27, vcc
	v_add_co_u32_e32 v22, vcc, s30, v22
	v_addc_co_u32_e32 v23, vcc, v23, v27, vcc
	global_load_dwordx2 v[28:29], v[18:19], off
	global_load_dwordx2 v[30:31], v[22:23], off
	v_add_co_u32_e32 v20, vcc, s30, v20
	v_addc_co_u32_e32 v21, vcc, v21, v27, vcc
	global_load_dwordx2 v[32:33], v[20:21], off
	v_mov_b32_e32 v27, s27
	s_mov_b64 s[40:41], -1
	s_waitcnt vmcnt(2)
	v_cvt_f32_f16_e32 v34, v28
	v_cvt_f32_f16_sdwa v28, v28 dst_sel:DWORD dst_unused:UNUSED_PAD src0_sel:WORD_1
	s_waitcnt vmcnt(1)
	v_cvt_f32_f16_e32 v37, v30
	v_cvt_f32_f16_sdwa v30, v30 dst_sel:DWORD dst_unused:UNUSED_PAD src0_sel:WORD_1
	v_cvt_f32_f16_e32 v35, v29
	v_cvt_f32_f16_sdwa v29, v29 dst_sel:DWORD dst_unused:UNUSED_PAD src0_sel:WORD_1
	;; [unrolled: 2-line block ×3, first 2 shown]
	v_add_f32_e32 v34, v34, v37
	v_add_f32_e32 v28, v28, v30
	;; [unrolled: 1-line block ×4, first 2 shown]
	v_fma_mixlo_f16 v31, v36, v34, 0
	v_fma_mixlo_f16 v28, v36, v28, 0
	;; [unrolled: 1-line block ×4, first 2 shown]
	s_waitcnt vmcnt(0)
	v_mul_f16_e32 v31, v32, v31
	v_mul_f16_sdwa v28, v32, v28 dst_sel:DWORD dst_unused:UNUSED_PAD src0_sel:WORD_1 src1_sel:DWORD
	v_mul_f16_e32 v30, v33, v30
	v_mul_f16_sdwa v29, v33, v29 dst_sel:DWORD dst_unused:UNUSED_PAD src0_sel:WORD_1 src1_sel:DWORD
	v_cvt_f32_f16_e64 v31, |v31|
	v_cvt_f32_f16_e64 v32, |v28|
	;; [unrolled: 1-line block ×4, first 2 shown]
	v_add_co_u32_e32 v28, vcc, s26, v14
	v_addc_co_u32_e32 v29, vcc, v27, v15, vcc
	v_max3_f32 v5, v5, v31, v32
	v_cmp_lt_i64_e32 vcc, v[28:29], v[10:11]
	v_max3_f32 v5, v5, v30, v33
	s_and_saveexec_b64 s[38:39], vcc
	s_cbranch_execz .LBB59_19
; %bb.23:                               ;   in Loop: Header=BB59_21 Depth=1
	v_mov_b32_e32 v27, s31
	v_add_co_u32_e32 v18, vcc, s30, v18
	v_addc_co_u32_e32 v19, vcc, v19, v27, vcc
	v_add_co_u32_e32 v22, vcc, s30, v22
	v_addc_co_u32_e32 v23, vcc, v23, v27, vcc
	global_load_dwordx2 v[28:29], v[18:19], off
	global_load_dwordx2 v[30:31], v[22:23], off
	v_add_co_u32_e32 v20, vcc, s30, v20
	v_addc_co_u32_e32 v21, vcc, v21, v27, vcc
	global_load_dwordx2 v[32:33], v[20:21], off
	v_mov_b32_e32 v27, s7
	v_add_co_u32_e32 v14, vcc, s13, v14
	v_addc_co_u32_e32 v15, vcc, v27, v15, vcc
	v_cmp_lt_i64_e32 vcc, v[14:15], v[10:11]
	s_mov_b64 s[42:43], -1
                                        ; implicit-def: $vgpr14_vgpr15
	s_waitcnt vmcnt(2)
	v_cvt_f32_f16_e32 v34, v28
	v_cvt_f32_f16_sdwa v28, v28 dst_sel:DWORD dst_unused:UNUSED_PAD src0_sel:WORD_1
	s_waitcnt vmcnt(1)
	v_cvt_f32_f16_e32 v37, v30
	v_cvt_f32_f16_sdwa v30, v30 dst_sel:DWORD dst_unused:UNUSED_PAD src0_sel:WORD_1
	v_cvt_f32_f16_e32 v35, v29
	v_cvt_f32_f16_sdwa v29, v29 dst_sel:DWORD dst_unused:UNUSED_PAD src0_sel:WORD_1
	;; [unrolled: 2-line block ×3, first 2 shown]
	v_add_f32_e32 v34, v34, v37
	v_add_f32_e32 v28, v28, v30
	;; [unrolled: 1-line block ×4, first 2 shown]
	v_fma_mixlo_f16 v31, v36, v34, 0
	v_fma_mixlo_f16 v28, v36, v28, 0
	;; [unrolled: 1-line block ×4, first 2 shown]
	s_waitcnt vmcnt(0)
	v_mul_f16_e32 v31, v32, v31
	v_mul_f16_sdwa v28, v32, v28 dst_sel:DWORD dst_unused:UNUSED_PAD src0_sel:WORD_1 src1_sel:DWORD
	v_mul_f16_e32 v30, v33, v30
	v_mul_f16_sdwa v29, v33, v29 dst_sel:DWORD dst_unused:UNUSED_PAD src0_sel:WORD_1 src1_sel:DWORD
	v_cvt_f32_f16_e64 v31, |v31|
	v_cvt_f32_f16_e64 v28, |v28|
	;; [unrolled: 1-line block ×4, first 2 shown]
	v_max3_f32 v5, v5, v31, v28
	v_max3_f32 v5, v5, v30, v29
	s_and_saveexec_b64 s[40:41], vcc
	s_xor_b64 s[40:41], exec, s[40:41]
	s_cbranch_execz .LBB59_18
; %bb.24:                               ;   in Loop: Header=BB59_21 Depth=1
	v_mov_b32_e32 v27, s31
	v_add_co_u32_e32 v14, vcc, s30, v18
	v_addc_co_u32_e32 v15, vcc, v19, v27, vcc
	v_add_co_u32_e32 v18, vcc, s30, v22
	v_addc_co_u32_e32 v19, vcc, v23, v27, vcc
	global_load_dwordx2 v[14:15], v[14:15], off
	v_add_co_u32_e32 v20, vcc, s30, v20
	global_load_dwordx2 v[18:19], v[18:19], off
	v_addc_co_u32_e32 v21, vcc, v21, v27, vcc
	global_load_dwordx2 v[20:21], v[20:21], off
	s_add_u32 s17, s2, s2
	s_addc_u32 s42, s3, s3
	v_mov_b32_e32 v22, s25
	v_add_co_u32_e32 v12, vcc, s24, v12
	s_add_u32 s17, s17, s2
	v_addc_co_u32_e32 v1, vcc, v1, v22, vcc
	s_addc_u32 s42, s42, s3
	v_mov_b32_e32 v22, s42
	s_waitcnt vmcnt(2)
	v_cvt_f32_f16_e32 v23, v14
	v_cvt_f32_f16_sdwa v14, v14 dst_sel:DWORD dst_unused:UNUSED_PAD src0_sel:WORD_1
	v_cvt_f32_f16_e32 v27, v15
	s_waitcnt vmcnt(1)
	v_cvt_f32_f16_e32 v28, v18
	v_cvt_f32_f16_sdwa v18, v18 dst_sel:DWORD dst_unused:UNUSED_PAD src0_sel:WORD_1
	v_cvt_f32_f16_sdwa v15, v15 dst_sel:DWORD dst_unused:UNUSED_PAD src0_sel:WORD_1
	v_cvt_f32_f16_e32 v29, v19
	v_cvt_f32_f16_sdwa v19, v19 dst_sel:DWORD dst_unused:UNUSED_PAD src0_sel:WORD_1
	v_add_f32_e32 v23, v23, v28
	v_add_f32_e32 v14, v14, v18
	;; [unrolled: 1-line block ×4, first 2 shown]
	v_fma_mixlo_f16 v19, v36, v23, 0
	v_fma_mixlo_f16 v14, v36, v14, 0
	;; [unrolled: 1-line block ×4, first 2 shown]
	s_waitcnt vmcnt(0)
	v_mul_f16_e32 v19, v20, v19
	v_mul_f16_sdwa v14, v20, v14 dst_sel:DWORD dst_unused:UNUSED_PAD src0_sel:WORD_1 src1_sel:DWORD
	v_mul_f16_e32 v18, v21, v18
	v_mul_f16_sdwa v15, v21, v15 dst_sel:DWORD dst_unused:UNUSED_PAD src0_sel:WORD_1 src1_sel:DWORD
	v_cvt_f32_f16_e64 v19, |v19|
	v_cvt_f32_f16_e64 v20, |v14|
	;; [unrolled: 1-line block ×4, first 2 shown]
	v_add_co_u32_e32 v14, vcc, s17, v16
	v_addc_co_u32_e32 v15, vcc, v22, v17, vcc
	v_cmp_ge_i64_e32 vcc, v[14:15], v[10:11]
	v_max3_f32 v5, v5, v19, v20
	v_max3_f32 v5, v5, v18, v21
	s_orn2_b64 s[42:43], vcc, exec
	s_branch .LBB59_18
.LBB59_25:
	s_or_b64 exec, exec, s[28:29]
.LBB59_26:
	s_or_b64 exec, exec, s[22:23]
	s_lshr_b32 s7, s47, 6
	v_cvt_f32_u32_e32 v10, s7
	v_lshlrev_b32_e32 v1, 2, v0
	ds_write_b32 v1, v5
	s_sub_i32 s23, 0, s7
	v_rcp_iflag_f32_e32 v5, v10
	s_add_i32 s13, s16, s7
	s_add_i32 s13, s13, -1
	s_ashr_i32 s22, s13, 31
	v_mul_f32_e32 v5, 0x4f7ffffe, v5
	v_cvt_u32_f32_e32 v5, v5
	s_abs_i32 s13, s13
	s_ashr_i32 s17, s16, 31
	s_waitcnt lgkmcnt(0)
	v_readfirstlane_b32 s24, v5
	s_mul_i32 s23, s23, s24
	s_mul_hi_u32 s23, s24, s23
	s_add_i32 s24, s24, s23
	s_mul_hi_u32 s23, s13, s24
	s_mul_i32 s24, s23, s7
	s_sub_i32 s13, s13, s24
	s_add_i32 s24, s23, 1
	s_sub_i32 s25, s13, s7
	s_cmp_ge_u32 s13, s7
	s_cselect_b32 s23, s24, s23
	s_cselect_b32 s13, s25, s13
	s_add_i32 s24, s23, 1
	s_cmp_ge_u32 s13, s7
	s_cselect_b32 s13, s24, s23
	s_xor_b32 s13, s13, s22
	s_sub_i32 s22, s13, s22
	s_ashr_i32 s23, s22, 31
	v_cmp_lt_i64_e64 s[24:25], s[22:23], 1
	s_and_b64 vcc, exec, s[24:25]
	s_barrier
	s_cbranch_vccnz .LBB59_48
; %bb.27:
	v_and_b32_e32 v12, 63, v0
	v_add_co_u32_e32 v14, vcc, 32, v12
	v_addc_co_u32_e64 v15, s[24:25], 0, 0, vcc
	v_add_co_u32_e32 v16, vcc, 16, v12
	v_addc_co_u32_e64 v17, s[24:25], 0, 0, vcc
	v_add_co_u32_e32 v18, vcc, 8, v12
	v_lshrrev_b32_e32 v10, 6, v0
	v_addc_co_u32_e64 v19, s[24:25], 0, 0, vcc
	v_add_co_u32_e32 v20, vcc, 4, v12
	v_addc_co_u32_e64 v21, s[24:25], 0, 0, vcc
	v_add_co_u32_e32 v22, vcc, 2, v12
	v_mul_lo_u32 v5, s2, v10
	v_addc_co_u32_e64 v23, s[24:25], 0, 0, vcc
	v_add_co_u32_e32 v24, vcc, 1, v12
	v_lshlrev_b32_e32 v5, 2, v5
	v_lshlrev_b32_e32 v26, 2, v12
	s_movk_i32 s13, 0x100
	v_mov_b32_e32 v11, 0
	v_addc_co_u32_e64 v25, s[24:25], 0, 0, vcc
	v_add3_u32 v5, v5, v26, s13
	s_mul_i32 s13, s2, s7
	v_mov_b32_e32 v13, v11
	s_lshl_b32 s13, s13, 2
	s_mov_b64 s[24:25], 0
	v_mov_b32_e32 v37, s7
	s_mov_b64 s[26:27], src_shared_base
	s_branch .LBB59_30
.LBB59_28:                              ;   in Loop: Header=BB59_30 Depth=1
	s_or_b64 exec, exec, s[30:31]
	v_mov_b32_e32 v27, s27
	flat_load_dword v26, v[26:27] glc
	s_waitcnt vmcnt(0)
.LBB59_29:                              ;   in Loop: Header=BB59_30 Depth=1
	s_or_b64 exec, exec, s[28:29]
	s_add_u32 s24, s24, 1
	s_addc_u32 s25, s25, 0
	s_cmp_eq_u64 s[24:25], s[22:23]
	v_add_u32_e32 v5, s13, v5
	s_cbranch_scc1 .LBB59_48
.LBB59_30:                              ; =>This Loop Header: Depth=1
                                        ;     Child Loop BB59_33 Depth 2
	v_mad_u64_u32 v[30:31], s[28:29], s24, v37, v[10:11]
	s_mul_i32 s26, s25, s7
	v_add_u32_e32 v31, s26, v31
	v_cmp_gt_i64_e32 vcc, s[16:17], v[30:31]
	s_and_saveexec_b64 s[28:29], vcc
	s_cbranch_execz .LBB59_29
; %bb.31:                               ;   in Loop: Header=BB59_30 Depth=1
	v_pk_mov_b32 v[32:33], s[2:3], s[2:3] op_sel:[0,1]
	v_mul_lo_u32 v29, v31, s2
	v_mul_lo_u32 v38, v30, s3
	v_mad_u64_u32 v[32:33], s[30:31], v30, s2, v[32:33]
	v_add3_u32 v33, v29, v33, v38
	v_mov_b32_e32 v28, s21
	v_cmp_gt_i64_e32 vcc, s[20:21], v[32:33]
	s_waitcnt lgkmcnt(0)
	v_mad_u64_u32 v[26:27], s[30:31], v30, s2, v[12:13]
	v_cndmask_b32_e32 v33, v28, v33, vcc
	v_mov_b32_e32 v28, s20
	v_add3_u32 v27, v29, v27, v38
	v_cndmask_b32_e32 v32, v28, v32, vcc
	v_add_co_u32_e32 v34, vcc, 64, v26
	v_addc_co_u32_e32 v35, vcc, 0, v27, vcc
	v_cmp_lt_i64_e32 vcc, v[34:35], v[32:33]
	v_lshlrev_b32_e32 v28, 2, v26
	s_and_saveexec_b64 s[30:31], vcc
	s_cbranch_execz .LBB59_34
; %bb.32:                               ;   in Loop: Header=BB59_30 Depth=1
	ds_read_b32 v31, v28
	s_mov_b64 s[34:35], 0
	v_mov_b32_e32 v27, v5
.LBB59_33:                              ;   Parent Loop BB59_30 Depth=1
                                        ; =>  This Inner Loop Header: Depth=2
	ds_read_b32 v39, v27
	v_add_co_u32_e32 v34, vcc, 64, v34
	v_addc_co_u32_e32 v35, vcc, 0, v35, vcc
	s_waitcnt lgkmcnt(1)
	v_max_f32_e32 v31, v31, v31
	v_cmp_ge_i64_e32 vcc, v[34:35], v[32:33]
	s_waitcnt lgkmcnt(0)
	v_max_f32_e32 v39, v39, v39
	v_add_u32_e32 v27, 0x100, v27
	s_or_b64 s[34:35], vcc, s[34:35]
	v_max_f32_e32 v31, v31, v39
	ds_write_b32 v28, v31
	s_andn2_b64 exec, exec, s[34:35]
	s_cbranch_execnz .LBB59_33
.LBB59_34:                              ;   in Loop: Header=BB59_30 Depth=1
	s_or_b64 exec, exec, s[30:31]
	v_mad_u64_u32 v[30:31], s[30:31], v30, s2, 0
	v_add3_u32 v27, v31, v38, v29
	v_sub_co_u32_e32 v30, vcc, v32, v30
	v_subb_co_u32_e32 v31, vcc, v33, v27, vcc
	v_cmp_gt_i64_e32 vcc, 64, v[30:31]
	v_cndmask_b32_e32 v31, 0, v31, vcc
	v_cndmask_b32_e32 v30, 64, v30, vcc
	v_cmp_lt_i64_e32 vcc, v[14:15], v[30:31]
	s_and_saveexec_b64 s[30:31], vcc
	s_cbranch_execnz .LBB59_46
; %bb.35:                               ;   in Loop: Header=BB59_30 Depth=1
	s_or_b64 exec, exec, s[30:31]
	v_cmp_lt_i64_e32 vcc, v[16:17], v[30:31]
	s_and_saveexec_b64 s[30:31], vcc
	s_cbranch_execnz .LBB59_47
.LBB59_36:                              ;   in Loop: Header=BB59_30 Depth=1
	s_or_b64 exec, exec, s[30:31]
	v_cmp_lt_i64_e32 vcc, v[18:19], v[30:31]
	s_and_saveexec_b64 s[30:31], vcc
	s_cbranch_execz .LBB59_38
.LBB59_37:                              ;   in Loop: Header=BB59_30 Depth=1
	v_mov_b32_e32 v29, s27
	v_add_u32_e32 v32, 32, v28
	v_mov_b32_e32 v33, s27
	flat_load_dword v27, v[28:29] glc
	s_waitcnt vmcnt(0)
	flat_load_dword v34, v[32:33] glc
	s_waitcnt vmcnt(0) lgkmcnt(0)
	v_max_f32_e32 v27, v27, v27
	v_max_f32_e32 v32, v34, v34
	;; [unrolled: 1-line block ×3, first 2 shown]
	flat_store_dword v[28:29], v27
	s_waitcnt vmcnt(0)
.LBB59_38:                              ;   in Loop: Header=BB59_30 Depth=1
	s_or_b64 exec, exec, s[30:31]
	v_cmp_ge_i64_e32 vcc, v[20:21], v[30:31]
	s_and_saveexec_b64 s[30:31], vcc
	s_xor_b64 s[30:31], exec, s[30:31]
; %bb.39:                               ;   in Loop: Header=BB59_30 Depth=1
                                        ; implicit-def: $vgpr28
; %bb.40:                               ;   in Loop: Header=BB59_30 Depth=1
	s_andn2_saveexec_b64 s[30:31], s[30:31]
	s_cbranch_execz .LBB59_42
; %bb.41:                               ;   in Loop: Header=BB59_30 Depth=1
	v_mov_b32_e32 v29, s27
	v_add_u32_e32 v32, 16, v28
	v_mov_b32_e32 v33, s27
	flat_load_dword v27, v[28:29] glc
	s_waitcnt vmcnt(0)
	flat_load_dword v34, v[32:33] glc
	s_waitcnt vmcnt(0) lgkmcnt(0)
	v_max_f32_e32 v27, v27, v27
	v_max_f32_e32 v32, v34, v34
	;; [unrolled: 1-line block ×3, first 2 shown]
	flat_store_dword v[28:29], v27
	s_waitcnt vmcnt(0)
.LBB59_42:                              ;   in Loop: Header=BB59_30 Depth=1
	s_or_b64 exec, exec, s[30:31]
	v_cmp_lt_i64_e32 vcc, v[22:23], v[30:31]
	v_lshlrev_b32_e32 v26, 2, v26
	s_and_saveexec_b64 s[30:31], vcc
	s_cbranch_execz .LBB59_44
; %bb.43:                               ;   in Loop: Header=BB59_30 Depth=1
	v_mov_b32_e32 v27, s27
	v_add_u32_e32 v28, 8, v26
	v_mov_b32_e32 v29, s27
	flat_load_dword v32, v[26:27] glc
	s_waitcnt vmcnt(0)
	flat_load_dword v33, v[28:29] glc
	s_waitcnt vmcnt(0) lgkmcnt(0)
	v_max_f32_e32 v28, v32, v32
	v_max_f32_e32 v29, v33, v33
	;; [unrolled: 1-line block ×3, first 2 shown]
	flat_store_dword v[26:27], v28
	s_waitcnt vmcnt(0)
.LBB59_44:                              ;   in Loop: Header=BB59_30 Depth=1
	s_or_b64 exec, exec, s[30:31]
	v_cmp_lt_i64_e32 vcc, v[24:25], v[30:31]
	s_and_saveexec_b64 s[30:31], vcc
	s_cbranch_execz .LBB59_28
; %bb.45:                               ;   in Loop: Header=BB59_30 Depth=1
	v_mov_b32_e32 v27, s27
	v_add_u32_e32 v28, 4, v26
	v_mov_b32_e32 v29, s27
	flat_load_dword v30, v[26:27] glc
	s_waitcnt vmcnt(0)
	flat_load_dword v31, v[28:29] glc
	s_waitcnt vmcnt(0) lgkmcnt(0)
	v_max_f32_e32 v28, v30, v30
	v_max_f32_e32 v29, v31, v31
	;; [unrolled: 1-line block ×3, first 2 shown]
	flat_store_dword v[26:27], v28
	s_waitcnt vmcnt(0)
	s_branch .LBB59_28
.LBB59_46:                              ;   in Loop: Header=BB59_30 Depth=1
	v_mov_b32_e32 v29, s27
	v_add_u32_e32 v32, 0x80, v28
	v_mov_b32_e32 v33, s27
	flat_load_dword v27, v[28:29] glc
	s_waitcnt vmcnt(0)
	flat_load_dword v34, v[32:33] glc
	s_waitcnt vmcnt(0) lgkmcnt(0)
	v_max_f32_e32 v27, v27, v27
	v_max_f32_e32 v32, v34, v34
	;; [unrolled: 1-line block ×3, first 2 shown]
	flat_store_dword v[28:29], v27
	s_waitcnt vmcnt(0)
	s_or_b64 exec, exec, s[30:31]
	v_cmp_lt_i64_e32 vcc, v[16:17], v[30:31]
	s_and_saveexec_b64 s[30:31], vcc
	s_cbranch_execz .LBB59_36
.LBB59_47:                              ;   in Loop: Header=BB59_30 Depth=1
	v_mov_b32_e32 v29, s27
	v_add_u32_e32 v32, 64, v28
	v_mov_b32_e32 v33, s27
	flat_load_dword v27, v[28:29] glc
	s_waitcnt vmcnt(0)
	flat_load_dword v34, v[32:33] glc
	s_waitcnt vmcnt(0) lgkmcnt(0)
	v_max_f32_e32 v27, v27, v27
	v_max_f32_e32 v32, v34, v34
	v_max_f32_e32 v27, v27, v32
	flat_store_dword v[28:29], v27
	s_waitcnt vmcnt(0)
	s_or_b64 exec, exec, s[30:31]
	v_cmp_lt_i64_e32 vcc, v[18:19], v[30:31]
	s_and_saveexec_b64 s[30:31], vcc
	s_cbranch_execnz .LBB59_37
	s_branch .LBB59_38
.LBB59_48:
	v_cmp_eq_u32_e32 vcc, 0, v4
	v_cmp_lt_i64_e64 s[2:3], v[6:7], v[8:9]
	s_and_b64 s[22:23], vcc, s[2:3]
	s_mul_i32 s17, s17, s6
	s_mul_hi_u32 s20, s16, s6
	s_mul_i32 s2, s16, s6
	s_waitcnt lgkmcnt(0)
	s_barrier
	s_and_saveexec_b64 s[6:7], s[22:23]
	s_cbranch_execz .LBB59_52
; %bb.49:
	s_load_dwordx2 s[4:5], s[4:5], 0x20
	ds_read_b32 v1, v1
	s_waitcnt lgkmcnt(0)
	s_cmp_eq_u64 s[4:5], 0
	s_cbranch_scc1 .LBB59_51
; %bb.50:
	s_load_dword s3, s[4:5], 0x0
	v_max_f32_e32 v1, v1, v1
	s_waitcnt lgkmcnt(0)
	v_max_f32_e64 v4, s3, s3
	v_min_f32_e32 v1, v1, v4
.LBB59_51:
	s_mov_b32 s3, 0x42fe0000
	v_div_scale_f32 v4, s[4:5], s3, s3, v1
	v_rcp_f32_e32 v5, v4
	v_div_scale_f32 v6, vcc, v1, s3, v1
	v_lshlrev_b64 v[2:3], 2, v[2:3]
	v_fma_f32 v7, -v4, v5, 1.0
	v_fmac_f32_e32 v5, v7, v5
	v_mul_f32_e32 v7, v6, v5
	v_fma_f32 v8, -v4, v7, v6
	v_fmac_f32_e32 v7, v8, v5
	v_fma_f32 v4, -v4, v7, v6
	v_div_fmas_f32 v4, v4, v5, v7
	v_div_fixup_f32 v1, v4, s3, v1
	s_add_i32 s3, s20, s17
	s_lshl_b64 s[4:5], s[2:3], 2
	s_add_u32 s3, s10, s4
	s_addc_u32 s4, s11, s5
	v_mov_b32_e32 v4, s4
	v_add_co_u32_e32 v2, vcc, s3, v2
	v_max_f32_e32 v1, 0x34000000, v1
	v_addc_co_u32_e32 v3, vcc, v4, v3, vcc
	global_store_dword v[2:3], v1, off
.LBB59_52:
	s_or_b64 exec, exec, s[6:7]
	s_barrier
	s_and_saveexec_b64 s[4:5], s[0:1]
	s_cbranch_execz .LBB59_61
; %bb.53:
	s_add_u32 s13, s8, s18
	s_addc_u32 s18, s9, s19
	s_add_i32 s3, s20, s17
	s_lshl_b64 s[0:1], s[2:3], 2
	s_add_u32 s2, s10, s0
	s_addc_u32 s3, s11, s1
	s_add_i32 s23, s47, s47
	s_mul_i32 s19, s47, 3
	s_lshl_b32 s20, s47, 1
	s_mov_b64 s[4:5], 0
	v_mov_b32_e32 v1, 0
	v_mov_b32_e32 v6, s44
	;; [unrolled: 1-line block ×4, first 2 shown]
	s_mov_b32 s21, 0x42fe0000
	v_mov_b32_e32 v9, 0x42fe0000
	s_mov_b32 s22, 0xc3000000
	v_mov_b32_e32 v10, 0xc3000000
	v_mov_b32_e32 v11, s18
	s_add_i32 s23, s23, s47
	v_mov_b32_e32 v12, 8
                                        ; implicit-def: $sgpr6_sgpr7
	s_branch .LBB59_57
.LBB59_54:                              ;   in Loop: Header=BB59_57 Depth=1
	s_or_b64 exec, exec, s[16:17]
	s_orn2_b64 s[16:17], s[0:1], exec
.LBB59_55:                              ;   in Loop: Header=BB59_57 Depth=1
	s_or_b64 exec, exec, s[10:11]
	s_andn2_b64 s[0:1], s[6:7], exec
	s_and_b64 s[6:7], s[16:17], exec
	s_or_b64 s[6:7], s[0:1], s[6:7]
.LBB59_56:                              ;   in Loop: Header=BB59_57 Depth=1
	s_or_b64 exec, exec, s[8:9]
	s_and_b64 s[0:1], exec, s[6:7]
	s_or_b64 s[4:5], s[0:1], s[4:5]
	s_andn2_b64 exec, exec, s[4:5]
	s_cbranch_execz .LBB59_61
.LBB59_57:                              ; =>This Inner Loop Header: Depth=1
	v_lshlrev_b64 v[2:3], 3, v[0:1]
	v_add_co_u32_e32 v4, vcc, s33, v2
	v_addc_co_u32_e32 v5, vcc, v6, v3, vcc
	v_lshrrev_b32_e32 v13, 2, v0
	global_load_dwordx2 v[14:15], v[4:5], off
	v_add_co_u32_e32 v4, vcc, s45, v2
	v_and_b32_e32 v13, 0xffffffc, v13
	v_addc_co_u32_e32 v5, vcc, v8, v3, vcc
	global_load_dword v13, v13, s[2:3]
	v_add_co_u32_e32 v2, vcc, s14, v2
	global_load_dwordx2 v[16:17], v[4:5], off
	v_addc_co_u32_e32 v3, vcc, v7, v3, vcc
	global_load_dwordx2 v[18:19], v[2:3], off
	v_lshlrev_b64 v[20:21], 2, v[0:1]
	v_add_co_u32_e32 v20, vcc, s13, v20
	v_addc_co_u32_e32 v21, vcc, v11, v21, vcc
	v_add_u32_e32 v2, s47, v0
	v_cmp_gt_u32_e64 s[0:1], s12, v2
	s_or_b64 s[6:7], s[6:7], exec
	s_waitcnt vmcnt(3)
	v_cvt_f32_f16_e32 v24, v14
	v_cvt_f32_f16_sdwa v25, v14 dst_sel:DWORD dst_unused:UNUSED_PAD src0_sel:WORD_1
	v_cvt_f32_f16_e32 v22, v15
	v_cvt_f32_f16_sdwa v23, v15 dst_sel:DWORD dst_unused:UNUSED_PAD src0_sel:WORD_1
	s_waitcnt vmcnt(2)
	v_div_scale_f32 v3, s[8:9], v13, v13, 1.0
	v_rcp_f32_e32 v29, v3
	s_waitcnt vmcnt(1)
	v_cvt_f32_f16_e32 v26, v16
	v_cvt_f32_f16_sdwa v27, v16 dst_sel:DWORD dst_unused:UNUSED_PAD src0_sel:WORD_1
	v_cvt_f32_f16_e32 v14, v17
	v_cvt_f32_f16_sdwa v15, v17 dst_sel:DWORD dst_unused:UNUSED_PAD src0_sel:WORD_1
	v_div_scale_f32 v28, vcc, 1.0, v13, 1.0
	v_pk_add_f32 v[16:17], v[24:25], v[26:27]
	v_fma_f32 v26, -v3, v29, 1.0
	v_cvt_f16_f32_e32 v24, v17
	v_cvt_f16_f32_e32 v25, v16
	v_fma_mixlo_f16 v16, v36, v16, 0
	v_fma_mixlo_f16 v17, v36, v17, 0
	v_fmac_f32_e32 v29, v26, v29
	v_pk_add_f32 v[14:15], v[22:23], v[14:15]
	s_waitcnt vmcnt(0)
	v_mul_f16_e32 v16, v18, v16
	v_mul_f16_sdwa v17, v18, v17 dst_sel:DWORD dst_unused:UNUSED_PAD src0_sel:WORD_1 src1_sel:DWORD
	v_mul_f32_e32 v18, v28, v29
	v_cvt_f16_f32_e32 v22, v15
	v_cvt_f16_f32_e32 v23, v14
	v_fma_f32 v27, -v3, v18, v28
	v_fma_mixlo_f16 v14, v36, v14, 0
	v_cvt_f32_f16_e32 v16, v16
	v_fmac_f32_e32 v18, v27, v29
	v_fma_mixlo_f16 v15, v36, v15, 0
	v_mul_f16_e32 v14, v19, v14
	v_cvt_f32_f16_e32 v17, v17
	v_fma_f32 v3, -v3, v18, v28
	v_mul_f16_sdwa v15, v19, v15 dst_sel:DWORD dst_unused:UNUSED_PAD src0_sel:WORD_1 src1_sel:DWORD
	v_cvt_f32_f16_e32 v19, v14
	v_div_fmas_f32 v3, v3, v29, v18
	v_cvt_f32_f16_e32 v26, v15
	v_pack_b32_f16 v15, v23, v22
	v_pack_b32_f16 v14, v25, v24
	v_div_fixup_f32 v3, v3, v13, 1.0
	global_store_dwordx2 v[4:5], v[14:15], off
	v_mul_f32_e32 v4, v3, v16
	v_mul_f32_e32 v5, v3, v17
	v_rndne_f32_e32 v4, v4
	v_mul_f32_e32 v13, v3, v19
	v_rndne_f32_e32 v5, v5
	v_cmp_nlt_f32_e32 vcc, s21, v4
	v_mul_f32_e32 v3, v3, v26
	v_rndne_f32_e32 v13, v13
	v_cndmask_b32_e32 v14, v9, v4, vcc
	v_cmp_nlt_f32_e32 vcc, s21, v5
	v_rndne_f32_e32 v3, v3
	v_cndmask_b32_e32 v15, v9, v5, vcc
	v_cmp_nlt_f32_e32 vcc, s21, v13
	v_cndmask_b32_e32 v16, v9, v13, vcc
	v_cmp_nlt_f32_e32 vcc, s21, v3
	v_cndmask_b32_e32 v17, v9, v3, vcc
	v_cmp_ngt_f32_e32 vcc, s22, v4
	v_cndmask_b32_e32 v4, v10, v14, vcc
	v_cmp_ngt_f32_e32 vcc, s22, v5
	;; [unrolled: 2-line block ×4, first 2 shown]
	v_cvt_i32_f32_e32 v13, v13
	v_cndmask_b32_e32 v3, v10, v17, vcc
	v_cvt_i32_f32_e32 v5, v5
	v_cvt_i32_f32_e32 v4, v4
	;; [unrolled: 1-line block ×3, first 2 shown]
	v_and_b32_e32 v13, 0xff, v13
	v_lshlrev_b32_e32 v13, 16, v13
	v_lshlrev_b32_sdwa v5, v12, v5 dst_sel:DWORD dst_unused:UNUSED_PAD src0_sel:DWORD src1_sel:BYTE_0
	v_and_b32_e32 v4, 0xff, v4
	v_lshl_or_b32 v3, v3, 24, v13
	v_or3_b32 v3, v3, v5, v4
	global_store_dword v[20:21], v3, off
	s_and_saveexec_b64 s[8:9], s[0:1]
	s_cbranch_execz .LBB59_56
; %bb.58:                               ;   in Loop: Header=BB59_57 Depth=1
	v_mov_b32_e32 v3, v1
	v_lshlrev_b64 v[4:5], 3, v[2:3]
	v_add_co_u32_e32 v14, vcc, s33, v4
	v_addc_co_u32_e32 v15, vcc, v6, v5, vcc
	v_lshrrev_b32_e32 v13, 2, v2
	v_and_b32_e32 v13, 0xffffffc, v13
	v_add_co_u32_e32 v16, vcc, s45, v4
	global_load_dword v13, v13, s[2:3]
	v_addc_co_u32_e32 v17, vcc, v8, v5, vcc
	global_load_dwordx2 v[14:15], v[14:15], off
	v_add_co_u32_e32 v4, vcc, s14, v4
	global_load_dwordx2 v[18:19], v[16:17], off
	v_addc_co_u32_e32 v5, vcc, v7, v5, vcc
	global_load_dwordx2 v[20:21], v[4:5], off
	v_lshlrev_b64 v[22:23], 2, v[2:3]
	v_add_co_u32_e32 v22, vcc, s13, v22
	v_addc_co_u32_e32 v23, vcc, v11, v23, vcc
	v_add_u32_e32 v4, s20, v0
	v_cmp_gt_u32_e64 s[0:1], s12, v4
	s_mov_b64 s[16:17], -1
	s_waitcnt vmcnt(3)
	v_div_scale_f32 v3, s[10:11], v13, v13, 1.0
	v_rcp_f32_e32 v5, v3
	s_waitcnt vmcnt(2)
	v_cvt_f32_f16_e32 v24, v15
	v_cvt_f32_f16_sdwa v25, v15 dst_sel:DWORD dst_unused:UNUSED_PAD src0_sel:WORD_1
	v_cvt_f32_f16_e32 v26, v14
	v_cvt_f32_f16_sdwa v27, v14 dst_sel:DWORD dst_unused:UNUSED_PAD src0_sel:WORD_1
	s_waitcnt vmcnt(1)
	v_cvt_f32_f16_e32 v14, v19
	v_cvt_f32_f16_sdwa v15, v19 dst_sel:DWORD dst_unused:UNUSED_PAD src0_sel:WORD_1
	v_cvt_f32_f16_e32 v28, v18
	v_cvt_f32_f16_sdwa v29, v18 dst_sel:DWORD dst_unused:UNUSED_PAD src0_sel:WORD_1
	v_div_scale_f32 v30, vcc, 1.0, v13, 1.0
	v_pk_add_f32 v[14:15], v[24:25], v[14:15]
	v_fma_f32 v24, -v3, v5, 1.0
	v_pk_add_f32 v[18:19], v[26:27], v[28:29]
	v_fmac_f32_e32 v5, v24, v5
	v_cvt_f16_f32_e32 v27, v19
	v_cvt_f16_f32_e32 v28, v18
	v_fma_mixlo_f16 v18, v36, v18, 0
	v_fma_mixlo_f16 v19, v36, v19, 0
	v_mul_f32_e32 v24, v30, v5
	s_waitcnt vmcnt(0)
	v_mul_f16_e32 v18, v20, v18
	v_mul_f16_sdwa v19, v20, v19 dst_sel:DWORD dst_unused:UNUSED_PAD src0_sel:WORD_1 src1_sel:DWORD
	v_fma_f32 v20, -v3, v24, v30
	v_cvt_f16_f32_e32 v26, v14
	v_fma_mixlo_f16 v14, v36, v14, 0
	v_cvt_f32_f16_e32 v18, v18
	v_fmac_f32_e32 v24, v20, v5
	v_cvt_f16_f32_e32 v25, v15
	v_fma_mixlo_f16 v15, v36, v15, 0
	v_mul_f16_e32 v14, v21, v14
	v_cvt_f32_f16_e32 v19, v19
	v_fma_f32 v3, -v3, v24, v30
	v_mul_f16_sdwa v15, v21, v15 dst_sel:DWORD dst_unused:UNUSED_PAD src0_sel:WORD_1 src1_sel:DWORD
	v_cvt_f32_f16_e32 v21, v14
	v_div_fmas_f32 v3, v3, v5, v24
	v_cvt_f32_f16_e32 v29, v15
	v_div_fixup_f32 v3, v3, v13, 1.0
	v_mul_f32_e32 v5, v3, v18
	v_pack_b32_f16 v15, v26, v25
	v_pack_b32_f16 v14, v28, v27
	v_mul_f32_e32 v13, v3, v19
	v_rndne_f32_e32 v5, v5
	global_store_dwordx2 v[16:17], v[14:15], off
	v_mul_f32_e32 v14, v3, v21
	v_rndne_f32_e32 v13, v13
	v_cmp_nlt_f32_e32 vcc, s21, v5
	v_mul_f32_e32 v3, v3, v29
	v_rndne_f32_e32 v14, v14
	v_cndmask_b32_e32 v15, v9, v5, vcc
	v_cmp_nlt_f32_e32 vcc, s21, v13
	v_rndne_f32_e32 v3, v3
	v_cndmask_b32_e32 v16, v9, v13, vcc
	v_cmp_nlt_f32_e32 vcc, s21, v14
	v_cndmask_b32_e32 v17, v9, v14, vcc
	v_cmp_nlt_f32_e32 vcc, s21, v3
	v_cndmask_b32_e32 v18, v9, v3, vcc
	v_cmp_ngt_f32_e32 vcc, s22, v5
	v_cndmask_b32_e32 v5, v10, v15, vcc
	v_cmp_ngt_f32_e32 vcc, s22, v13
	;; [unrolled: 2-line block ×4, first 2 shown]
	v_cvt_i32_f32_e32 v14, v14
	v_cndmask_b32_e32 v3, v10, v18, vcc
	v_cvt_i32_f32_e32 v13, v13
	v_cvt_i32_f32_e32 v5, v5
	;; [unrolled: 1-line block ×3, first 2 shown]
	v_and_b32_e32 v14, 0xff, v14
	v_lshlrev_b32_e32 v14, 16, v14
	v_lshlrev_b32_sdwa v13, v12, v13 dst_sel:DWORD dst_unused:UNUSED_PAD src0_sel:DWORD src1_sel:BYTE_0
	v_and_b32_e32 v5, 0xff, v5
	v_lshl_or_b32 v3, v3, 24, v14
	v_or3_b32 v3, v3, v13, v5
	global_store_dword v[22:23], v3, off
	s_and_saveexec_b64 s[10:11], s[0:1]
	s_cbranch_execz .LBB59_55
; %bb.59:                               ;   in Loop: Header=BB59_57 Depth=1
	v_mov_b32_e32 v5, v1
	v_lshlrev_b64 v[14:15], 3, v[4:5]
	v_mov_b32_e32 v3, s44
	v_add_co_u32_e32 v16, vcc, s33, v14
	v_addc_co_u32_e32 v17, vcc, v3, v15, vcc
	v_lshrrev_b32_e32 v13, 2, v4
	v_mov_b32_e32 v3, s46
	v_and_b32_e32 v13, 0xffffffc, v13
	v_add_co_u32_e32 v18, vcc, s45, v14
	global_load_dword v13, v13, s[2:3]
	v_addc_co_u32_e32 v19, vcc, v3, v15, vcc
	global_load_dwordx2 v[16:17], v[16:17], off
	v_mov_b32_e32 v3, s15
	global_load_dwordx2 v[20:21], v[18:19], off
	v_add_co_u32_e32 v14, vcc, s14, v14
	v_addc_co_u32_e32 v15, vcc, v3, v15, vcc
	global_load_dwordx2 v[14:15], v[14:15], off
	v_lshlrev_b64 v[4:5], 2, v[4:5]
	v_mov_b32_e32 v3, s18
	v_add_co_u32_e32 v4, vcc, s13, v4
	v_addc_co_u32_e32 v5, vcc, v3, v5, vcc
	v_add_u32_e32 v0, s19, v0
	s_waitcnt vmcnt(3)
	v_div_scale_f32 v3, s[0:1], v13, v13, 1.0
	v_rcp_f32_e32 v28, v3
	s_waitcnt vmcnt(2)
	v_cvt_f32_f16_e32 v22, v17
	v_cvt_f32_f16_sdwa v23, v17 dst_sel:DWORD dst_unused:UNUSED_PAD src0_sel:WORD_1
	v_cvt_f32_f16_e32 v24, v16
	v_cvt_f32_f16_sdwa v25, v16 dst_sel:DWORD dst_unused:UNUSED_PAD src0_sel:WORD_1
	s_waitcnt vmcnt(1)
	v_cvt_f32_f16_e32 v16, v21
	v_cvt_f32_f16_sdwa v17, v21 dst_sel:DWORD dst_unused:UNUSED_PAD src0_sel:WORD_1
	v_cvt_f32_f16_e32 v26, v20
	v_cvt_f32_f16_sdwa v27, v20 dst_sel:DWORD dst_unused:UNUSED_PAD src0_sel:WORD_1
	v_div_scale_f32 v29, vcc, 1.0, v13, 1.0
	v_pk_add_f32 v[16:17], v[22:23], v[16:17]
	v_fma_f32 v22, -v3, v28, 1.0
	v_pk_add_f32 v[20:21], v[24:25], v[26:27]
	v_fmac_f32_e32 v28, v22, v28
	v_cvt_f16_f32_e32 v23, v17
	v_cvt_f16_f32_e32 v24, v16
	;; [unrolled: 1-line block ×3, first 2 shown]
	v_fma_mixlo_f16 v20, v36, v20, 0
	v_fma_mixlo_f16 v16, v36, v16, 0
	;; [unrolled: 1-line block ×3, first 2 shown]
	v_mul_f32_e32 v22, v29, v28
	v_cvt_f16_f32_e32 v25, v21
	v_fma_mixlo_f16 v21, v36, v21, 0
	s_waitcnt vmcnt(0)
	v_mul_f16_e32 v20, v14, v20
	v_mul_f16_e32 v16, v15, v16
	v_mul_f16_sdwa v15, v15, v17 dst_sel:DWORD dst_unused:UNUSED_PAD src0_sel:WORD_1 src1_sel:DWORD
	v_fma_f32 v17, -v3, v22, v29
	v_mul_f16_sdwa v14, v14, v21 dst_sel:DWORD dst_unused:UNUSED_PAD src0_sel:WORD_1 src1_sel:DWORD
	v_cvt_f32_f16_e32 v20, v20
	v_fmac_f32_e32 v22, v17, v28
	v_cvt_f32_f16_e32 v21, v14
	v_fma_f32 v3, -v3, v22, v29
	v_cvt_f32_f16_e32 v16, v16
	v_div_fmas_f32 v3, v3, v28, v22
	v_cvt_f32_f16_e32 v27, v15
	v_div_fixup_f32 v3, v3, v13, 1.0
	v_pack_b32_f16 v15, v24, v23
	v_pack_b32_f16 v14, v26, v25
	v_mul_f32_e32 v13, v3, v20
	global_store_dwordx2 v[18:19], v[14:15], off
	v_mul_f32_e32 v14, v3, v21
	v_rndne_f32_e32 v13, v13
	v_mul_f32_e32 v15, v3, v16
	v_rndne_f32_e32 v14, v14
	v_cmp_nlt_f32_e32 vcc, s21, v13
	v_mul_f32_e32 v3, v3, v27
	v_rndne_f32_e32 v15, v15
	v_cndmask_b32_e32 v16, v9, v13, vcc
	v_cmp_nlt_f32_e32 vcc, s21, v14
	v_rndne_f32_e32 v3, v3
	v_cndmask_b32_e32 v17, v9, v14, vcc
	v_cmp_nlt_f32_e32 vcc, s21, v15
	v_cndmask_b32_e32 v18, v9, v15, vcc
	v_cmp_nlt_f32_e32 vcc, s21, v3
	v_cndmask_b32_e32 v19, v9, v3, vcc
	v_cmp_ngt_f32_e32 vcc, s22, v13
	v_cndmask_b32_e32 v13, v10, v16, vcc
	v_cmp_ngt_f32_e32 vcc, s22, v14
	;; [unrolled: 2-line block ×4, first 2 shown]
	v_cvt_i32_f32_e32 v15, v15
	v_cndmask_b32_e32 v3, v10, v19, vcc
	v_cvt_i32_f32_e32 v14, v14
	v_cvt_i32_f32_e32 v13, v13
	;; [unrolled: 1-line block ×3, first 2 shown]
	v_and_b32_e32 v15, 0xff, v15
	v_lshlrev_b32_e32 v15, 16, v15
	v_lshlrev_b32_sdwa v14, v12, v14 dst_sel:DWORD dst_unused:UNUSED_PAD src0_sel:DWORD src1_sel:BYTE_0
	v_and_b32_e32 v13, 0xff, v13
	v_lshl_or_b32 v3, v3, 24, v15
	v_or3_b32 v3, v3, v14, v13
	v_cmp_gt_u32_e32 vcc, s12, v0
	s_mov_b64 s[0:1], -1
	global_store_dword v[4:5], v3, off
	s_and_saveexec_b64 s[16:17], vcc
	s_cbranch_execz .LBB59_54
; %bb.60:                               ;   in Loop: Header=BB59_57 Depth=1
	v_lshlrev_b64 v[14:15], 3, v[0:1]
	v_mov_b32_e32 v3, s44
	v_add_co_u32_e32 v4, vcc, s33, v14
	v_addc_co_u32_e32 v5, vcc, v3, v15, vcc
	v_mov_b32_e32 v3, s46
	global_load_dwordx2 v[16:17], v[4:5], off
	v_add_co_u32_e32 v4, vcc, s45, v14
	v_addc_co_u32_e32 v5, vcc, v3, v15, vcc
	v_lshrrev_b32_e32 v3, 2, v0
	v_and_b32_e32 v3, 0xffffffc, v3
	global_load_dwordx2 v[18:19], v[4:5], off
	global_load_dword v13, v3, s[2:3]
	v_mov_b32_e32 v3, s15
	v_add_co_u32_e32 v14, vcc, s14, v14
	v_addc_co_u32_e32 v15, vcc, v3, v15, vcc
	global_load_dwordx2 v[14:15], v[14:15], off
	v_lshlrev_b64 v[20:21], 2, v[0:1]
	v_mov_b32_e32 v3, s18
	v_add_u32_e32 v0, s23, v2
	v_add_co_u32_e32 v2, vcc, s13, v20
	v_addc_co_u32_e32 v3, vcc, v3, v21, vcc
	v_cmp_le_u32_e64 s[0:1], s12, v0
	s_orn2_b64 s[0:1], s[0:1], exec
	s_waitcnt vmcnt(3)
	v_cvt_f32_f16_e32 v20, v17
	v_cvt_f32_f16_sdwa v21, v17 dst_sel:DWORD dst_unused:UNUSED_PAD src0_sel:WORD_1
	v_cvt_f32_f16_e32 v22, v16
	v_cvt_f32_f16_sdwa v23, v16 dst_sel:DWORD dst_unused:UNUSED_PAD src0_sel:WORD_1
	s_waitcnt vmcnt(2)
	v_cvt_f32_f16_e32 v16, v19
	v_cvt_f32_f16_sdwa v17, v19 dst_sel:DWORD dst_unused:UNUSED_PAD src0_sel:WORD_1
	v_cvt_f32_f16_e32 v24, v18
	v_cvt_f32_f16_sdwa v25, v18 dst_sel:DWORD dst_unused:UNUSED_PAD src0_sel:WORD_1
	s_waitcnt vmcnt(1)
	v_div_scale_f32 v26, s[24:25], v13, v13, 1.0
	v_rcp_f32_e32 v28, v26
	v_pk_add_f32 v[18:19], v[22:23], v[24:25]
	v_pk_add_f32 v[16:17], v[20:21], v[16:17]
	v_cvt_f16_f32_e32 v20, v17
	v_cvt_f16_f32_e32 v21, v16
	;; [unrolled: 1-line block ×4, first 2 shown]
	v_fma_f32 v24, -v26, v28, 1.0
	v_div_scale_f32 v27, vcc, 1.0, v13, 1.0
	v_fma_mixlo_f16 v16, v36, v16, 0
	v_fma_mixlo_f16 v17, v36, v17, 0
	v_fmac_f32_e32 v28, v24, v28
	v_fma_mixlo_f16 v18, v36, v18, 0
	v_fma_mixlo_f16 v19, v36, v19, 0
	s_waitcnt vmcnt(0)
	v_mul_f16_e32 v16, v15, v16
	v_mul_f16_sdwa v15, v15, v17 dst_sel:DWORD dst_unused:UNUSED_PAD src0_sel:WORD_1 src1_sel:DWORD
	v_mul_f32_e32 v17, v27, v28
	v_mul_f16_e32 v18, v14, v18
	v_mul_f16_sdwa v14, v14, v19 dst_sel:DWORD dst_unused:UNUSED_PAD src0_sel:WORD_1 src1_sel:DWORD
	v_fma_f32 v25, -v26, v17, v27
	v_cvt_f32_f16_e32 v18, v18
	v_cvt_f32_f16_e32 v19, v14
	v_cvt_f32_f16_e32 v24, v15
	v_pack_b32_f16 v15, v21, v20
	v_pack_b32_f16 v14, v23, v22
	v_fmac_f32_e32 v17, v25, v28
	global_store_dwordx2 v[4:5], v[14:15], off
	v_fma_f32 v4, -v26, v17, v27
	v_cvt_f32_f16_e32 v16, v16
	v_div_fmas_f32 v4, v4, v28, v17
	v_div_fixup_f32 v4, v4, v13, 1.0
	v_mul_f32_e32 v5, v4, v18
	v_mul_f32_e32 v13, v4, v19
	v_rndne_f32_e32 v5, v5
	v_mul_f32_e32 v14, v4, v16
	v_rndne_f32_e32 v13, v13
	v_cmp_nlt_f32_e32 vcc, s21, v5
	v_mul_f32_e32 v4, v4, v24
	v_rndne_f32_e32 v14, v14
	v_cndmask_b32_e32 v15, v9, v5, vcc
	v_cmp_nlt_f32_e32 vcc, s21, v13
	v_rndne_f32_e32 v4, v4
	v_cndmask_b32_e32 v16, v9, v13, vcc
	v_cmp_nlt_f32_e32 vcc, s21, v14
	v_cndmask_b32_e32 v17, v9, v14, vcc
	v_cmp_nlt_f32_e32 vcc, s21, v4
	v_cndmask_b32_e32 v18, v9, v4, vcc
	v_cmp_ngt_f32_e32 vcc, s22, v5
	v_cndmask_b32_e32 v5, v10, v15, vcc
	v_cmp_ngt_f32_e32 vcc, s22, v13
	;; [unrolled: 2-line block ×4, first 2 shown]
	v_cvt_i32_f32_e32 v14, v14
	v_cndmask_b32_e32 v4, v10, v18, vcc
	v_cvt_i32_f32_e32 v13, v13
	v_cvt_i32_f32_e32 v5, v5
	;; [unrolled: 1-line block ×3, first 2 shown]
	v_and_b32_e32 v14, 0xff, v14
	v_lshlrev_b32_e32 v14, 16, v14
	v_lshlrev_b32_sdwa v13, v12, v13 dst_sel:DWORD dst_unused:UNUSED_PAD src0_sel:DWORD src1_sel:BYTE_0
	v_and_b32_e32 v5, 0xff, v5
	v_lshl_or_b32 v4, v4, 24, v14
	v_or3_b32 v4, v4, v13, v5
	global_store_dword v[2:3], v4, off
	s_branch .LBB59_54
.LBB59_61:
	s_endpgm
	.section	.rodata,"a",@progbits
	.p2align	6, 0x0
	.amdhsa_kernel _ZN4vllm31rms_norm_per_block_quant_kernelIN3c104HalfEaLb1ELb0ELi64EEEvPT0_PfPKT_S8_PKffiiPS6_l
		.amdhsa_group_segment_fixed_size 4164
		.amdhsa_private_segment_fixed_size 0
		.amdhsa_kernarg_size 328
		.amdhsa_user_sgpr_count 6
		.amdhsa_user_sgpr_private_segment_buffer 1
		.amdhsa_user_sgpr_dispatch_ptr 0
		.amdhsa_user_sgpr_queue_ptr 0
		.amdhsa_user_sgpr_kernarg_segment_ptr 1
		.amdhsa_user_sgpr_dispatch_id 0
		.amdhsa_user_sgpr_flat_scratch_init 0
		.amdhsa_user_sgpr_kernarg_preload_length 0
		.amdhsa_user_sgpr_kernarg_preload_offset 0
		.amdhsa_user_sgpr_private_segment_size 0
		.amdhsa_uses_dynamic_stack 0
		.amdhsa_system_sgpr_private_segment_wavefront_offset 0
		.amdhsa_system_sgpr_workgroup_id_x 1
		.amdhsa_system_sgpr_workgroup_id_y 0
		.amdhsa_system_sgpr_workgroup_id_z 0
		.amdhsa_system_sgpr_workgroup_info 0
		.amdhsa_system_vgpr_workitem_id 0
		.amdhsa_next_free_vgpr 40
		.amdhsa_next_free_sgpr 48
		.amdhsa_accum_offset 40
		.amdhsa_reserve_vcc 1
		.amdhsa_reserve_flat_scratch 0
		.amdhsa_float_round_mode_32 0
		.amdhsa_float_round_mode_16_64 0
		.amdhsa_float_denorm_mode_32 3
		.amdhsa_float_denorm_mode_16_64 3
		.amdhsa_dx10_clamp 1
		.amdhsa_ieee_mode 1
		.amdhsa_fp16_overflow 0
		.amdhsa_tg_split 0
		.amdhsa_exception_fp_ieee_invalid_op 0
		.amdhsa_exception_fp_denorm_src 0
		.amdhsa_exception_fp_ieee_div_zero 0
		.amdhsa_exception_fp_ieee_overflow 0
		.amdhsa_exception_fp_ieee_underflow 0
		.amdhsa_exception_fp_ieee_inexact 0
		.amdhsa_exception_int_div_zero 0
	.end_amdhsa_kernel
	.section	.text._ZN4vllm31rms_norm_per_block_quant_kernelIN3c104HalfEaLb1ELb0ELi64EEEvPT0_PfPKT_S8_PKffiiPS6_l,"axG",@progbits,_ZN4vllm31rms_norm_per_block_quant_kernelIN3c104HalfEaLb1ELb0ELi64EEEvPT0_PfPKT_S8_PKffiiPS6_l,comdat
.Lfunc_end59:
	.size	_ZN4vllm31rms_norm_per_block_quant_kernelIN3c104HalfEaLb1ELb0ELi64EEEvPT0_PfPKT_S8_PKffiiPS6_l, .Lfunc_end59-_ZN4vllm31rms_norm_per_block_quant_kernelIN3c104HalfEaLb1ELb0ELi64EEEvPT0_PfPKT_S8_PKffiiPS6_l
                                        ; -- End function
	.section	.AMDGPU.csdata,"",@progbits
; Kernel info:
; codeLenInByte = 7012
; NumSgprs: 52
; NumVgprs: 40
; NumAgprs: 0
; TotalNumVgprs: 40
; ScratchSize: 0
; MemoryBound: 0
; FloatMode: 240
; IeeeMode: 1
; LDSByteSize: 4164 bytes/workgroup (compile time only)
; SGPRBlocks: 6
; VGPRBlocks: 4
; NumSGPRsForWavesPerEU: 52
; NumVGPRsForWavesPerEU: 40
; AccumOffset: 40
; Occupancy: 8
; WaveLimiterHint : 0
; COMPUTE_PGM_RSRC2:SCRATCH_EN: 0
; COMPUTE_PGM_RSRC2:USER_SGPR: 6
; COMPUTE_PGM_RSRC2:TRAP_HANDLER: 0
; COMPUTE_PGM_RSRC2:TGID_X_EN: 1
; COMPUTE_PGM_RSRC2:TGID_Y_EN: 0
; COMPUTE_PGM_RSRC2:TGID_Z_EN: 0
; COMPUTE_PGM_RSRC2:TIDIG_COMP_CNT: 0
; COMPUTE_PGM_RSRC3_GFX90A:ACCUM_OFFSET: 9
; COMPUTE_PGM_RSRC3_GFX90A:TG_SPLIT: 0
	.section	.text._ZN4vllm31rms_norm_per_block_quant_kernelIN3c104HalfENS1_13Float8_e4m3fnELb0ELb1ELi64EEEvPT0_PfPKT_S9_PKffiiPS7_l,"axG",@progbits,_ZN4vllm31rms_norm_per_block_quant_kernelIN3c104HalfENS1_13Float8_e4m3fnELb0ELb1ELi64EEEvPT0_PfPKT_S9_PKffiiPS7_l,comdat
	.protected	_ZN4vllm31rms_norm_per_block_quant_kernelIN3c104HalfENS1_13Float8_e4m3fnELb0ELb1ELi64EEEvPT0_PfPKT_S9_PKffiiPS7_l ; -- Begin function _ZN4vllm31rms_norm_per_block_quant_kernelIN3c104HalfENS1_13Float8_e4m3fnELb0ELb1ELi64EEEvPT0_PfPKT_S9_PKffiiPS7_l
	.globl	_ZN4vllm31rms_norm_per_block_quant_kernelIN3c104HalfENS1_13Float8_e4m3fnELb0ELb1ELi64EEEvPT0_PfPKT_S9_PKffiiPS7_l
	.p2align	8
	.type	_ZN4vllm31rms_norm_per_block_quant_kernelIN3c104HalfENS1_13Float8_e4m3fnELb0ELb1ELi64EEEvPT0_PfPKT_S9_PKffiiPS7_l,@function
_ZN4vllm31rms_norm_per_block_quant_kernelIN3c104HalfENS1_13Float8_e4m3fnELb0ELb1ELi64EEEvPT0_PfPKT_S9_PKffiiPS7_l: ; @_ZN4vllm31rms_norm_per_block_quant_kernelIN3c104HalfENS1_13Float8_e4m3fnELb0ELb1ELi64EEEvPT0_PfPKT_S9_PKffiiPS7_l
; %bb.0:
	s_load_dwordx4 s[16:19], s[4:5], 0x28
	s_load_dwordx8 s[8:15], s[4:5], 0x0
	s_load_dword s45, s[4:5], 0x48
	s_mov_b32 s7, 0
	v_mov_b32_e32 v1, 0
	s_waitcnt lgkmcnt(0)
	s_ashr_i32 s0, s18, 31
	s_mul_hi_u32 s1, s18, s6
	s_mul_i32 s0, s0, s6
	s_add_i32 s1, s1, s0
	s_mul_i32 s0, s18, s6
	s_lshl_b64 s[0:1], s[0:1], 1
	s_add_u32 s33, s12, s0
	s_addc_u32 s44, s13, s1
	s_ashr_i32 s12, s17, 2
	s_add_u32 s18, s4, 0x48
	s_mov_b32 s20, s17
	v_cmp_gt_u32_e64 s[0:1], s12, v0
	s_addc_u32 s19, s5, 0
	s_and_saveexec_b64 s[2:3], s[0:1]
	s_cbranch_execz .LBB60_10
; %bb.1:
	s_cmp_lt_u32 s6, s45
	s_cselect_b32 s13, 12, 18
	s_add_u32 s22, s18, s13
	s_addc_u32 s23, s19, 0
	v_mov_b32_e32 v3, 0
	global_load_ushort v8, v3, s[22:23]
	s_mov_b64 s[22:23], 0
	v_mov_b32_e32 v9, s44
	v_mov_b32_e32 v2, v0
                                        ; implicit-def: $sgpr24_sgpr25
	s_waitcnt vmcnt(0)
	v_add_u32_e32 v1, v8, v8
	v_mul_lo_u32 v10, v8, 3
	v_lshlrev_b32_e32 v11, 1, v8
	v_add_u32_e32 v12, v1, v8
	v_mov_b32_e32 v1, v3
	s_branch .LBB60_5
.LBB60_2:                               ;   in Loop: Header=BB60_5 Depth=1
	s_or_b64 exec, exec, s[30:31]
	s_orn2_b64 s[30:31], s[34:35], exec
.LBB60_3:                               ;   in Loop: Header=BB60_5 Depth=1
	s_or_b64 exec, exec, s[28:29]
	s_andn2_b64 s[24:25], s[24:25], exec
	s_and_b64 s[28:29], s[30:31], exec
	s_or_b64 s[24:25], s[24:25], s[28:29]
.LBB60_4:                               ;   in Loop: Header=BB60_5 Depth=1
	s_or_b64 exec, exec, s[26:27]
	s_and_b64 s[26:27], exec, s[24:25]
	s_or_b64 s[22:23], s[26:27], s[22:23]
	s_andn2_b64 exec, exec, s[22:23]
	s_cbranch_execz .LBB60_9
.LBB60_5:                               ; =>This Inner Loop Header: Depth=1
	v_lshlrev_b64 v[4:5], 3, v[2:3]
	v_add_co_u32_e32 v4, vcc, s33, v4
	v_addc_co_u32_e32 v5, vcc, v9, v5, vcc
	global_load_dwordx2 v[6:7], v[4:5], off
	v_add_u32_e32 v4, v2, v8
	v_cmp_gt_u32_e32 vcc, s12, v4
	s_or_b64 s[24:25], s[24:25], exec
	s_waitcnt vmcnt(0)
	v_fma_mix_f32 v1, v6, v6, v1 op_sel_hi:[1,1,0]
	v_fma_mix_f32 v1, v6, v6, v1 op_sel:[1,1,0] op_sel_hi:[1,1,0]
	v_fma_mix_f32 v1, v7, v7, v1 op_sel_hi:[1,1,0]
	v_fma_mix_f32 v1, v7, v7, v1 op_sel:[1,1,0] op_sel_hi:[1,1,0]
	s_and_saveexec_b64 s[26:27], vcc
	s_cbranch_execz .LBB60_4
; %bb.6:                                ;   in Loop: Header=BB60_5 Depth=1
	v_mov_b32_e32 v5, v3
	v_lshlrev_b64 v[6:7], 3, v[4:5]
	v_add_co_u32_e32 v6, vcc, s33, v6
	v_addc_co_u32_e32 v7, vcc, v9, v7, vcc
	global_load_dwordx2 v[14:15], v[6:7], off
	v_add_u32_e32 v6, v11, v2
	v_cmp_gt_u32_e32 vcc, s12, v6
	s_mov_b64 s[30:31], -1
	s_waitcnt vmcnt(0)
	v_fma_mix_f32 v1, v14, v14, v1 op_sel_hi:[1,1,0]
	v_fma_mix_f32 v1, v14, v14, v1 op_sel:[1,1,0] op_sel_hi:[1,1,0]
	v_fma_mix_f32 v1, v15, v15, v1 op_sel_hi:[1,1,0]
	v_fma_mix_f32 v1, v15, v15, v1 op_sel:[1,1,0] op_sel_hi:[1,1,0]
	s_and_saveexec_b64 s[28:29], vcc
	s_cbranch_execz .LBB60_3
; %bb.7:                                ;   in Loop: Header=BB60_5 Depth=1
	v_mov_b32_e32 v7, v3
	v_lshlrev_b64 v[6:7], 3, v[6:7]
	v_add_co_u32_e32 v6, vcc, s33, v6
	v_addc_co_u32_e32 v7, vcc, v9, v7, vcc
	global_load_dwordx2 v[6:7], v[6:7], off
	v_add_u32_e32 v2, v10, v2
	v_cmp_gt_u32_e32 vcc, s12, v2
	s_mov_b64 s[34:35], -1
	s_waitcnt vmcnt(0)
	v_fma_mix_f32 v1, v6, v6, v1 op_sel_hi:[1,1,0]
	v_fma_mix_f32 v1, v6, v6, v1 op_sel:[1,1,0] op_sel_hi:[1,1,0]
	v_fma_mix_f32 v1, v7, v7, v1 op_sel_hi:[1,1,0]
	v_fma_mix_f32 v1, v7, v7, v1 op_sel:[1,1,0] op_sel_hi:[1,1,0]
	s_and_saveexec_b64 s[30:31], vcc
	s_xor_b64 s[30:31], exec, s[30:31]
	s_cbranch_execz .LBB60_2
; %bb.8:                                ;   in Loop: Header=BB60_5 Depth=1
	v_lshlrev_b64 v[6:7], 3, v[2:3]
	v_add_co_u32_e32 v6, vcc, s33, v6
	v_addc_co_u32_e32 v7, vcc, v9, v7, vcc
	global_load_dwordx2 v[6:7], v[6:7], off
	v_add_u32_e32 v2, v12, v4
	v_cmp_le_u32_e32 vcc, s12, v2
	s_orn2_b64 s[34:35], vcc, exec
	s_waitcnt vmcnt(0)
	v_fma_mix_f32 v1, v6, v6, v1 op_sel_hi:[1,1,0]
	v_fma_mix_f32 v1, v6, v6, v1 op_sel:[1,1,0] op_sel_hi:[1,1,0]
	v_fma_mix_f32 v1, v7, v7, v1 op_sel_hi:[1,1,0]
	v_fma_mix_f32 v1, v7, v7, v1 op_sel:[1,1,0] op_sel_hi:[1,1,0]
	s_branch .LBB60_2
.LBB60_9:
	s_or_b64 exec, exec, s[22:23]
.LBB60_10:
	s_or_b64 exec, exec, s[2:3]
	v_mbcnt_lo_u32_b32 v2, -1, 0
	v_mbcnt_hi_u32_b32 v2, -1, v2
	v_and_b32_e32 v3, 63, v2
	v_cmp_ne_u32_e32 vcc, 63, v3
	s_load_dword s2, s[18:19], 0xc
	v_addc_co_u32_e32 v4, vcc, 0, v2, vcc
	v_lshlrev_b32_e32 v4, 2, v4
	ds_bpermute_b32 v4, v4, v1
	s_waitcnt lgkmcnt(0)
	s_and_b32 s13, s2, 0xffff
	v_and_b32_e32 v5, 0x3c0, v0
	v_sub_u32_e64 v5, s13, v5 clamp
	v_add_u32_e32 v6, 1, v2
	v_add_f32_e32 v4, v1, v4
	v_cmp_lt_u32_e32 vcc, v6, v5
	v_cndmask_b32_e32 v1, v1, v4, vcc
	v_cmp_gt_u32_e32 vcc, 62, v3
	v_cndmask_b32_e64 v4, 0, 1, vcc
	v_lshlrev_b32_e32 v4, 1, v4
	v_add_lshl_u32 v4, v4, v2, 2
	ds_bpermute_b32 v4, v4, v1
	v_add_u32_e32 v6, 2, v2
	v_cmp_lt_u32_e32 vcc, v6, v5
	v_add_u32_e32 v6, 4, v2
	s_waitcnt lgkmcnt(0)
	v_add_f32_e32 v4, v1, v4
	v_cndmask_b32_e32 v1, v1, v4, vcc
	v_cmp_gt_u32_e32 vcc, 60, v3
	v_cndmask_b32_e64 v4, 0, 1, vcc
	v_lshlrev_b32_e32 v4, 2, v4
	v_add_lshl_u32 v4, v4, v2, 2
	ds_bpermute_b32 v4, v4, v1
	v_cmp_lt_u32_e32 vcc, v6, v5
	v_add_u32_e32 v6, 8, v2
	s_waitcnt lgkmcnt(0)
	v_add_f32_e32 v4, v1, v4
	v_cndmask_b32_e32 v1, v1, v4, vcc
	v_cmp_gt_u32_e32 vcc, 56, v3
	v_cndmask_b32_e64 v4, 0, 1, vcc
	v_lshlrev_b32_e32 v4, 3, v4
	v_add_lshl_u32 v4, v4, v2, 2
	ds_bpermute_b32 v4, v4, v1
	;; [unrolled: 10-line block ×3, first 2 shown]
	v_cmp_lt_u32_e32 vcc, v6, v5
	s_waitcnt lgkmcnt(0)
	v_add_f32_e32 v4, v1, v4
	v_cndmask_b32_e32 v1, v1, v4, vcc
	v_cmp_gt_u32_e32 vcc, 32, v3
	v_cndmask_b32_e64 v3, 0, 1, vcc
	v_lshlrev_b32_e32 v3, 5, v3
	v_add_lshl_u32 v3, v3, v2, 2
	ds_bpermute_b32 v3, v3, v1
	v_add_u32_e32 v4, 32, v2
	v_cmp_lt_u32_e32 vcc, v4, v5
	s_waitcnt lgkmcnt(0)
	v_add_f32_e32 v3, v1, v3
	v_cndmask_b32_e32 v1, v1, v3, vcc
	v_cmp_eq_u32_e32 vcc, 0, v2
	s_and_saveexec_b64 s[2:3], vcc
	s_cbranch_execz .LBB60_12
; %bb.11:
	v_lshrrev_b32_e32 v3, 4, v0
	v_and_b32_e32 v3, 60, v3
	ds_write_b32 v3, v1 offset:4096
.LBB60_12:
	s_or_b64 exec, exec, s[2:3]
	v_cmp_gt_u32_e32 vcc, 16, v0
	s_waitcnt lgkmcnt(0)
	s_barrier
	s_and_saveexec_b64 s[22:23], vcc
	s_cbranch_execz .LBB60_14
; %bb.13:
	v_lshlrev_b32_e32 v1, 2, v2
	ds_read_b32 v1, v1 offset:4096
	v_and_b32_e32 v3, 15, v2
	v_cmp_ne_u32_e32 vcc, 15, v3
	v_addc_co_u32_e32 v4, vcc, 0, v2, vcc
	v_lshlrev_b32_e32 v4, 2, v4
	s_waitcnt lgkmcnt(0)
	ds_bpermute_b32 v4, v4, v1
	s_add_i32 s13, s13, 63
	s_lshr_b32 s13, s13, 6
	v_add_u32_e32 v5, 1, v3
	v_cmp_gt_u32_e64 s[2:3], 14, v3
	v_cmp_gt_u32_e32 vcc, s13, v5
	v_cndmask_b32_e64 v5, 0, 1, s[2:3]
	s_waitcnt lgkmcnt(0)
	v_add_f32_e32 v4, v1, v4
	v_lshlrev_b32_e32 v5, 1, v5
	v_cndmask_b32_e32 v4, v1, v4, vcc
	v_add_lshl_u32 v5, v5, v2, 2
	ds_bpermute_b32 v5, v5, v4
	v_add_u32_e32 v6, 2, v3
	v_cmp_gt_u32_e64 s[2:3], s13, v6
	v_add_u32_e32 v6, 4, v3
	s_waitcnt lgkmcnt(0)
	v_add_f32_e32 v5, v4, v5
	v_cndmask_b32_e64 v4, v4, v5, s[2:3]
	v_cmp_gt_u32_e64 s[2:3], 12, v3
	v_cndmask_b32_e64 v5, 0, 1, s[2:3]
	v_lshlrev_b32_e32 v5, 2, v5
	v_add_lshl_u32 v5, v5, v2, 2
	ds_bpermute_b32 v5, v5, v4
	v_cmp_gt_u32_e64 s[2:3], s13, v6
	s_waitcnt lgkmcnt(0)
	v_add_f32_e32 v5, v4, v5
	v_cndmask_b32_e64 v4, v4, v5, s[2:3]
	v_cmp_gt_u32_e64 s[2:3], 8, v3
	v_cndmask_b32_e64 v5, 0, 1, s[2:3]
	v_lshlrev_b32_e32 v5, 3, v5
	v_add_lshl_u32 v2, v5, v2, 2
	ds_bpermute_b32 v2, v2, v4
	v_add_u32_e32 v3, 8, v3
	v_cmp_gt_u32_e64 s[2:3], s13, v3
	s_waitcnt lgkmcnt(0)
	v_add_f32_e32 v2, v4, v2
	v_cndmask_b32_e64 v2, v4, v2, s[2:3]
	v_cndmask_b32_e32 v1, v1, v2, vcc
.LBB60_14:
	s_or_b64 exec, exec, s[22:23]
	v_cmp_eq_u32_e32 vcc, 0, v0
	s_and_saveexec_b64 s[2:3], vcc
	s_cbranch_execz .LBB60_16
; %bb.15:
	v_cvt_f32_i32_e32 v2, s17
	s_mov_b32 s13, 0x800000
	v_div_scale_f32 v3, s[22:23], v2, v2, v1
	v_rcp_f32_e32 v4, v3
	v_div_scale_f32 v5, vcc, v1, v2, v1
	v_fma_f32 v6, -v3, v4, 1.0
	v_fmac_f32_e32 v4, v6, v4
	v_mul_f32_e32 v6, v5, v4
	v_fma_f32 v7, -v3, v6, v5
	v_fmac_f32_e32 v6, v7, v4
	v_fma_f32 v3, -v3, v6, v5
	v_div_fmas_f32 v3, v3, v4, v6
	v_div_fixup_f32 v1, v3, v2, v1
	v_add_f32_e32 v1, s16, v1
	v_mul_f32_e32 v2, 0x4b800000, v1
	v_cmp_gt_f32_e32 vcc, s13, v1
	v_cndmask_b32_e32 v1, v1, v2, vcc
	v_rsq_f32_e32 v1, v1
	v_mul_f32_e32 v2, 0x45800000, v1
	v_cndmask_b32_e32 v1, v1, v2, vcc
	v_mov_b32_e32 v2, 0
	ds_write_b32 v2, v1 offset:4160
.LBB60_16:
	s_or_b64 exec, exec, s[2:3]
	s_ashr_i32 s21, s17, 31
	s_lshr_b32 s2, s21, 26
	s_add_i32 s3, s17, s2
	s_ashr_i32 s2, s3, 6
	s_cmp_lt_u32 s6, s45
	s_cselect_b32 s13, 12, 18
	s_add_u32 s18, s18, s13
	v_mov_b32_e32 v5, 0
	s_addc_u32 s19, s19, 0
	s_waitcnt lgkmcnt(0)
	s_barrier
	global_load_ushort v1, v5, s[18:19]
	ds_read_b32 v36, v5 offset:4160
	s_abs_i32 s13, s2
	v_cvt_f32_u32_e32 v2, s13
	s_sub_i32 s16, 0, s13
	s_ashr_i32 s3, s3, 31
	v_mov_b32_e32 v10, s12
	v_rcp_iflag_f32_e32 v2, v2
	v_mul_f32_e32 v2, 0x4f7ffffe, v2
	v_cvt_u32_f32_e32 v2, v2
	v_readfirstlane_b32 s18, v2
	s_mul_i32 s16, s16, s18
	s_mul_hi_u32 s16, s18, s16
	s_add_i32 s18, s18, s16
	s_waitcnt vmcnt(0)
	v_readfirstlane_b32 s16, v1
	s_mul_hi_u32 s18, s16, s18
	s_mul_i32 s19, s18, s13
	s_sub_i32 s19, s16, s19
	s_add_i32 s22, s18, 1
	s_sub_i32 s23, s19, s13
	s_cmp_ge_u32 s19, s13
	s_cselect_b32 s18, s22, s18
	s_cselect_b32 s19, s23, s19
	s_add_i32 s22, s18, 1
	s_cmp_ge_u32 s19, s13
	s_cselect_b32 s13, s22, s18
	s_xor_b32 s13, s13, s3
	s_sub_i32 s18, s13, s3
	s_abs_i32 s3, s18
	v_cvt_f32_u32_e32 v1, s3
	s_sub_i32 s22, 0, s3
	s_ashr_i32 s19, s18, 31
	s_ashr_i32 s13, s12, 31
	v_rcp_iflag_f32_e32 v1, v1
	v_mov_b32_e32 v11, s13
	v_mul_f32_e32 v1, 0x4f7ffffe, v1
	v_cvt_u32_f32_e32 v1, v1
	v_mul_lo_u32 v2, s22, v1
	v_mul_hi_u32 v2, v1, v2
	v_add_u32_e32 v1, v1, v2
	v_mul_hi_u32 v1, v0, v1
	v_mul_lo_u32 v2, v1, s3
	v_sub_u32_e32 v2, v0, v2
	v_add_u32_e32 v3, 1, v1
	v_cmp_le_u32_e32 vcc, s3, v2
	v_cndmask_b32_e32 v1, v1, v3, vcc
	v_subrev_u32_e32 v3, s3, v2
	v_cndmask_b32_e32 v2, v2, v3, vcc
	v_add_u32_e32 v3, 1, v1
	v_cmp_le_u32_e32 vcc, s3, v2
	v_cndmask_b32_e32 v1, v1, v3, vcc
	v_xor_b32_e32 v1, s19, v1
	v_subrev_u32_e32 v2, s19, v1
	v_mul_lo_u32 v1, v2, s18
	v_ashrrev_i32_e32 v3, 31, v2
	v_sub_u32_e32 v4, v0, v1
	v_lshlrev_b64 v[8:9], 4, v[2:3]
	v_add_co_u32_e32 v6, vcc, v8, v4
	v_addc_co_u32_e32 v7, vcc, 0, v9, vcc
	v_add_co_u32_e32 v8, vcc, 16, v8
	v_addc_co_u32_e32 v9, vcc, 0, v9, vcc
	v_cmp_gt_i64_e32 vcc, s[12:13], v[8:9]
	v_cndmask_b32_e32 v8, v10, v8, vcc
	v_cndmask_b32_e32 v9, v11, v9, vcc
	v_ashrrev_i32_e32 v11, 31, v8
	v_mov_b32_e32 v10, v8
	v_cmp_lt_i64_e32 vcc, v[6:7], v[10:11]
	s_and_saveexec_b64 s[22:23], vcc
	s_cbranch_execz .LBB60_26
; %bb.17:
	v_lshlrev_b64 v[12:13], 7, v[2:3]
	v_lshlrev_b64 v[14:15], 3, v[4:5]
	v_add_co_u32_e32 v12, vcc, v12, v14
	v_addc_co_u32_e32 v1, vcc, v13, v15, vcc
	s_lshl_b64 s[24:25], s[18:19], 5
	s_mul_hi_i32 s3, s18, 3
	s_mul_i32 s13, s18, 3
	s_lshl_b64 s[26:27], s[18:19], 1
	s_lshl_b64 s[30:31], s[18:19], 3
	s_mov_b64 s[28:29], 0
	v_mov_b32_e32 v5, 0
	v_mov_b32_e32 v13, s44
	;; [unrolled: 1-line block ×4, first 2 shown]
	v_pk_mov_b32 v[14:15], v[6:7], v[6:7] op_sel:[0,1]
                                        ; implicit-def: $sgpr34_sgpr35
	s_branch .LBB60_21
.LBB60_18:                              ;   in Loop: Header=BB60_21 Depth=1
	s_or_b64 exec, exec, s[40:41]
	s_orn2_b64 s[40:41], s[42:43], exec
.LBB60_19:                              ;   in Loop: Header=BB60_21 Depth=1
	s_or_b64 exec, exec, s[38:39]
	s_andn2_b64 s[34:35], s[34:35], exec
	s_and_b64 s[38:39], s[40:41], exec
	s_or_b64 s[34:35], s[34:35], s[38:39]
.LBB60_20:                              ;   in Loop: Header=BB60_21 Depth=1
	s_or_b64 exec, exec, s[36:37]
	s_and_b64 s[36:37], exec, s[34:35]
	s_or_b64 s[28:29], s[36:37], s[28:29]
	s_andn2_b64 exec, exec, s[28:29]
	s_cbranch_execz .LBB60_25
.LBB60_21:                              ; =>This Inner Loop Header: Depth=1
	v_add_co_u32_e32 v18, vcc, s33, v12
	v_addc_co_u32_e32 v19, vcc, v13, v1, vcc
	v_add_co_u32_e32 v20, vcc, s14, v12
	global_load_dwordx2 v[16:17], v[18:19], off
	v_addc_co_u32_e32 v21, vcc, v22, v1, vcc
	global_load_dwordx2 v[24:25], v[20:21], off
	s_or_b64 s[34:35], s[34:35], exec
	s_waitcnt vmcnt(1) lgkmcnt(0)
	v_fma_mixlo_f16 v26, v36, v16, 0 op_sel_hi:[0,1,0]
	v_fma_mixlo_f16 v16, v36, v16, 0 op_sel:[0,1,0] op_sel_hi:[0,1,0]
	v_fma_mixlo_f16 v27, v36, v17, 0 op_sel_hi:[0,1,0]
	v_fma_mixlo_f16 v17, v36, v17, 0 op_sel:[0,1,0] op_sel_hi:[0,1,0]
	s_waitcnt vmcnt(0)
	v_mul_f16_e32 v26, v24, v26
	v_mul_f16_sdwa v16, v24, v16 dst_sel:DWORD dst_unused:UNUSED_PAD src0_sel:WORD_1 src1_sel:DWORD
	v_mul_f16_e32 v24, v25, v27
	v_mul_f16_sdwa v17, v25, v17 dst_sel:DWORD dst_unused:UNUSED_PAD src0_sel:WORD_1 src1_sel:DWORD
	v_cvt_f32_f16_e64 v25, |v26|
	v_cvt_f32_f16_e64 v26, |v16|
	;; [unrolled: 1-line block ×4, first 2 shown]
	v_add_co_u32_e32 v16, vcc, s18, v14
	v_addc_co_u32_e32 v17, vcc, v15, v23, vcc
	v_max3_f32 v5, v5, v25, v26
	v_cmp_lt_i64_e32 vcc, v[16:17], v[10:11]
	v_max3_f32 v5, v5, v24, v27
	s_and_saveexec_b64 s[36:37], vcc
	s_cbranch_execz .LBB60_20
; %bb.22:                               ;   in Loop: Header=BB60_21 Depth=1
	v_mov_b32_e32 v26, s31
	v_add_co_u32_e32 v18, vcc, s30, v18
	v_addc_co_u32_e32 v19, vcc, v19, v26, vcc
	v_add_co_u32_e32 v20, vcc, s30, v20
	global_load_dwordx2 v[24:25], v[18:19], off
	v_addc_co_u32_e32 v21, vcc, v21, v26, vcc
	global_load_dwordx2 v[26:27], v[20:21], off
	v_mov_b32_e32 v28, s27
	s_mov_b64 s[40:41], -1
	s_waitcnt vmcnt(1)
	v_fma_mixlo_f16 v29, v36, v24, 0 op_sel_hi:[0,1,0]
	v_fma_mixlo_f16 v24, v36, v24, 0 op_sel:[0,1,0] op_sel_hi:[0,1,0]
	v_fma_mixlo_f16 v30, v36, v25, 0 op_sel_hi:[0,1,0]
	v_fma_mixlo_f16 v25, v36, v25, 0 op_sel:[0,1,0] op_sel_hi:[0,1,0]
	s_waitcnt vmcnt(0)
	v_mul_f16_e32 v29, v26, v29
	v_mul_f16_sdwa v24, v26, v24 dst_sel:DWORD dst_unused:UNUSED_PAD src0_sel:WORD_1 src1_sel:DWORD
	v_mul_f16_e32 v26, v27, v30
	v_mul_f16_sdwa v25, v27, v25 dst_sel:DWORD dst_unused:UNUSED_PAD src0_sel:WORD_1 src1_sel:DWORD
	v_cvt_f32_f16_e64 v27, |v29|
	v_cvt_f32_f16_e64 v29, |v24|
	v_cvt_f32_f16_e64 v26, |v26|
	v_cvt_f32_f16_e64 v30, |v25|
	v_add_co_u32_e32 v24, vcc, s26, v14
	v_addc_co_u32_e32 v25, vcc, v28, v15, vcc
	v_max3_f32 v5, v5, v27, v29
	v_cmp_lt_i64_e32 vcc, v[24:25], v[10:11]
	v_max3_f32 v5, v5, v26, v30
	s_and_saveexec_b64 s[38:39], vcc
	s_cbranch_execz .LBB60_19
; %bb.23:                               ;   in Loop: Header=BB60_21 Depth=1
	v_mov_b32_e32 v26, s31
	v_add_co_u32_e32 v18, vcc, s30, v18
	v_addc_co_u32_e32 v19, vcc, v19, v26, vcc
	v_add_co_u32_e32 v20, vcc, s30, v20
	global_load_dwordx2 v[24:25], v[18:19], off
	v_addc_co_u32_e32 v21, vcc, v21, v26, vcc
	global_load_dwordx2 v[26:27], v[20:21], off
	v_mov_b32_e32 v28, s3
	v_add_co_u32_e32 v14, vcc, s13, v14
	v_addc_co_u32_e32 v15, vcc, v28, v15, vcc
	v_cmp_lt_i64_e32 vcc, v[14:15], v[10:11]
	s_mov_b64 s[42:43], -1
                                        ; implicit-def: $vgpr14_vgpr15
	s_waitcnt vmcnt(1)
	v_fma_mixlo_f16 v29, v36, v24, 0 op_sel_hi:[0,1,0]
	v_fma_mixlo_f16 v24, v36, v24, 0 op_sel:[0,1,0] op_sel_hi:[0,1,0]
	v_fma_mixlo_f16 v30, v36, v25, 0 op_sel_hi:[0,1,0]
	v_fma_mixlo_f16 v25, v36, v25, 0 op_sel:[0,1,0] op_sel_hi:[0,1,0]
	s_waitcnt vmcnt(0)
	v_mul_f16_e32 v29, v26, v29
	v_mul_f16_sdwa v24, v26, v24 dst_sel:DWORD dst_unused:UNUSED_PAD src0_sel:WORD_1 src1_sel:DWORD
	v_mul_f16_e32 v26, v27, v30
	v_mul_f16_sdwa v25, v27, v25 dst_sel:DWORD dst_unused:UNUSED_PAD src0_sel:WORD_1 src1_sel:DWORD
	v_cvt_f32_f16_e64 v27, |v29|
	v_cvt_f32_f16_e64 v24, |v24|
	v_cvt_f32_f16_e64 v26, |v26|
	v_cvt_f32_f16_e64 v25, |v25|
	v_max3_f32 v5, v5, v27, v24
	v_max3_f32 v5, v5, v26, v25
	s_and_saveexec_b64 s[40:41], vcc
	s_xor_b64 s[40:41], exec, s[40:41]
	s_cbranch_execz .LBB60_18
; %bb.24:                               ;   in Loop: Header=BB60_21 Depth=1
	v_mov_b32_e32 v24, s31
	v_add_co_u32_e32 v14, vcc, s30, v18
	v_addc_co_u32_e32 v15, vcc, v19, v24, vcc
	v_add_co_u32_e32 v18, vcc, s30, v20
	global_load_dwordx2 v[14:15], v[14:15], off
	v_addc_co_u32_e32 v19, vcc, v21, v24, vcc
	global_load_dwordx2 v[18:19], v[18:19], off
	s_add_u32 s42, s18, s18
	s_addc_u32 s43, s19, s19
	v_mov_b32_e32 v20, s25
	v_add_co_u32_e32 v12, vcc, s24, v12
	s_add_u32 s42, s42, s18
	v_addc_co_u32_e32 v1, vcc, v1, v20, vcc
	s_addc_u32 s43, s43, s19
	v_mov_b32_e32 v20, s43
	s_waitcnt vmcnt(1)
	v_fma_mixlo_f16 v21, v36, v14, 0 op_sel_hi:[0,1,0]
	v_fma_mixlo_f16 v14, v36, v14, 0 op_sel:[0,1,0] op_sel_hi:[0,1,0]
	v_fma_mixlo_f16 v24, v36, v15, 0 op_sel_hi:[0,1,0]
	v_fma_mixlo_f16 v15, v36, v15, 0 op_sel:[0,1,0] op_sel_hi:[0,1,0]
	s_waitcnt vmcnt(0)
	v_mul_f16_e32 v21, v18, v21
	v_mul_f16_sdwa v14, v18, v14 dst_sel:DWORD dst_unused:UNUSED_PAD src0_sel:WORD_1 src1_sel:DWORD
	v_mul_f16_e32 v18, v19, v24
	v_mul_f16_sdwa v15, v19, v15 dst_sel:DWORD dst_unused:UNUSED_PAD src0_sel:WORD_1 src1_sel:DWORD
	v_cvt_f32_f16_e64 v19, |v21|
	v_cvt_f32_f16_e64 v21, |v14|
	;; [unrolled: 1-line block ×4, first 2 shown]
	v_add_co_u32_e32 v14, vcc, s42, v16
	v_addc_co_u32_e32 v15, vcc, v20, v17, vcc
	v_cmp_ge_i64_e32 vcc, v[14:15], v[10:11]
	v_max3_f32 v5, v5, v19, v21
	v_max3_f32 v5, v5, v18, v24
	s_orn2_b64 s[42:43], vcc, exec
	s_branch .LBB60_18
.LBB60_25:
	s_or_b64 exec, exec, s[28:29]
.LBB60_26:
	s_or_b64 exec, exec, s[22:23]
	s_lshr_b32 s13, s16, 6
	v_cvt_f32_u32_e32 v10, s13
	v_lshlrev_b32_e32 v1, 2, v0
	ds_write_b32 v1, v5
	s_sub_i32 s23, 0, s13
	v_rcp_iflag_f32_e32 v5, v10
	s_add_i32 s3, s2, s13
	s_add_i32 s3, s3, -1
	s_ashr_i32 s22, s3, 31
	v_mul_f32_e32 v5, 0x4f7ffffe, v5
	v_cvt_u32_f32_e32 v5, v5
	s_abs_i32 s3, s3
	s_waitcnt lgkmcnt(0)
	s_barrier
	v_readfirstlane_b32 s24, v5
	s_mul_i32 s23, s23, s24
	s_mul_hi_u32 s23, s24, s23
	s_add_i32 s24, s24, s23
	s_mul_hi_u32 s23, s3, s24
	s_mul_i32 s24, s23, s13
	s_sub_i32 s3, s3, s24
	s_add_i32 s24, s23, 1
	s_sub_i32 s25, s3, s13
	s_cmp_ge_u32 s3, s13
	s_cselect_b32 s23, s24, s23
	s_cselect_b32 s3, s25, s3
	s_add_i32 s24, s23, 1
	s_cmp_ge_u32 s3, s13
	s_cselect_b32 s3, s24, s23
	s_xor_b32 s3, s3, s22
	s_sub_i32 s22, s3, s22
	s_ashr_i32 s23, s22, 31
	v_cmp_lt_i64_e64 s[24:25], s[22:23], 1
	s_and_b64 vcc, exec, s[24:25]
	s_cbranch_vccnz .LBB60_48
; %bb.27:
	v_and_b32_e32 v12, 63, v0
	v_add_co_u32_e32 v14, vcc, 32, v12
	v_addc_co_u32_e64 v15, s[24:25], 0, 0, vcc
	v_add_co_u32_e32 v16, vcc, 16, v12
	v_addc_co_u32_e64 v17, s[24:25], 0, 0, vcc
	;; [unrolled: 2-line block ×4, first 2 shown]
	v_add_co_u32_e32 v22, vcc, 2, v12
	v_lshrrev_b32_e32 v10, 6, v0
	v_addc_co_u32_e64 v23, s[24:25], 0, 0, vcc
	v_add_co_u32_e32 v24, vcc, 1, v12
	v_addc_co_u32_e64 v25, s[24:25], 0, 0, vcc
	v_mul_lo_u32 v5, s18, v10
	v_lshlrev_b32_e32 v5, 2, v5
	v_lshlrev_b32_e32 v26, 2, v12
	s_movk_i32 s24, 0x100
	v_mov_b32_e32 v11, 0
	v_add3_u32 v5, v5, v26, s24
	s_mul_i32 s24, s18, s13
	s_ashr_i32 s3, s2, 31
	v_mov_b32_e32 v13, v11
	s_lshl_b32 s36, s24, 2
	s_mov_b64 s[24:25], 0
	v_mov_b32_e32 v37, s13
	s_mov_b64 s[26:27], src_shared_base
	s_branch .LBB60_30
.LBB60_28:                              ;   in Loop: Header=BB60_30 Depth=1
	s_or_b64 exec, exec, s[30:31]
	v_mov_b32_e32 v27, s27
	flat_load_dword v26, v[26:27] glc
	s_waitcnt vmcnt(0)
.LBB60_29:                              ;   in Loop: Header=BB60_30 Depth=1
	s_or_b64 exec, exec, s[28:29]
	s_add_u32 s24, s24, 1
	s_addc_u32 s25, s25, 0
	s_cmp_eq_u64 s[24:25], s[22:23]
	v_add_u32_e32 v5, s36, v5
	s_cbranch_scc1 .LBB60_48
.LBB60_30:                              ; =>This Loop Header: Depth=1
                                        ;     Child Loop BB60_33 Depth 2
	v_mad_u64_u32 v[30:31], s[28:29], s24, v37, v[10:11]
	s_mul_i32 s26, s25, s13
	v_add_u32_e32 v31, s26, v31
	v_cmp_gt_i64_e32 vcc, s[2:3], v[30:31]
	s_and_saveexec_b64 s[28:29], vcc
	s_cbranch_execz .LBB60_29
; %bb.31:                               ;   in Loop: Header=BB60_30 Depth=1
	v_pk_mov_b32 v[32:33], s[18:19], s[18:19] op_sel:[0,1]
	v_mul_lo_u32 v29, v31, s18
	v_mul_lo_u32 v38, v30, s19
	v_mad_u64_u32 v[32:33], s[30:31], v30, s18, v[32:33]
	v_add3_u32 v33, v29, v33, v38
	v_mov_b32_e32 v28, s21
	v_cmp_gt_i64_e32 vcc, s[20:21], v[32:33]
	s_waitcnt lgkmcnt(0)
	v_mad_u64_u32 v[26:27], s[30:31], v30, s18, v[12:13]
	v_cndmask_b32_e32 v33, v28, v33, vcc
	v_mov_b32_e32 v28, s17
	v_add3_u32 v27, v29, v27, v38
	v_cndmask_b32_e32 v32, v28, v32, vcc
	v_add_co_u32_e32 v34, vcc, 64, v26
	v_addc_co_u32_e32 v35, vcc, 0, v27, vcc
	v_cmp_lt_i64_e32 vcc, v[34:35], v[32:33]
	v_lshlrev_b32_e32 v28, 2, v26
	s_and_saveexec_b64 s[30:31], vcc
	s_cbranch_execz .LBB60_34
; %bb.32:                               ;   in Loop: Header=BB60_30 Depth=1
	ds_read_b32 v31, v28
	s_mov_b64 s[34:35], 0
	v_mov_b32_e32 v27, v5
.LBB60_33:                              ;   Parent Loop BB60_30 Depth=1
                                        ; =>  This Inner Loop Header: Depth=2
	ds_read_b32 v39, v27
	v_add_co_u32_e32 v34, vcc, 64, v34
	v_addc_co_u32_e32 v35, vcc, 0, v35, vcc
	s_waitcnt lgkmcnt(1)
	v_max_f32_e32 v31, v31, v31
	v_cmp_ge_i64_e32 vcc, v[34:35], v[32:33]
	s_waitcnt lgkmcnt(0)
	v_max_f32_e32 v39, v39, v39
	v_add_u32_e32 v27, 0x100, v27
	s_or_b64 s[34:35], vcc, s[34:35]
	v_max_f32_e32 v31, v31, v39
	ds_write_b32 v28, v31
	s_andn2_b64 exec, exec, s[34:35]
	s_cbranch_execnz .LBB60_33
.LBB60_34:                              ;   in Loop: Header=BB60_30 Depth=1
	s_or_b64 exec, exec, s[30:31]
	v_mad_u64_u32 v[30:31], s[30:31], v30, s18, 0
	v_add3_u32 v27, v31, v38, v29
	v_sub_co_u32_e32 v30, vcc, v32, v30
	v_subb_co_u32_e32 v31, vcc, v33, v27, vcc
	v_cmp_gt_i64_e32 vcc, 64, v[30:31]
	v_cndmask_b32_e32 v31, 0, v31, vcc
	v_cndmask_b32_e32 v30, 64, v30, vcc
	v_cmp_lt_i64_e32 vcc, v[14:15], v[30:31]
	s_and_saveexec_b64 s[30:31], vcc
	s_cbranch_execnz .LBB60_46
; %bb.35:                               ;   in Loop: Header=BB60_30 Depth=1
	s_or_b64 exec, exec, s[30:31]
	v_cmp_lt_i64_e32 vcc, v[16:17], v[30:31]
	s_and_saveexec_b64 s[30:31], vcc
	s_cbranch_execnz .LBB60_47
.LBB60_36:                              ;   in Loop: Header=BB60_30 Depth=1
	s_or_b64 exec, exec, s[30:31]
	v_cmp_lt_i64_e32 vcc, v[18:19], v[30:31]
	s_and_saveexec_b64 s[30:31], vcc
	s_cbranch_execz .LBB60_38
.LBB60_37:                              ;   in Loop: Header=BB60_30 Depth=1
	v_mov_b32_e32 v29, s27
	v_add_u32_e32 v32, 32, v28
	v_mov_b32_e32 v33, s27
	flat_load_dword v27, v[28:29] glc
	s_waitcnt vmcnt(0)
	flat_load_dword v34, v[32:33] glc
	s_waitcnt vmcnt(0) lgkmcnt(0)
	v_max_f32_e32 v27, v27, v27
	v_max_f32_e32 v32, v34, v34
	;; [unrolled: 1-line block ×3, first 2 shown]
	flat_store_dword v[28:29], v27
	s_waitcnt vmcnt(0)
.LBB60_38:                              ;   in Loop: Header=BB60_30 Depth=1
	s_or_b64 exec, exec, s[30:31]
	v_cmp_ge_i64_e32 vcc, v[20:21], v[30:31]
	s_and_saveexec_b64 s[30:31], vcc
	s_xor_b64 s[30:31], exec, s[30:31]
; %bb.39:                               ;   in Loop: Header=BB60_30 Depth=1
                                        ; implicit-def: $vgpr28
; %bb.40:                               ;   in Loop: Header=BB60_30 Depth=1
	s_andn2_saveexec_b64 s[30:31], s[30:31]
	s_cbranch_execz .LBB60_42
; %bb.41:                               ;   in Loop: Header=BB60_30 Depth=1
	v_mov_b32_e32 v29, s27
	v_add_u32_e32 v32, 16, v28
	v_mov_b32_e32 v33, s27
	flat_load_dword v27, v[28:29] glc
	s_waitcnt vmcnt(0)
	flat_load_dword v34, v[32:33] glc
	s_waitcnt vmcnt(0) lgkmcnt(0)
	v_max_f32_e32 v27, v27, v27
	v_max_f32_e32 v32, v34, v34
	;; [unrolled: 1-line block ×3, first 2 shown]
	flat_store_dword v[28:29], v27
	s_waitcnt vmcnt(0)
.LBB60_42:                              ;   in Loop: Header=BB60_30 Depth=1
	s_or_b64 exec, exec, s[30:31]
	v_cmp_lt_i64_e32 vcc, v[22:23], v[30:31]
	v_lshlrev_b32_e32 v26, 2, v26
	s_and_saveexec_b64 s[30:31], vcc
	s_cbranch_execz .LBB60_44
; %bb.43:                               ;   in Loop: Header=BB60_30 Depth=1
	v_mov_b32_e32 v27, s27
	v_add_u32_e32 v28, 8, v26
	v_mov_b32_e32 v29, s27
	flat_load_dword v32, v[26:27] glc
	s_waitcnt vmcnt(0)
	flat_load_dword v33, v[28:29] glc
	s_waitcnt vmcnt(0) lgkmcnt(0)
	v_max_f32_e32 v28, v32, v32
	v_max_f32_e32 v29, v33, v33
	;; [unrolled: 1-line block ×3, first 2 shown]
	flat_store_dword v[26:27], v28
	s_waitcnt vmcnt(0)
.LBB60_44:                              ;   in Loop: Header=BB60_30 Depth=1
	s_or_b64 exec, exec, s[30:31]
	v_cmp_lt_i64_e32 vcc, v[24:25], v[30:31]
	s_and_saveexec_b64 s[30:31], vcc
	s_cbranch_execz .LBB60_28
; %bb.45:                               ;   in Loop: Header=BB60_30 Depth=1
	v_mov_b32_e32 v27, s27
	v_add_u32_e32 v28, 4, v26
	v_mov_b32_e32 v29, s27
	flat_load_dword v30, v[26:27] glc
	s_waitcnt vmcnt(0)
	flat_load_dword v31, v[28:29] glc
	s_waitcnt vmcnt(0) lgkmcnt(0)
	v_max_f32_e32 v28, v30, v30
	v_max_f32_e32 v29, v31, v31
	;; [unrolled: 1-line block ×3, first 2 shown]
	flat_store_dword v[26:27], v28
	s_waitcnt vmcnt(0)
	s_branch .LBB60_28
.LBB60_46:                              ;   in Loop: Header=BB60_30 Depth=1
	v_mov_b32_e32 v29, s27
	v_add_u32_e32 v32, 0x80, v28
	v_mov_b32_e32 v33, s27
	flat_load_dword v27, v[28:29] glc
	s_waitcnt vmcnt(0)
	flat_load_dword v34, v[32:33] glc
	s_waitcnt vmcnt(0) lgkmcnt(0)
	v_max_f32_e32 v27, v27, v27
	v_max_f32_e32 v32, v34, v34
	v_max_f32_e32 v27, v27, v32
	flat_store_dword v[28:29], v27
	s_waitcnt vmcnt(0)
	s_or_b64 exec, exec, s[30:31]
	v_cmp_lt_i64_e32 vcc, v[16:17], v[30:31]
	s_and_saveexec_b64 s[30:31], vcc
	s_cbranch_execz .LBB60_36
.LBB60_47:                              ;   in Loop: Header=BB60_30 Depth=1
	v_mov_b32_e32 v29, s27
	v_add_u32_e32 v32, 64, v28
	v_mov_b32_e32 v33, s27
	flat_load_dword v27, v[28:29] glc
	s_waitcnt vmcnt(0)
	flat_load_dword v34, v[32:33] glc
	s_waitcnt vmcnt(0) lgkmcnt(0)
	v_max_f32_e32 v27, v27, v27
	v_max_f32_e32 v32, v34, v34
	;; [unrolled: 1-line block ×3, first 2 shown]
	flat_store_dword v[28:29], v27
	s_waitcnt vmcnt(0)
	s_or_b64 exec, exec, s[30:31]
	v_cmp_lt_i64_e32 vcc, v[18:19], v[30:31]
	s_and_saveexec_b64 s[30:31], vcc
	s_cbranch_execnz .LBB60_37
	s_branch .LBB60_38
.LBB60_48:
	s_load_dwordx2 s[18:19], s[4:5], 0x40
	v_cmp_eq_u32_e32 vcc, 0, v4
	v_cmp_lt_i64_e64 s[2:3], v[6:7], v[8:9]
	s_and_b64 s[2:3], vcc, s[2:3]
	s_waitcnt lgkmcnt(0)
	s_barrier
	s_and_saveexec_b64 s[22:23], s[2:3]
	s_cbranch_execz .LBB60_55
; %bb.49:
	s_load_dwordx2 s[2:3], s[4:5], 0x20
	ds_read_b32 v1, v1
	s_waitcnt lgkmcnt(0)
	s_cmp_eq_u64 s[2:3], 0
	s_cbranch_scc1 .LBB60_51
; %bb.50:
	s_load_dword s2, s[2:3], 0x0
	v_max_f32_e32 v1, v1, v1
	s_waitcnt lgkmcnt(0)
	v_max_f32_e64 v4, s2, s2
	v_min_f32_e32 v1, v1, v4
.LBB60_51:
	s_add_u32 s3, s18, s45
	s_addc_u32 s4, s19, 0
	s_add_u32 s24, s3, -1
	s_addc_u32 s25, s4, -1
	s_or_b64 s[4:5], s[24:25], s[18:19]
	s_mov_b32 s2, 0
	s_mov_b32 s3, s5
	s_cmp_lg_u64 s[2:3], 0
	s_mov_b64 s[26:27], -1
	s_cbranch_scc0 .LBB60_164
; %bb.52:
	s_ashr_i32 s2, s19, 31
	s_add_u32 s4, s18, s2
	s_mov_b32 s3, s2
	s_addc_u32 s5, s19, s2
	s_xor_b64 s[28:29], s[4:5], s[2:3]
	v_cvt_f32_u32_e32 v4, s28
	v_cvt_f32_u32_e32 v5, s29
	s_sub_u32 s2, 0, s28
	s_subb_u32 s3, 0, s29
	v_madmk_f32 v4, v5, 0x4f800000, v4
	v_rcp_f32_e32 v4, v4
	v_mul_f32_e32 v4, 0x5f7ffffc, v4
	v_mul_f32_e32 v5, 0x2f800000, v4
	v_trunc_f32_e32 v5, v5
	v_madmk_f32 v4, v5, 0xcf800000, v4
	v_cvt_u32_f32_e32 v5, v5
	v_cvt_u32_f32_e32 v4, v4
	v_readfirstlane_b32 s4, v5
	v_readfirstlane_b32 s5, v4
	s_mul_i32 s13, s2, s4
	s_mul_hi_u32 s30, s2, s5
	s_mul_i32 s20, s3, s5
	s_add_i32 s13, s30, s13
	s_add_i32 s13, s13, s20
	s_mul_i32 s31, s2, s5
	s_mul_hi_u32 s20, s5, s13
	s_mul_i32 s30, s5, s13
	s_mul_hi_u32 s5, s5, s31
	s_add_u32 s5, s5, s30
	s_addc_u32 s20, 0, s20
	s_mul_hi_u32 s34, s4, s31
	s_mul_i32 s31, s4, s31
	s_add_u32 s5, s5, s31
	s_mul_hi_u32 s30, s4, s13
	s_addc_u32 s5, s20, s34
	s_addc_u32 s20, s30, 0
	s_mul_i32 s13, s4, s13
	s_add_u32 s5, s5, s13
	s_addc_u32 s13, 0, s20
	v_add_co_u32_e32 v4, vcc, s5, v4
	s_cmp_lg_u64 vcc, 0
	s_addc_u32 s4, s4, s13
	v_readfirstlane_b32 s13, v4
	s_mul_i32 s5, s2, s4
	s_mul_hi_u32 s20, s2, s13
	s_add_i32 s5, s20, s5
	s_mul_i32 s3, s3, s13
	s_add_i32 s5, s5, s3
	s_mul_i32 s2, s2, s13
	s_mul_hi_u32 s20, s4, s2
	s_mul_i32 s30, s4, s2
	s_mul_i32 s34, s13, s5
	s_mul_hi_u32 s2, s13, s2
	s_mul_hi_u32 s31, s13, s5
	s_add_u32 s2, s2, s34
	s_addc_u32 s13, 0, s31
	s_add_u32 s2, s2, s30
	s_mul_hi_u32 s3, s4, s5
	s_addc_u32 s2, s13, s20
	s_addc_u32 s3, s3, 0
	s_mul_i32 s5, s4, s5
	s_add_u32 s2, s2, s5
	s_addc_u32 s3, 0, s3
	v_add_co_u32_e32 v4, vcc, s2, v4
	s_cmp_lg_u64 vcc, 0
	s_addc_u32 s4, s4, s3
	s_ashr_i32 s30, s25, 31
	s_add_u32 s2, s24, s30
	s_mov_b32 s31, s30
	s_addc_u32 s3, s25, s30
	s_xor_b64 s[34:35], s[2:3], s[30:31]
	v_readfirstlane_b32 s5, v4
	s_mul_i32 s3, s34, s4
	s_mul_hi_u32 s13, s34, s5
	s_mul_hi_u32 s2, s34, s4
	s_add_u32 s3, s13, s3
	s_addc_u32 s2, 0, s2
	s_mul_hi_u32 s20, s35, s5
	s_mul_i32 s5, s35, s5
	s_add_u32 s3, s3, s5
	s_mul_hi_u32 s13, s35, s4
	s_addc_u32 s2, s2, s20
	s_addc_u32 s3, s13, 0
	s_mul_i32 s4, s35, s4
	s_add_u32 s2, s2, s4
	s_addc_u32 s3, 0, s3
	s_mul_i32 s3, s28, s3
	s_mul_hi_u32 s4, s28, s2
	s_add_i32 s3, s4, s3
	s_mul_i32 s4, s29, s2
	s_mul_i32 s2, s28, s2
	s_add_i32 s13, s3, s4
	v_mov_b32_e32 v4, s2
	s_sub_i32 s3, s35, s13
	v_sub_co_u32_e32 v4, vcc, s34, v4
	s_cmp_lg_u64 vcc, 0
	s_subb_u32 s20, s3, s29
	v_subrev_co_u32_e64 v5, s[2:3], s28, v4
	s_cmp_lg_u64 s[2:3], 0
	s_subb_u32 s31, s20, 0
	s_cmp_ge_u32 s31, s29
	s_cselect_b32 s34, -1, 0
	v_cmp_le_u32_e64 s[4:5], s28, v5
	s_cmp_eq_u32 s31, s29
	v_cndmask_b32_e64 v6, 0, -1, s[4:5]
	v_mov_b32_e32 v7, s34
	s_cselect_b64 s[4:5], -1, 0
	s_cmp_lg_u64 s[2:3], 0
	v_cndmask_b32_e64 v6, v7, v6, s[4:5]
	s_subb_u32 s4, s20, s29
	v_subrev_co_u32_e64 v7, s[2:3], s28, v5
	s_cmp_lg_u64 s[2:3], 0
	s_subb_u32 s4, s4, 0
	v_cmp_ne_u32_e64 s[2:3], 0, v6
	v_cndmask_b32_e64 v5, v5, v7, s[2:3]
	v_mov_b32_e32 v6, s31
	v_mov_b32_e32 v7, s4
	s_cmp_lg_u64 vcc, 0
	v_cndmask_b32_e64 v6, v6, v7, s[2:3]
	s_subb_u32 s2, s35, s13
	s_cmp_ge_u32 s2, s29
	s_cselect_b32 s3, -1, 0
	v_cmp_le_u32_e32 vcc, s28, v4
	s_cmp_eq_u32 s2, s29
	v_cndmask_b32_e64 v7, 0, -1, vcc
	v_mov_b32_e32 v8, s3
	s_cselect_b64 vcc, -1, 0
	v_cndmask_b32_e32 v7, v8, v7, vcc
	v_cmp_ne_u32_e32 vcc, 0, v7
	v_mov_b32_e32 v8, s2
	v_cndmask_b32_e32 v4, v4, v5, vcc
	v_cndmask_b32_e32 v6, v8, v6, vcc
	v_xor_b32_e32 v4, s30, v4
	v_xor_b32_e32 v5, s30, v6
	v_mov_b32_e32 v6, s30
	v_subrev_co_u32_e32 v4, vcc, s30, v4
	v_subb_co_u32_e32 v5, vcc, v5, v6, vcc
	s_cbranch_execnz .LBB60_54
.LBB60_53:
	v_cvt_f32_u32_e32 v4, s18
	s_sub_i32 s2, 0, s18
	v_rcp_iflag_f32_e32 v4, v4
	v_mul_f32_e32 v4, 0x4f7ffffe, v4
	v_cvt_u32_f32_e32 v4, v4
	v_mul_lo_u32 v5, s2, v4
	v_mul_hi_u32 v5, v4, v5
	v_add_u32_e32 v4, v4, v5
	v_mul_hi_u32 v4, s24, v4
	v_mul_lo_u32 v4, v4, s18
	v_sub_u32_e32 v4, s24, v4
	v_subrev_u32_e32 v5, s18, v4
	v_cmp_le_u32_e32 vcc, s18, v4
	v_cndmask_b32_e32 v4, v4, v5, vcc
	v_subrev_u32_e32 v5, s18, v4
	v_cmp_le_u32_e32 vcc, s18, v4
	v_cndmask_b32_e32 v4, v4, v5, vcc
	v_mov_b32_e32 v5, 0
.LBB60_54:
	s_mov_b32 s4, 0x43e00000
	v_div_scale_f32 v6, s[2:3], s4, s4, v1
	v_rcp_f32_e32 v7, v6
	v_div_scale_f32 v8, vcc, v1, s4, v1
	v_fma_f32 v9, -v6, v7, 1.0
	v_fmac_f32_e32 v7, v9, v7
	v_mul_f32_e32 v9, v8, v7
	v_fma_f32 v10, -v6, v9, v8
	v_fmac_f32_e32 v9, v10, v7
	v_fma_f32 v6, -v6, v9, v8
	v_div_fmas_f32 v6, v6, v7, v9
	v_div_fixup_f32 v1, v6, s4, v1
	v_mov_b32_e32 v6, s25
	v_sub_co_u32_e32 v4, vcc, s24, v4
	v_subb_co_u32_e32 v5, vcc, v6, v5, vcc
	v_mul_lo_u32 v5, v5, v2
	v_mul_lo_u32 v6, v4, v3
	v_mad_u64_u32 v[2:3], s[2:3], v4, v2, 0
	s_lshl_b64 s[2:3], s[6:7], 2
	v_add3_u32 v3, v3, v6, v5
	s_add_u32 s2, s2, s10
	v_lshlrev_b64 v[2:3], 2, v[2:3]
	s_addc_u32 s3, s3, s11
	v_mov_b32_e32 v4, s3
	v_add_co_u32_e32 v2, vcc, s2, v2
	v_max_f32_e32 v1, 0x36924925, v1
	v_addc_co_u32_e32 v3, vcc, v4, v3, vcc
	global_store_dword v[2:3], v1, off
.LBB60_55:
	s_or_b64 exec, exec, s[22:23]
	s_barrier
	s_and_saveexec_b64 s[2:3], s[0:1]
	s_cbranch_execz .LBB60_163
; %bb.56:
	s_add_u32 s1, s18, s45
	s_addc_u32 s2, s19, 0
	s_add_u32 s4, s1, -1
	s_addc_u32 s5, s2, -1
	s_or_b64 s[2:3], s[4:5], s[18:19]
	s_mov_b32 s0, 0
	s_mov_b32 s1, s3
	s_cmp_lg_u64 s[0:1], 0
	s_mov_b64 s[22:23], -1
	s_cbranch_scc0 .LBB60_165
; %bb.57:
	s_ashr_i32 s0, s19, 31
	s_add_u32 s2, s18, s0
	s_mov_b32 s1, s0
	s_addc_u32 s3, s19, s0
	s_xor_b64 s[24:25], s[2:3], s[0:1]
	v_cvt_f32_u32_e32 v1, s24
	v_cvt_f32_u32_e32 v2, s25
	s_sub_u32 s0, 0, s24
	s_subb_u32 s1, 0, s25
	v_madmk_f32 v1, v2, 0x4f800000, v1
	v_rcp_f32_e32 v1, v1
	v_mul_f32_e32 v1, 0x5f7ffffc, v1
	v_mul_f32_e32 v2, 0x2f800000, v1
	v_trunc_f32_e32 v2, v2
	v_madmk_f32 v1, v2, 0xcf800000, v1
	v_cvt_u32_f32_e32 v2, v2
	v_cvt_u32_f32_e32 v1, v1
	v_readfirstlane_b32 s2, v2
	v_readfirstlane_b32 s3, v1
	s_mul_i32 s13, s0, s2
	s_mul_hi_u32 s20, s0, s3
	s_mul_i32 s19, s1, s3
	s_add_i32 s13, s20, s13
	s_add_i32 s13, s13, s19
	s_mul_i32 s26, s0, s3
	s_mul_hi_u32 s19, s3, s13
	s_mul_i32 s20, s3, s13
	s_mul_hi_u32 s3, s3, s26
	s_add_u32 s3, s3, s20
	s_addc_u32 s19, 0, s19
	s_mul_hi_u32 s27, s2, s26
	s_mul_i32 s26, s2, s26
	s_add_u32 s3, s3, s26
	s_mul_hi_u32 s20, s2, s13
	s_addc_u32 s3, s19, s27
	s_addc_u32 s19, s20, 0
	s_mul_i32 s13, s2, s13
	s_add_u32 s3, s3, s13
	s_addc_u32 s13, 0, s19
	v_add_co_u32_e32 v1, vcc, s3, v1
	s_cmp_lg_u64 vcc, 0
	s_addc_u32 s2, s2, s13
	v_readfirstlane_b32 s13, v1
	s_mul_i32 s3, s0, s2
	s_mul_hi_u32 s19, s0, s13
	s_add_i32 s3, s19, s3
	s_mul_i32 s1, s1, s13
	s_add_i32 s3, s3, s1
	s_mul_i32 s0, s0, s13
	s_mul_hi_u32 s19, s2, s0
	s_mul_i32 s20, s2, s0
	s_mul_i32 s27, s13, s3
	s_mul_hi_u32 s0, s13, s0
	s_mul_hi_u32 s26, s13, s3
	s_add_u32 s0, s0, s27
	s_addc_u32 s13, 0, s26
	s_add_u32 s0, s0, s20
	s_mul_hi_u32 s1, s2, s3
	s_addc_u32 s0, s13, s19
	s_addc_u32 s1, s1, 0
	s_mul_i32 s3, s2, s3
	s_add_u32 s0, s0, s3
	s_addc_u32 s1, 0, s1
	v_add_co_u32_e32 v1, vcc, s0, v1
	s_cmp_lg_u64 vcc, 0
	s_addc_u32 s2, s2, s1
	s_ashr_i32 s26, s5, 31
	s_add_u32 s0, s4, s26
	s_mov_b32 s27, s26
	s_addc_u32 s1, s5, s26
	s_xor_b64 s[28:29], s[0:1], s[26:27]
	v_readfirstlane_b32 s3, v1
	s_mul_i32 s1, s28, s2
	s_mul_hi_u32 s13, s28, s3
	s_mul_hi_u32 s0, s28, s2
	s_add_u32 s1, s13, s1
	s_addc_u32 s0, 0, s0
	s_mul_hi_u32 s19, s29, s3
	s_mul_i32 s3, s29, s3
	s_add_u32 s1, s1, s3
	s_mul_hi_u32 s13, s29, s2
	s_addc_u32 s0, s0, s19
	s_addc_u32 s1, s13, 0
	s_mul_i32 s2, s29, s2
	s_add_u32 s0, s0, s2
	s_addc_u32 s1, 0, s1
	s_mul_i32 s1, s24, s1
	s_mul_hi_u32 s2, s24, s0
	s_add_i32 s1, s2, s1
	s_mul_i32 s2, s25, s0
	s_mul_i32 s0, s24, s0
	s_add_i32 s13, s1, s2
	v_mov_b32_e32 v1, s0
	s_sub_i32 s1, s29, s13
	v_sub_co_u32_e32 v1, vcc, s28, v1
	s_cmp_lg_u64 vcc, 0
	s_subb_u32 s19, s1, s25
	v_subrev_co_u32_e64 v2, s[0:1], s24, v1
	s_cmp_lg_u64 s[0:1], 0
	s_subb_u32 s20, s19, 0
	s_cmp_ge_u32 s20, s25
	s_cselect_b32 s27, -1, 0
	v_cmp_le_u32_e64 s[2:3], s24, v2
	s_cmp_eq_u32 s20, s25
	v_cndmask_b32_e64 v3, 0, -1, s[2:3]
	v_mov_b32_e32 v4, s27
	s_cselect_b64 s[2:3], -1, 0
	s_cmp_lg_u64 s[0:1], 0
	v_cndmask_b32_e64 v3, v4, v3, s[2:3]
	s_subb_u32 s2, s19, s25
	v_subrev_co_u32_e64 v4, s[0:1], s24, v2
	s_cmp_lg_u64 s[0:1], 0
	s_subb_u32 s2, s2, 0
	v_cmp_ne_u32_e64 s[0:1], 0, v3
	v_cndmask_b32_e64 v2, v2, v4, s[0:1]
	v_mov_b32_e32 v3, s20
	v_mov_b32_e32 v4, s2
	s_cmp_lg_u64 vcc, 0
	v_cndmask_b32_e64 v3, v3, v4, s[0:1]
	s_subb_u32 s0, s29, s13
	s_cmp_ge_u32 s0, s25
	s_cselect_b32 s1, -1, 0
	v_cmp_le_u32_e32 vcc, s24, v1
	s_cmp_eq_u32 s0, s25
	v_cndmask_b32_e64 v4, 0, -1, vcc
	v_mov_b32_e32 v5, s1
	s_cselect_b64 vcc, -1, 0
	v_cndmask_b32_e32 v4, v5, v4, vcc
	v_cmp_ne_u32_e32 vcc, 0, v4
	v_mov_b32_e32 v5, s0
	v_cndmask_b32_e32 v1, v1, v2, vcc
	v_cndmask_b32_e32 v3, v5, v3, vcc
	v_xor_b32_e32 v1, s26, v1
	v_xor_b32_e32 v3, s26, v3
	v_mov_b32_e32 v4, s26
	v_subrev_co_u32_e32 v2, vcc, s26, v1
	v_subb_co_u32_e32 v3, vcc, v3, v4, vcc
	s_cbranch_execnz .LBB60_59
.LBB60_58:
	v_cvt_f32_u32_e32 v1, s18
	s_sub_i32 s0, 0, s18
	v_mov_b32_e32 v3, 0
	v_rcp_iflag_f32_e32 v1, v1
	v_mul_f32_e32 v1, 0x4f7ffffe, v1
	v_cvt_u32_f32_e32 v1, v1
	v_mul_lo_u32 v2, s0, v1
	v_mul_hi_u32 v2, v1, v2
	v_add_u32_e32 v1, v1, v2
	v_mul_hi_u32 v1, s4, v1
	v_mul_lo_u32 v1, v1, s18
	v_sub_u32_e32 v1, s4, v1
	v_subrev_u32_e32 v2, s18, v1
	v_cmp_le_u32_e32 vcc, s18, v1
	v_cndmask_b32_e32 v1, v1, v2, vcc
	v_subrev_u32_e32 v2, s18, v1
	v_cmp_le_u32_e32 vcc, s18, v1
	v_cndmask_b32_e32 v2, v1, v2, vcc
.LBB60_59:
	s_mul_i32 s0, s21, s6
	s_mul_hi_u32 s1, s17, s6
	s_add_i32 s1, s1, s0
	s_mul_i32 s0, s17, s6
	s_add_u32 s13, s8, s0
	s_addc_u32 s17, s9, s1
	s_lshl_b64 s[0:1], s[6:7], 2
	s_add_u32 s18, s10, s0
	s_addc_u32 s19, s11, s1
	v_mov_b32_e32 v1, s5
	v_sub_co_u32_e32 v10, vcc, s4, v2
	v_subb_co_u32_e32 v11, vcc, v1, v3, vcc
	s_mul_i32 s20, s16, 3
	s_lshl_b32 s21, s16, 1
	s_mov_b64 s[0:1], 0
	v_mov_b32_e32 v1, 0
	v_mov_b32_e32 v12, s44
	v_mov_b32_e32 v13, s15
	v_mov_b32_e32 v14, s19
	s_mov_b32 s22, 0x43f00000
	s_mov_b32 s23, 0x3c7fffff
	;; [unrolled: 1-line block ×4, first 2 shown]
	s_movk_i32 s26, 0x80
	s_movk_i32 s27, 0xff
	s_branch .LBB60_65
.LBB60_60:                              ;   in Loop: Header=BB60_65 Depth=1
	s_or_b64 exec, exec, s[10:11]
.LBB60_61:                              ;   in Loop: Header=BB60_65 Depth=1
	s_or_b64 exec, exec, s[8:9]
	v_lshlrev_b64 v[18:19], 2, v[0:1]
	v_and_b32_sdwa v7, v17, s26 dst_sel:DWORD dst_unused:UNUSED_PAD src0_sel:BYTE_3 src1_sel:DWORD
	v_mov_b32_e32 v0, s17
	v_add_co_u32_e32 v18, vcc, s13, v18
	v_and_b32_sdwa v4, v4, s26 dst_sel:DWORD dst_unused:UNUSED_PAD src0_sel:BYTE_3 src1_sel:DWORD
	v_addc_co_u32_e32 v19, vcc, v0, v19, vcc
	v_lshlrev_b32_e32 v0, 24, v6
	v_and_or_b32 v6, v16, s27, v7
	v_lshrrev_b32_e32 v9, 24, v9
	v_and_b32_e32 v5, 0x80000000, v5
	v_lshlrev_b32_e32 v6, 16, v6
	v_and_or_b32 v3, v3, s27, v4
	v_and_b32_e32 v4, 0xff, v8
	v_or3_b32 v0, v5, v0, v6
	v_lshlrev_b32_e32 v3, 8, v3
	v_and_or_b32 v4, v9, s26, v4
	s_add_i32 s8, s16, s16
	v_or3_b32 v0, v0, v3, v4
	s_add_i32 s8, s8, s16
	global_store_dword v[18:19], v0, off
	v_add_u32_e32 v0, s8, v2
	v_cmp_le_u32_e32 vcc, s12, v0
	s_orn2_b64 s[8:9], vcc, exec
.LBB60_62:                              ;   in Loop: Header=BB60_65 Depth=1
	s_or_b64 exec, exec, s[6:7]
	s_orn2_b64 s[6:7], s[8:9], exec
.LBB60_63:                              ;   in Loop: Header=BB60_65 Depth=1
	s_or_b64 exec, exec, s[4:5]
	s_orn2_b64 s[4:5], s[6:7], exec
.LBB60_64:                              ;   in Loop: Header=BB60_65 Depth=1
	s_or_b64 exec, exec, s[2:3]
	s_and_b64 s[2:3], exec, s[4:5]
	s_or_b64 s[0:1], s[2:3], s[0:1]
	s_andn2_b64 exec, exec, s[0:1]
	s_cbranch_execz .LBB60_163
.LBB60_65:                              ; =>This Inner Loop Header: Depth=1
	v_lshlrev_b64 v[4:5], 3, v[0:1]
	v_add_co_u32_e32 v2, vcc, s33, v4
	v_addc_co_u32_e32 v3, vcc, v12, v5, vcc
	v_bfe_u32 v9, v0, 4, 26
	v_add_co_u32_e32 v4, vcc, s14, v4
	v_mad_u64_u32 v[6:7], s[2:3], v10, v9, 0
	global_load_dwordx2 v[2:3], v[2:3], off
	v_addc_co_u32_e32 v5, vcc, v13, v5, vcc
	v_mov_b32_e32 v8, v7
	global_load_dwordx2 v[4:5], v[4:5], off
	v_mad_u64_u32 v[8:9], s[2:3], v11, v9, v[8:9]
	v_mov_b32_e32 v7, v8
	v_lshlrev_b64 v[6:7], 2, v[6:7]
	v_add_co_u32_e32 v6, vcc, s18, v6
	v_addc_co_u32_e32 v7, vcc, v14, v7, vcc
	global_load_dword v9, v[6:7], off
	s_waitcnt vmcnt(2)
	v_fma_mixlo_f16 v6, v36, v2, 0 op_sel_hi:[0,1,0]
	s_waitcnt vmcnt(1)
	v_mul_f16_e32 v6, v4, v6
	v_cvt_f32_f16_e32 v7, v6
	v_mov_b32_e32 v6, 0x7f
	s_waitcnt vmcnt(0)
	v_div_scale_f32 v8, s[2:3], v9, v9, v7
	v_rcp_f32_e32 v15, v8
	v_div_scale_f32 v16, vcc, v7, v9, v7
	v_fma_f32 v17, -v8, v15, 1.0
	v_fmac_f32_e32 v15, v17, v15
	v_mul_f32_e32 v17, v16, v15
	v_fma_f32 v18, -v8, v17, v16
	v_fmac_f32_e32 v17, v18, v15
	v_fma_f32 v8, -v8, v17, v16
	v_div_fmas_f32 v8, v8, v15, v17
	v_div_fixup_f32 v7, v8, v9, v7
	v_min_f32_e32 v7, 0x43e00000, v7
	v_max_f32_e32 v8, 0xc3e00000, v7
	v_and_b32_e32 v15, 0x7fffffff, v8
	v_cmp_gt_u32_e32 vcc, s22, v15
	v_mov_b32_e32 v7, 0x7f
	s_and_saveexec_b64 s[2:3], vcc
	s_cbranch_execz .LBB60_71
; %bb.66:                               ;   in Loop: Header=BB60_65 Depth=1
	v_cmp_lt_u32_e32 vcc, s23, v15
                                        ; implicit-def: $vgpr7
	s_and_saveexec_b64 s[4:5], vcc
	s_xor_b64 s[4:5], exec, s[4:5]
; %bb.67:                               ;   in Loop: Header=BB60_65 Depth=1
	v_bfe_u32 v7, v8, 20, 1
	v_add3_u32 v7, v8, v7, s24
	v_lshrrev_b32_e32 v7, 20, v7
; %bb.68:                               ;   in Loop: Header=BB60_65 Depth=1
	s_andn2_saveexec_b64 s[4:5], s[4:5]
; %bb.69:                               ;   in Loop: Header=BB60_65 Depth=1
	v_add_f32_e64 v7, |v8|, s25
; %bb.70:                               ;   in Loop: Header=BB60_65 Depth=1
	s_or_b64 exec, exec, s[4:5]
.LBB60_71:                              ;   in Loop: Header=BB60_65 Depth=1
	s_or_b64 exec, exec, s[2:3]
	v_fma_mixlo_f16 v2, v36, v2, 0 op_sel:[0,1,0] op_sel_hi:[0,1,0]
	v_mul_f16_sdwa v2, v4, v2 dst_sel:DWORD dst_unused:UNUSED_PAD src0_sel:WORD_1 src1_sel:DWORD
	v_cvt_f32_f16_e32 v2, v2
	v_div_scale_f32 v4, s[2:3], v9, v9, v2
	v_rcp_f32_e32 v15, v4
	v_div_scale_f32 v16, vcc, v2, v9, v2
	v_fma_f32 v17, -v4, v15, 1.0
	v_fmac_f32_e32 v15, v17, v15
	v_mul_f32_e32 v17, v16, v15
	v_fma_f32 v18, -v4, v17, v16
	v_fmac_f32_e32 v17, v18, v15
	v_fma_f32 v4, -v4, v17, v16
	v_div_fmas_f32 v4, v4, v15, v17
	v_div_fixup_f32 v2, v4, v9, v2
	v_min_f32_e32 v2, 0x43e00000, v2
	v_max_f32_e32 v2, 0xc3e00000, v2
	v_and_b32_e32 v4, 0x7fffffff, v2
	v_cmp_gt_u32_e32 vcc, s22, v4
	s_and_saveexec_b64 s[2:3], vcc
	s_cbranch_execz .LBB60_77
; %bb.72:                               ;   in Loop: Header=BB60_65 Depth=1
	v_cmp_lt_u32_e32 vcc, s23, v4
                                        ; implicit-def: $vgpr6
	s_and_saveexec_b64 s[4:5], vcc
	s_xor_b64 s[4:5], exec, s[4:5]
; %bb.73:                               ;   in Loop: Header=BB60_65 Depth=1
	v_bfe_u32 v4, v2, 20, 1
	v_add3_u32 v4, v2, v4, s24
	v_lshrrev_b32_e32 v6, 20, v4
; %bb.74:                               ;   in Loop: Header=BB60_65 Depth=1
	s_andn2_saveexec_b64 s[4:5], s[4:5]
; %bb.75:                               ;   in Loop: Header=BB60_65 Depth=1
	v_add_f32_e64 v6, |v2|, s25
; %bb.76:                               ;   in Loop: Header=BB60_65 Depth=1
	s_or_b64 exec, exec, s[4:5]
.LBB60_77:                              ;   in Loop: Header=BB60_65 Depth=1
	s_or_b64 exec, exec, s[2:3]
	v_fma_mixlo_f16 v4, v36, v3, 0 op_sel_hi:[0,1,0]
	v_mul_f16_e32 v4, v5, v4
	v_cvt_f32_f16_e32 v15, v4
	v_mov_b32_e32 v4, 0x7f
	v_div_scale_f32 v16, s[2:3], v9, v9, v15
	v_rcp_f32_e32 v17, v16
	v_div_scale_f32 v18, vcc, v15, v9, v15
	v_fma_f32 v19, -v16, v17, 1.0
	v_fmac_f32_e32 v17, v19, v17
	v_mul_f32_e32 v19, v18, v17
	v_fma_f32 v20, -v16, v19, v18
	v_fmac_f32_e32 v19, v20, v17
	v_fma_f32 v16, -v16, v19, v18
	v_div_fmas_f32 v16, v16, v17, v19
	v_div_fixup_f32 v15, v16, v9, v15
	v_min_f32_e32 v15, 0x43e00000, v15
	v_max_f32_e32 v16, 0xc3e00000, v15
	v_and_b32_e32 v17, 0x7fffffff, v16
	v_cmp_gt_u32_e32 vcc, s22, v17
	v_mov_b32_e32 v15, 0x7f
	s_and_saveexec_b64 s[2:3], vcc
	s_cbranch_execz .LBB60_83
; %bb.78:                               ;   in Loop: Header=BB60_65 Depth=1
	v_cmp_lt_u32_e32 vcc, s23, v17
                                        ; implicit-def: $vgpr15
	s_and_saveexec_b64 s[4:5], vcc
	s_xor_b64 s[4:5], exec, s[4:5]
; %bb.79:                               ;   in Loop: Header=BB60_65 Depth=1
	v_bfe_u32 v15, v16, 20, 1
	v_add3_u32 v15, v16, v15, s24
	v_lshrrev_b32_e32 v15, 20, v15
; %bb.80:                               ;   in Loop: Header=BB60_65 Depth=1
	s_andn2_saveexec_b64 s[4:5], s[4:5]
; %bb.81:                               ;   in Loop: Header=BB60_65 Depth=1
	v_add_f32_e64 v15, |v16|, s25
; %bb.82:                               ;   in Loop: Header=BB60_65 Depth=1
	s_or_b64 exec, exec, s[4:5]
.LBB60_83:                              ;   in Loop: Header=BB60_65 Depth=1
	s_or_b64 exec, exec, s[2:3]
	v_fma_mixlo_f16 v3, v36, v3, 0 op_sel:[0,1,0] op_sel_hi:[0,1,0]
	v_mul_f16_sdwa v3, v5, v3 dst_sel:DWORD dst_unused:UNUSED_PAD src0_sel:WORD_1 src1_sel:DWORD
	v_cvt_f32_f16_e32 v3, v3
	v_div_scale_f32 v5, s[2:3], v9, v9, v3
	v_rcp_f32_e32 v17, v5
	v_div_scale_f32 v18, vcc, v3, v9, v3
	v_fma_f32 v19, -v5, v17, 1.0
	v_fmac_f32_e32 v17, v19, v17
	v_mul_f32_e32 v19, v18, v17
	v_fma_f32 v20, -v5, v19, v18
	v_fmac_f32_e32 v19, v20, v17
	v_fma_f32 v5, -v5, v19, v18
	v_div_fmas_f32 v5, v5, v17, v19
	v_div_fixup_f32 v3, v5, v9, v3
	v_min_f32_e32 v3, 0x43e00000, v3
	v_max_f32_e32 v3, 0xc3e00000, v3
	v_and_b32_e32 v5, 0x7fffffff, v3
	v_cmp_gt_u32_e32 vcc, s22, v5
	s_and_saveexec_b64 s[2:3], vcc
	s_cbranch_execz .LBB60_89
; %bb.84:                               ;   in Loop: Header=BB60_65 Depth=1
	v_cmp_lt_u32_e32 vcc, s23, v5
                                        ; implicit-def: $vgpr4
	s_and_saveexec_b64 s[4:5], vcc
	s_xor_b64 s[4:5], exec, s[4:5]
; %bb.85:                               ;   in Loop: Header=BB60_65 Depth=1
	v_bfe_u32 v4, v3, 20, 1
	v_add3_u32 v4, v3, v4, s24
	v_lshrrev_b32_e32 v4, 20, v4
; %bb.86:                               ;   in Loop: Header=BB60_65 Depth=1
	s_andn2_saveexec_b64 s[4:5], s[4:5]
; %bb.87:                               ;   in Loop: Header=BB60_65 Depth=1
	v_add_f32_e64 v4, |v3|, s25
; %bb.88:                               ;   in Loop: Header=BB60_65 Depth=1
	s_or_b64 exec, exec, s[4:5]
.LBB60_89:                              ;   in Loop: Header=BB60_65 Depth=1
	s_or_b64 exec, exec, s[2:3]
	v_and_b32_sdwa v5, v16, s26 dst_sel:DWORD dst_unused:UNUSED_PAD src0_sel:BYTE_3 src1_sel:DWORD
	v_and_or_b32 v5, v15, s27, v5
	v_and_b32_sdwa v2, v2, s26 dst_sel:DWORD dst_unused:UNUSED_PAD src0_sel:BYTE_3 src1_sel:DWORD
	v_lshlrev_b32_e32 v4, 24, v4
	v_and_b32_e32 v3, 0x80000000, v3
	v_lshlrev_b32_e32 v5, 16, v5
	v_lshrrev_b32_e32 v16, 24, v8
	v_lshlrev_b64 v[8:9], 2, v[0:1]
	v_or3_b32 v3, v3, v4, v5
	v_and_or_b32 v2, v6, s27, v2
	v_and_b32_e32 v4, 0xff, v7
	v_mov_b32_e32 v17, s17
	v_add_co_u32_e32 v8, vcc, s13, v8
	v_lshlrev_b32_e32 v2, 8, v2
	v_and_or_b32 v4, v16, s26, v4
	v_addc_co_u32_e32 v9, vcc, v17, v9, vcc
	v_or3_b32 v2, v3, v2, v4
	global_store_dword v[8:9], v2, off
	v_add_u32_e32 v2, s16, v0
	v_cmp_gt_u32_e32 vcc, s12, v2
	s_mov_b64 s[4:5], -1
	s_and_saveexec_b64 s[2:3], vcc
	s_cbranch_execz .LBB60_64
; %bb.90:                               ;   in Loop: Header=BB60_65 Depth=1
	v_mov_b32_e32 v3, v1
	v_lshlrev_b64 v[6:7], 3, v[2:3]
	v_mov_b32_e32 v5, s44
	v_add_co_u32_e32 v4, vcc, s33, v6
	v_addc_co_u32_e32 v5, vcc, v5, v7, vcc
	v_mov_b32_e32 v8, s15
	v_add_co_u32_e32 v6, vcc, s14, v6
	v_bfe_u32 v15, v2, 4, 26
	v_addc_co_u32_e32 v7, vcc, v8, v7, vcc
	v_mad_u64_u32 v[8:9], s[4:5], v10, v15, 0
	global_load_dwordx2 v[4:5], v[4:5], off
	v_mov_b32_e32 v16, v9
	global_load_dwordx2 v[6:7], v[6:7], off
	v_mad_u64_u32 v[16:17], s[4:5], v11, v15, v[16:17]
	v_mov_b32_e32 v9, v16
	v_lshlrev_b64 v[8:9], 2, v[8:9]
	v_mov_b32_e32 v15, s19
	v_add_co_u32_e32 v8, vcc, s18, v8
	v_addc_co_u32_e32 v9, vcc, v15, v9, vcc
	global_load_dword v16, v[8:9], off
	s_waitcnt vmcnt(2)
	v_fma_mixlo_f16 v8, v36, v4, 0 op_sel_hi:[0,1,0]
	s_waitcnt vmcnt(1)
	v_mul_f16_e32 v8, v6, v8
	v_cvt_f32_f16_e32 v9, v8
	v_mov_b32_e32 v8, 0x7f
	s_waitcnt vmcnt(0)
	v_div_scale_f32 v15, s[4:5], v16, v16, v9
	v_rcp_f32_e32 v17, v15
	v_div_scale_f32 v18, vcc, v9, v16, v9
	v_fma_f32 v19, -v15, v17, 1.0
	v_fmac_f32_e32 v17, v19, v17
	v_mul_f32_e32 v19, v18, v17
	v_fma_f32 v20, -v15, v19, v18
	v_fmac_f32_e32 v19, v20, v17
	v_fma_f32 v15, -v15, v19, v18
	v_div_fmas_f32 v15, v15, v17, v19
	v_div_fixup_f32 v9, v15, v16, v9
	v_min_f32_e32 v9, 0x43e00000, v9
	v_max_f32_e32 v15, 0xc3e00000, v9
	v_and_b32_e32 v17, 0x7fffffff, v15
	v_cmp_gt_u32_e32 vcc, s22, v17
	v_mov_b32_e32 v9, 0x7f
	s_and_saveexec_b64 s[4:5], vcc
	s_cbranch_execz .LBB60_96
; %bb.91:                               ;   in Loop: Header=BB60_65 Depth=1
	v_cmp_lt_u32_e32 vcc, s23, v17
                                        ; implicit-def: $vgpr9
	s_and_saveexec_b64 s[6:7], vcc
	s_xor_b64 s[6:7], exec, s[6:7]
; %bb.92:                               ;   in Loop: Header=BB60_65 Depth=1
	v_bfe_u32 v9, v15, 20, 1
	v_add3_u32 v9, v15, v9, s24
	v_lshrrev_b32_e32 v9, 20, v9
; %bb.93:                               ;   in Loop: Header=BB60_65 Depth=1
	s_andn2_saveexec_b64 s[6:7], s[6:7]
; %bb.94:                               ;   in Loop: Header=BB60_65 Depth=1
	v_add_f32_e64 v9, |v15|, s25
; %bb.95:                               ;   in Loop: Header=BB60_65 Depth=1
	s_or_b64 exec, exec, s[6:7]
.LBB60_96:                              ;   in Loop: Header=BB60_65 Depth=1
	s_or_b64 exec, exec, s[4:5]
	v_fma_mixlo_f16 v4, v36, v4, 0 op_sel:[0,1,0] op_sel_hi:[0,1,0]
	v_mul_f16_sdwa v4, v6, v4 dst_sel:DWORD dst_unused:UNUSED_PAD src0_sel:WORD_1 src1_sel:DWORD
	v_cvt_f32_f16_e32 v4, v4
	v_div_scale_f32 v6, s[4:5], v16, v16, v4
	v_rcp_f32_e32 v17, v6
	v_div_scale_f32 v18, vcc, v4, v16, v4
	v_fma_f32 v19, -v6, v17, 1.0
	v_fmac_f32_e32 v17, v19, v17
	v_mul_f32_e32 v19, v18, v17
	v_fma_f32 v20, -v6, v19, v18
	v_fmac_f32_e32 v19, v20, v17
	v_fma_f32 v6, -v6, v19, v18
	v_div_fmas_f32 v6, v6, v17, v19
	v_div_fixup_f32 v4, v6, v16, v4
	v_min_f32_e32 v4, 0x43e00000, v4
	v_max_f32_e32 v4, 0xc3e00000, v4
	v_and_b32_e32 v6, 0x7fffffff, v4
	v_cmp_gt_u32_e32 vcc, s22, v6
	s_and_saveexec_b64 s[4:5], vcc
	s_cbranch_execz .LBB60_102
; %bb.97:                               ;   in Loop: Header=BB60_65 Depth=1
	v_cmp_lt_u32_e32 vcc, s23, v6
                                        ; implicit-def: $vgpr8
	s_and_saveexec_b64 s[6:7], vcc
	s_xor_b64 s[6:7], exec, s[6:7]
; %bb.98:                               ;   in Loop: Header=BB60_65 Depth=1
	v_bfe_u32 v6, v4, 20, 1
	v_add3_u32 v6, v4, v6, s24
	v_lshrrev_b32_e32 v8, 20, v6
; %bb.99:                               ;   in Loop: Header=BB60_65 Depth=1
	s_andn2_saveexec_b64 s[6:7], s[6:7]
; %bb.100:                              ;   in Loop: Header=BB60_65 Depth=1
	v_add_f32_e64 v8, |v4|, s25
; %bb.101:                              ;   in Loop: Header=BB60_65 Depth=1
	s_or_b64 exec, exec, s[6:7]
.LBB60_102:                             ;   in Loop: Header=BB60_65 Depth=1
	s_or_b64 exec, exec, s[4:5]
	v_fma_mixlo_f16 v6, v36, v5, 0 op_sel_hi:[0,1,0]
	v_mul_f16_e32 v6, v7, v6
	v_cvt_f32_f16_e32 v17, v6
	v_mov_b32_e32 v6, 0x7f
	v_div_scale_f32 v18, s[4:5], v16, v16, v17
	v_rcp_f32_e32 v19, v18
	v_div_scale_f32 v20, vcc, v17, v16, v17
	v_fma_f32 v21, -v18, v19, 1.0
	v_fmac_f32_e32 v19, v21, v19
	v_mul_f32_e32 v21, v20, v19
	v_fma_f32 v22, -v18, v21, v20
	v_fmac_f32_e32 v21, v22, v19
	v_fma_f32 v18, -v18, v21, v20
	v_div_fmas_f32 v18, v18, v19, v21
	v_div_fixup_f32 v17, v18, v16, v17
	v_min_f32_e32 v17, 0x43e00000, v17
	v_max_f32_e32 v18, 0xc3e00000, v17
	v_and_b32_e32 v19, 0x7fffffff, v18
	v_cmp_gt_u32_e32 vcc, s22, v19
	v_mov_b32_e32 v17, 0x7f
	s_and_saveexec_b64 s[4:5], vcc
	s_cbranch_execz .LBB60_108
; %bb.103:                              ;   in Loop: Header=BB60_65 Depth=1
	v_cmp_lt_u32_e32 vcc, s23, v19
                                        ; implicit-def: $vgpr17
	s_and_saveexec_b64 s[6:7], vcc
	s_xor_b64 s[6:7], exec, s[6:7]
; %bb.104:                              ;   in Loop: Header=BB60_65 Depth=1
	v_bfe_u32 v17, v18, 20, 1
	v_add3_u32 v17, v18, v17, s24
	v_lshrrev_b32_e32 v17, 20, v17
; %bb.105:                              ;   in Loop: Header=BB60_65 Depth=1
	s_andn2_saveexec_b64 s[6:7], s[6:7]
; %bb.106:                              ;   in Loop: Header=BB60_65 Depth=1
	v_add_f32_e64 v17, |v18|, s25
; %bb.107:                              ;   in Loop: Header=BB60_65 Depth=1
	s_or_b64 exec, exec, s[6:7]
.LBB60_108:                             ;   in Loop: Header=BB60_65 Depth=1
	s_or_b64 exec, exec, s[4:5]
	v_fma_mixlo_f16 v5, v36, v5, 0 op_sel:[0,1,0] op_sel_hi:[0,1,0]
	v_mul_f16_sdwa v5, v7, v5 dst_sel:DWORD dst_unused:UNUSED_PAD src0_sel:WORD_1 src1_sel:DWORD
	v_cvt_f32_f16_e32 v5, v5
	v_div_scale_f32 v7, s[4:5], v16, v16, v5
	v_rcp_f32_e32 v19, v7
	v_div_scale_f32 v20, vcc, v5, v16, v5
	v_fma_f32 v21, -v7, v19, 1.0
	v_fmac_f32_e32 v19, v21, v19
	v_mul_f32_e32 v21, v20, v19
	v_fma_f32 v22, -v7, v21, v20
	v_fmac_f32_e32 v21, v22, v19
	v_fma_f32 v7, -v7, v21, v20
	v_div_fmas_f32 v7, v7, v19, v21
	v_div_fixup_f32 v5, v7, v16, v5
	v_min_f32_e32 v5, 0x43e00000, v5
	v_max_f32_e32 v5, 0xc3e00000, v5
	v_and_b32_e32 v7, 0x7fffffff, v5
	v_cmp_gt_u32_e32 vcc, s22, v7
	s_and_saveexec_b64 s[4:5], vcc
	s_cbranch_execz .LBB60_114
; %bb.109:                              ;   in Loop: Header=BB60_65 Depth=1
	v_cmp_lt_u32_e32 vcc, s23, v7
                                        ; implicit-def: $vgpr6
	s_and_saveexec_b64 s[6:7], vcc
	s_xor_b64 s[6:7], exec, s[6:7]
; %bb.110:                              ;   in Loop: Header=BB60_65 Depth=1
	v_bfe_u32 v6, v5, 20, 1
	v_add3_u32 v6, v5, v6, s24
	v_lshrrev_b32_e32 v6, 20, v6
; %bb.111:                              ;   in Loop: Header=BB60_65 Depth=1
	s_andn2_saveexec_b64 s[6:7], s[6:7]
; %bb.112:                              ;   in Loop: Header=BB60_65 Depth=1
	v_add_f32_e64 v6, |v5|, s25
; %bb.113:                              ;   in Loop: Header=BB60_65 Depth=1
	s_or_b64 exec, exec, s[6:7]
.LBB60_114:                             ;   in Loop: Header=BB60_65 Depth=1
	s_or_b64 exec, exec, s[4:5]
	v_and_b32_sdwa v7, v18, s26 dst_sel:DWORD dst_unused:UNUSED_PAD src0_sel:BYTE_3 src1_sel:DWORD
	v_lshlrev_b64 v[18:19], 2, v[2:3]
	v_mov_b32_e32 v3, s17
	v_add_co_u32_e32 v18, vcc, s13, v18
	v_addc_co_u32_e32 v19, vcc, v3, v19, vcc
	v_lshlrev_b32_e32 v3, 24, v6
	v_and_or_b32 v6, v17, s27, v7
	v_and_b32_sdwa v4, v4, s26 dst_sel:DWORD dst_unused:UNUSED_PAD src0_sel:BYTE_3 src1_sel:DWORD
	v_and_b32_e32 v5, 0x80000000, v5
	v_lshlrev_b32_e32 v6, 16, v6
	v_lshrrev_b32_e32 v15, 24, v15
	v_or3_b32 v3, v5, v3, v6
	v_and_or_b32 v4, v8, s27, v4
	v_and_b32_e32 v5, 0xff, v9
	v_lshlrev_b32_e32 v4, 8, v4
	v_and_or_b32 v5, v15, s26, v5
	v_or3_b32 v3, v3, v4, v5
	v_add_u32_e32 v4, s21, v0
	v_cmp_gt_u32_e32 vcc, s12, v4
	s_mov_b64 s[6:7], -1
	global_store_dword v[18:19], v3, off
	s_and_saveexec_b64 s[4:5], vcc
	s_cbranch_execz .LBB60_63
; %bb.115:                              ;   in Loop: Header=BB60_65 Depth=1
	v_mov_b32_e32 v5, v1
	v_lshlrev_b64 v[8:9], 3, v[4:5]
	v_mov_b32_e32 v3, s44
	v_add_co_u32_e32 v6, vcc, s33, v8
	v_addc_co_u32_e32 v7, vcc, v3, v9, vcc
	v_mov_b32_e32 v3, s15
	v_add_co_u32_e32 v8, vcc, s14, v8
	v_addc_co_u32_e32 v9, vcc, v3, v9, vcc
	v_bfe_u32 v3, v4, 4, 26
	v_mad_u64_u32 v[16:17], s[6:7], v10, v3, 0
	global_load_dwordx2 v[6:7], v[6:7], off
	v_mov_b32_e32 v18, v17
	global_load_dwordx2 v[8:9], v[8:9], off
	v_mad_u64_u32 v[18:19], s[6:7], v11, v3, v[18:19]
	v_mov_b32_e32 v17, v18
	v_lshlrev_b64 v[16:17], 2, v[16:17]
	v_mov_b32_e32 v3, s19
	v_add_co_u32_e32 v16, vcc, s18, v16
	v_addc_co_u32_e32 v17, vcc, v3, v17, vcc
	global_load_dword v17, v[16:17], off
	s_waitcnt vmcnt(2)
	v_fma_mixlo_f16 v3, v36, v6, 0 op_sel_hi:[0,1,0]
	s_waitcnt vmcnt(1)
	v_mul_f16_e32 v3, v8, v3
	v_cvt_f32_f16_e32 v15, v3
	v_mov_b32_e32 v3, 0x7f
	s_waitcnt vmcnt(0)
	v_div_scale_f32 v16, s[6:7], v17, v17, v15
	v_rcp_f32_e32 v18, v16
	v_div_scale_f32 v19, vcc, v15, v17, v15
	v_fma_f32 v20, -v16, v18, 1.0
	v_fmac_f32_e32 v18, v20, v18
	v_mul_f32_e32 v20, v19, v18
	v_fma_f32 v21, -v16, v20, v19
	v_fmac_f32_e32 v20, v21, v18
	v_fma_f32 v16, -v16, v20, v19
	v_div_fmas_f32 v16, v16, v18, v20
	v_div_fixup_f32 v15, v16, v17, v15
	v_min_f32_e32 v15, 0x43e00000, v15
	v_max_f32_e32 v16, 0xc3e00000, v15
	v_and_b32_e32 v18, 0x7fffffff, v16
	v_cmp_gt_u32_e32 vcc, s22, v18
	v_mov_b32_e32 v15, 0x7f
	s_and_saveexec_b64 s[6:7], vcc
	s_cbranch_execz .LBB60_121
; %bb.116:                              ;   in Loop: Header=BB60_65 Depth=1
	v_cmp_lt_u32_e32 vcc, s23, v18
                                        ; implicit-def: $vgpr15
	s_and_saveexec_b64 s[8:9], vcc
	s_xor_b64 s[8:9], exec, s[8:9]
; %bb.117:                              ;   in Loop: Header=BB60_65 Depth=1
	v_bfe_u32 v15, v16, 20, 1
	v_add3_u32 v15, v16, v15, s24
	v_lshrrev_b32_e32 v15, 20, v15
; %bb.118:                              ;   in Loop: Header=BB60_65 Depth=1
	s_andn2_saveexec_b64 s[8:9], s[8:9]
; %bb.119:                              ;   in Loop: Header=BB60_65 Depth=1
	v_add_f32_e64 v15, |v16|, s25
; %bb.120:                              ;   in Loop: Header=BB60_65 Depth=1
	s_or_b64 exec, exec, s[8:9]
.LBB60_121:                             ;   in Loop: Header=BB60_65 Depth=1
	s_or_b64 exec, exec, s[6:7]
	v_fma_mixlo_f16 v6, v36, v6, 0 op_sel:[0,1,0] op_sel_hi:[0,1,0]
	v_mul_f16_sdwa v6, v8, v6 dst_sel:DWORD dst_unused:UNUSED_PAD src0_sel:WORD_1 src1_sel:DWORD
	v_cvt_f32_f16_e32 v6, v6
	v_div_scale_f32 v8, s[6:7], v17, v17, v6
	v_rcp_f32_e32 v18, v8
	v_div_scale_f32 v19, vcc, v6, v17, v6
	v_fma_f32 v20, -v8, v18, 1.0
	v_fmac_f32_e32 v18, v20, v18
	v_mul_f32_e32 v20, v19, v18
	v_fma_f32 v21, -v8, v20, v19
	v_fmac_f32_e32 v20, v21, v18
	v_fma_f32 v8, -v8, v20, v19
	v_div_fmas_f32 v8, v8, v18, v20
	v_div_fixup_f32 v6, v8, v17, v6
	v_min_f32_e32 v6, 0x43e00000, v6
	v_max_f32_e32 v6, 0xc3e00000, v6
	v_and_b32_e32 v8, 0x7fffffff, v6
	v_cmp_gt_u32_e32 vcc, s22, v8
	s_and_saveexec_b64 s[6:7], vcc
	s_cbranch_execz .LBB60_127
; %bb.122:                              ;   in Loop: Header=BB60_65 Depth=1
	v_cmp_lt_u32_e32 vcc, s23, v8
                                        ; implicit-def: $vgpr3
	s_and_saveexec_b64 s[8:9], vcc
	s_xor_b64 s[8:9], exec, s[8:9]
; %bb.123:                              ;   in Loop: Header=BB60_65 Depth=1
	v_bfe_u32 v3, v6, 20, 1
	v_add3_u32 v3, v6, v3, s24
	v_lshrrev_b32_e32 v3, 20, v3
; %bb.124:                              ;   in Loop: Header=BB60_65 Depth=1
	s_andn2_saveexec_b64 s[8:9], s[8:9]
; %bb.125:                              ;   in Loop: Header=BB60_65 Depth=1
	v_add_f32_e64 v3, |v6|, s25
; %bb.126:                              ;   in Loop: Header=BB60_65 Depth=1
	s_or_b64 exec, exec, s[8:9]
.LBB60_127:                             ;   in Loop: Header=BB60_65 Depth=1
	s_or_b64 exec, exec, s[6:7]
	v_fma_mixlo_f16 v8, v36, v7, 0 op_sel_hi:[0,1,0]
	v_mul_f16_e32 v8, v9, v8
	v_cvt_f32_f16_e32 v18, v8
	v_mov_b32_e32 v8, 0x7f
	v_div_scale_f32 v19, s[6:7], v17, v17, v18
	v_rcp_f32_e32 v20, v19
	v_div_scale_f32 v21, vcc, v18, v17, v18
	v_fma_f32 v22, -v19, v20, 1.0
	v_fmac_f32_e32 v20, v22, v20
	v_mul_f32_e32 v22, v21, v20
	v_fma_f32 v23, -v19, v22, v21
	v_fmac_f32_e32 v22, v23, v20
	v_fma_f32 v19, -v19, v22, v21
	v_div_fmas_f32 v19, v19, v20, v22
	v_div_fixup_f32 v18, v19, v17, v18
	v_min_f32_e32 v18, 0x43e00000, v18
	v_max_f32_e32 v19, 0xc3e00000, v18
	v_and_b32_e32 v20, 0x7fffffff, v19
	v_cmp_gt_u32_e32 vcc, s22, v20
	v_mov_b32_e32 v18, 0x7f
	s_and_saveexec_b64 s[6:7], vcc
	s_cbranch_execz .LBB60_133
; %bb.128:                              ;   in Loop: Header=BB60_65 Depth=1
	v_cmp_lt_u32_e32 vcc, s23, v20
                                        ; implicit-def: $vgpr18
	s_and_saveexec_b64 s[8:9], vcc
	s_xor_b64 s[8:9], exec, s[8:9]
; %bb.129:                              ;   in Loop: Header=BB60_65 Depth=1
	v_bfe_u32 v18, v19, 20, 1
	v_add3_u32 v18, v19, v18, s24
	v_lshrrev_b32_e32 v18, 20, v18
; %bb.130:                              ;   in Loop: Header=BB60_65 Depth=1
	s_andn2_saveexec_b64 s[8:9], s[8:9]
; %bb.131:                              ;   in Loop: Header=BB60_65 Depth=1
	v_add_f32_e64 v18, |v19|, s25
; %bb.132:                              ;   in Loop: Header=BB60_65 Depth=1
	s_or_b64 exec, exec, s[8:9]
.LBB60_133:                             ;   in Loop: Header=BB60_65 Depth=1
	s_or_b64 exec, exec, s[6:7]
	v_fma_mixlo_f16 v7, v36, v7, 0 op_sel:[0,1,0] op_sel_hi:[0,1,0]
	v_mul_f16_sdwa v7, v9, v7 dst_sel:DWORD dst_unused:UNUSED_PAD src0_sel:WORD_1 src1_sel:DWORD
	v_cvt_f32_f16_e32 v7, v7
	v_div_scale_f32 v9, s[6:7], v17, v17, v7
	v_rcp_f32_e32 v20, v9
	v_div_scale_f32 v21, vcc, v7, v17, v7
	v_fma_f32 v22, -v9, v20, 1.0
	v_fmac_f32_e32 v20, v22, v20
	v_mul_f32_e32 v22, v21, v20
	v_fma_f32 v23, -v9, v22, v21
	v_fmac_f32_e32 v22, v23, v20
	v_fma_f32 v9, -v9, v22, v21
	v_div_fmas_f32 v9, v9, v20, v22
	v_div_fixup_f32 v7, v9, v17, v7
	v_min_f32_e32 v7, 0x43e00000, v7
	v_max_f32_e32 v7, 0xc3e00000, v7
	v_and_b32_e32 v9, 0x7fffffff, v7
	v_cmp_gt_u32_e32 vcc, s22, v9
	s_and_saveexec_b64 s[6:7], vcc
	s_cbranch_execz .LBB60_139
; %bb.134:                              ;   in Loop: Header=BB60_65 Depth=1
	v_cmp_lt_u32_e32 vcc, s23, v9
                                        ; implicit-def: $vgpr8
	s_and_saveexec_b64 s[8:9], vcc
	s_xor_b64 s[8:9], exec, s[8:9]
; %bb.135:                              ;   in Loop: Header=BB60_65 Depth=1
	v_bfe_u32 v8, v7, 20, 1
	v_add3_u32 v8, v7, v8, s24
	v_lshrrev_b32_e32 v8, 20, v8
; %bb.136:                              ;   in Loop: Header=BB60_65 Depth=1
	s_andn2_saveexec_b64 s[8:9], s[8:9]
; %bb.137:                              ;   in Loop: Header=BB60_65 Depth=1
	v_add_f32_e64 v8, |v7|, s25
; %bb.138:                              ;   in Loop: Header=BB60_65 Depth=1
	s_or_b64 exec, exec, s[8:9]
.LBB60_139:                             ;   in Loop: Header=BB60_65 Depth=1
	s_or_b64 exec, exec, s[6:7]
	v_and_b32_sdwa v9, v19, s26 dst_sel:DWORD dst_unused:UNUSED_PAD src0_sel:BYTE_3 src1_sel:DWORD
	v_and_b32_sdwa v6, v6, s26 dst_sel:DWORD dst_unused:UNUSED_PAD src0_sel:BYTE_3 src1_sel:DWORD
	v_lshlrev_b64 v[4:5], 2, v[4:5]
	v_and_or_b32 v9, v18, s27, v9
	v_lshrrev_b32_e32 v16, 24, v16
	v_mov_b32_e32 v17, s17
	v_add_co_u32_e32 v4, vcc, s13, v4
	v_lshlrev_b32_e32 v8, 24, v8
	v_and_b32_e32 v7, 0x80000000, v7
	v_lshlrev_b32_e32 v9, 16, v9
	v_and_or_b32 v3, v3, s27, v6
	v_and_b32_e32 v6, 0xff, v15
	v_addc_co_u32_e32 v5, vcc, v17, v5, vcc
	v_or3_b32 v7, v7, v8, v9
	v_lshlrev_b32_e32 v3, 8, v3
	v_and_or_b32 v6, v16, s26, v6
	v_add_u32_e32 v0, s20, v0
	v_or3_b32 v3, v7, v3, v6
	v_cmp_gt_u32_e32 vcc, s12, v0
	s_mov_b64 s[8:9], -1
	global_store_dword v[4:5], v3, off
	s_and_saveexec_b64 s[6:7], vcc
	s_cbranch_execz .LBB60_62
; %bb.140:                              ;   in Loop: Header=BB60_65 Depth=1
	v_lshlrev_b64 v[6:7], 3, v[0:1]
	v_mov_b32_e32 v3, s44
	v_add_co_u32_e32 v4, vcc, s33, v6
	v_addc_co_u32_e32 v5, vcc, v3, v7, vcc
	v_mov_b32_e32 v3, s15
	v_add_co_u32_e32 v6, vcc, s14, v6
	v_addc_co_u32_e32 v7, vcc, v3, v7, vcc
	v_bfe_u32 v3, v0, 4, 26
	v_mad_u64_u32 v[8:9], s[8:9], v10, v3, 0
	global_load_dwordx2 v[4:5], v[4:5], off
	v_mov_b32_e32 v16, v9
	global_load_dwordx2 v[6:7], v[6:7], off
	v_mad_u64_u32 v[16:17], s[8:9], v11, v3, v[16:17]
	v_mov_b32_e32 v9, v16
	v_lshlrev_b64 v[8:9], 2, v[8:9]
	v_mov_b32_e32 v3, s19
	v_add_co_u32_e32 v8, vcc, s18, v8
	v_addc_co_u32_e32 v9, vcc, v3, v9, vcc
	global_load_dword v15, v[8:9], off
	s_waitcnt vmcnt(2)
	v_fma_mixlo_f16 v3, v36, v4, 0 op_sel_hi:[0,1,0]
	s_waitcnt vmcnt(1)
	v_mul_f16_e32 v3, v6, v3
	v_cvt_f32_f16_e32 v8, v3
	v_mov_b32_e32 v3, 0x7f
	s_waitcnt vmcnt(0)
	v_div_scale_f32 v9, s[8:9], v15, v15, v8
	v_rcp_f32_e32 v16, v9
	v_div_scale_f32 v17, vcc, v8, v15, v8
	v_fma_f32 v18, -v9, v16, 1.0
	v_fmac_f32_e32 v16, v18, v16
	v_mul_f32_e32 v18, v17, v16
	v_fma_f32 v19, -v9, v18, v17
	v_fmac_f32_e32 v18, v19, v16
	v_fma_f32 v9, -v9, v18, v17
	v_div_fmas_f32 v9, v9, v16, v18
	v_div_fixup_f32 v8, v9, v15, v8
	v_min_f32_e32 v8, 0x43e00000, v8
	v_max_f32_e32 v9, 0xc3e00000, v8
	v_and_b32_e32 v16, 0x7fffffff, v9
	v_cmp_gt_u32_e32 vcc, s22, v16
	v_mov_b32_e32 v8, 0x7f
	s_and_saveexec_b64 s[8:9], vcc
	s_cbranch_execz .LBB60_146
; %bb.141:                              ;   in Loop: Header=BB60_65 Depth=1
	v_cmp_lt_u32_e32 vcc, s23, v16
                                        ; implicit-def: $vgpr8
	s_and_saveexec_b64 s[10:11], vcc
	s_xor_b64 s[10:11], exec, s[10:11]
; %bb.142:                              ;   in Loop: Header=BB60_65 Depth=1
	v_bfe_u32 v8, v9, 20, 1
	v_add3_u32 v8, v9, v8, s24
	v_lshrrev_b32_e32 v8, 20, v8
; %bb.143:                              ;   in Loop: Header=BB60_65 Depth=1
	s_andn2_saveexec_b64 s[10:11], s[10:11]
; %bb.144:                              ;   in Loop: Header=BB60_65 Depth=1
	v_add_f32_e64 v8, |v9|, s25
; %bb.145:                              ;   in Loop: Header=BB60_65 Depth=1
	s_or_b64 exec, exec, s[10:11]
.LBB60_146:                             ;   in Loop: Header=BB60_65 Depth=1
	s_or_b64 exec, exec, s[8:9]
	v_fma_mixlo_f16 v4, v36, v4, 0 op_sel:[0,1,0] op_sel_hi:[0,1,0]
	v_mul_f16_sdwa v4, v6, v4 dst_sel:DWORD dst_unused:UNUSED_PAD src0_sel:WORD_1 src1_sel:DWORD
	v_cvt_f32_f16_e32 v4, v4
	v_div_scale_f32 v6, s[8:9], v15, v15, v4
	v_rcp_f32_e32 v16, v6
	v_div_scale_f32 v17, vcc, v4, v15, v4
	v_fma_f32 v18, -v6, v16, 1.0
	v_fmac_f32_e32 v16, v18, v16
	v_mul_f32_e32 v18, v17, v16
	v_fma_f32 v19, -v6, v18, v17
	v_fmac_f32_e32 v18, v19, v16
	v_fma_f32 v6, -v6, v18, v17
	v_div_fmas_f32 v6, v6, v16, v18
	v_div_fixup_f32 v4, v6, v15, v4
	v_min_f32_e32 v4, 0x43e00000, v4
	v_max_f32_e32 v4, 0xc3e00000, v4
	v_and_b32_e32 v6, 0x7fffffff, v4
	v_cmp_gt_u32_e32 vcc, s22, v6
	s_and_saveexec_b64 s[8:9], vcc
	s_cbranch_execz .LBB60_152
; %bb.147:                              ;   in Loop: Header=BB60_65 Depth=1
	v_cmp_lt_u32_e32 vcc, s23, v6
                                        ; implicit-def: $vgpr3
	s_and_saveexec_b64 s[10:11], vcc
	s_xor_b64 s[10:11], exec, s[10:11]
; %bb.148:                              ;   in Loop: Header=BB60_65 Depth=1
	v_bfe_u32 v3, v4, 20, 1
	v_add3_u32 v3, v4, v3, s24
	v_lshrrev_b32_e32 v3, 20, v3
; %bb.149:                              ;   in Loop: Header=BB60_65 Depth=1
	s_andn2_saveexec_b64 s[10:11], s[10:11]
; %bb.150:                              ;   in Loop: Header=BB60_65 Depth=1
	v_add_f32_e64 v3, |v4|, s25
; %bb.151:                              ;   in Loop: Header=BB60_65 Depth=1
	s_or_b64 exec, exec, s[10:11]
.LBB60_152:                             ;   in Loop: Header=BB60_65 Depth=1
	s_or_b64 exec, exec, s[8:9]
	v_fma_mixlo_f16 v6, v36, v5, 0 op_sel_hi:[0,1,0]
	v_mul_f16_e32 v6, v7, v6
	v_cvt_f32_f16_e32 v16, v6
	v_mov_b32_e32 v6, 0x7f
	v_div_scale_f32 v17, s[8:9], v15, v15, v16
	v_rcp_f32_e32 v18, v17
	v_div_scale_f32 v19, vcc, v16, v15, v16
	v_fma_f32 v20, -v17, v18, 1.0
	v_fmac_f32_e32 v18, v20, v18
	v_mul_f32_e32 v20, v19, v18
	v_fma_f32 v21, -v17, v20, v19
	v_fmac_f32_e32 v20, v21, v18
	v_fma_f32 v17, -v17, v20, v19
	v_div_fmas_f32 v17, v17, v18, v20
	v_div_fixup_f32 v16, v17, v15, v16
	v_min_f32_e32 v16, 0x43e00000, v16
	v_max_f32_e32 v17, 0xc3e00000, v16
	v_and_b32_e32 v18, 0x7fffffff, v17
	v_cmp_gt_u32_e32 vcc, s22, v18
	v_mov_b32_e32 v16, 0x7f
	s_and_saveexec_b64 s[8:9], vcc
	s_cbranch_execz .LBB60_158
; %bb.153:                              ;   in Loop: Header=BB60_65 Depth=1
	v_cmp_lt_u32_e32 vcc, s23, v18
                                        ; implicit-def: $vgpr16
	s_and_saveexec_b64 s[10:11], vcc
	s_xor_b64 s[10:11], exec, s[10:11]
; %bb.154:                              ;   in Loop: Header=BB60_65 Depth=1
	v_bfe_u32 v16, v17, 20, 1
	v_add3_u32 v16, v17, v16, s24
	v_lshrrev_b32_e32 v16, 20, v16
; %bb.155:                              ;   in Loop: Header=BB60_65 Depth=1
	s_andn2_saveexec_b64 s[10:11], s[10:11]
; %bb.156:                              ;   in Loop: Header=BB60_65 Depth=1
	v_add_f32_e64 v16, |v17|, s25
; %bb.157:                              ;   in Loop: Header=BB60_65 Depth=1
	s_or_b64 exec, exec, s[10:11]
.LBB60_158:                             ;   in Loop: Header=BB60_65 Depth=1
	s_or_b64 exec, exec, s[8:9]
	v_fma_mixlo_f16 v5, v36, v5, 0 op_sel:[0,1,0] op_sel_hi:[0,1,0]
	v_mul_f16_sdwa v5, v7, v5 dst_sel:DWORD dst_unused:UNUSED_PAD src0_sel:WORD_1 src1_sel:DWORD
	v_cvt_f32_f16_e32 v5, v5
	v_div_scale_f32 v7, s[8:9], v15, v15, v5
	v_rcp_f32_e32 v18, v7
	v_div_scale_f32 v19, vcc, v5, v15, v5
	v_fma_f32 v20, -v7, v18, 1.0
	v_fmac_f32_e32 v18, v20, v18
	v_mul_f32_e32 v20, v19, v18
	v_fma_f32 v21, -v7, v20, v19
	v_fmac_f32_e32 v20, v21, v18
	v_fma_f32 v7, -v7, v20, v19
	v_div_fmas_f32 v7, v7, v18, v20
	v_div_fixup_f32 v5, v7, v15, v5
	v_min_f32_e32 v5, 0x43e00000, v5
	v_max_f32_e32 v5, 0xc3e00000, v5
	v_and_b32_e32 v7, 0x7fffffff, v5
	v_cmp_gt_u32_e32 vcc, s22, v7
	s_and_saveexec_b64 s[8:9], vcc
	s_cbranch_execz .LBB60_61
; %bb.159:                              ;   in Loop: Header=BB60_65 Depth=1
	v_cmp_lt_u32_e32 vcc, s23, v7
                                        ; implicit-def: $vgpr6
	s_and_saveexec_b64 s[10:11], vcc
	s_xor_b64 s[10:11], exec, s[10:11]
; %bb.160:                              ;   in Loop: Header=BB60_65 Depth=1
	v_bfe_u32 v6, v5, 20, 1
	v_add3_u32 v6, v5, v6, s24
	v_lshrrev_b32_e32 v6, 20, v6
; %bb.161:                              ;   in Loop: Header=BB60_65 Depth=1
	s_andn2_saveexec_b64 s[10:11], s[10:11]
	s_cbranch_execz .LBB60_60
; %bb.162:                              ;   in Loop: Header=BB60_65 Depth=1
	v_add_f32_e64 v6, |v5|, s25
	s_branch .LBB60_60
.LBB60_163:
	s_endpgm
.LBB60_164:
                                        ; implicit-def: $vgpr4_vgpr5
	s_andn2_b64 vcc, exec, s[26:27]
	s_cbranch_vccz .LBB60_53
	s_branch .LBB60_54
.LBB60_165:
                                        ; implicit-def: $vgpr2_vgpr3
	s_andn2_b64 vcc, exec, s[22:23]
	s_cbranch_vccz .LBB60_58
	s_branch .LBB60_59
	.section	.rodata,"a",@progbits
	.p2align	6, 0x0
	.amdhsa_kernel _ZN4vllm31rms_norm_per_block_quant_kernelIN3c104HalfENS1_13Float8_e4m3fnELb0ELb1ELi64EEEvPT0_PfPKT_S9_PKffiiPS7_l
		.amdhsa_group_segment_fixed_size 4164
		.amdhsa_private_segment_fixed_size 0
		.amdhsa_kernarg_size 328
		.amdhsa_user_sgpr_count 6
		.amdhsa_user_sgpr_private_segment_buffer 1
		.amdhsa_user_sgpr_dispatch_ptr 0
		.amdhsa_user_sgpr_queue_ptr 0
		.amdhsa_user_sgpr_kernarg_segment_ptr 1
		.amdhsa_user_sgpr_dispatch_id 0
		.amdhsa_user_sgpr_flat_scratch_init 0
		.amdhsa_user_sgpr_kernarg_preload_length 0
		.amdhsa_user_sgpr_kernarg_preload_offset 0
		.amdhsa_user_sgpr_private_segment_size 0
		.amdhsa_uses_dynamic_stack 0
		.amdhsa_system_sgpr_private_segment_wavefront_offset 0
		.amdhsa_system_sgpr_workgroup_id_x 1
		.amdhsa_system_sgpr_workgroup_id_y 0
		.amdhsa_system_sgpr_workgroup_id_z 0
		.amdhsa_system_sgpr_workgroup_info 0
		.amdhsa_system_vgpr_workitem_id 0
		.amdhsa_next_free_vgpr 40
		.amdhsa_next_free_sgpr 46
		.amdhsa_accum_offset 40
		.amdhsa_reserve_vcc 1
		.amdhsa_reserve_flat_scratch 0
		.amdhsa_float_round_mode_32 0
		.amdhsa_float_round_mode_16_64 0
		.amdhsa_float_denorm_mode_32 3
		.amdhsa_float_denorm_mode_16_64 3
		.amdhsa_dx10_clamp 1
		.amdhsa_ieee_mode 1
		.amdhsa_fp16_overflow 0
		.amdhsa_tg_split 0
		.amdhsa_exception_fp_ieee_invalid_op 0
		.amdhsa_exception_fp_denorm_src 0
		.amdhsa_exception_fp_ieee_div_zero 0
		.amdhsa_exception_fp_ieee_overflow 0
		.amdhsa_exception_fp_ieee_underflow 0
		.amdhsa_exception_fp_ieee_inexact 0
		.amdhsa_exception_int_div_zero 0
	.end_amdhsa_kernel
	.section	.text._ZN4vllm31rms_norm_per_block_quant_kernelIN3c104HalfENS1_13Float8_e4m3fnELb0ELb1ELi64EEEvPT0_PfPKT_S9_PKffiiPS7_l,"axG",@progbits,_ZN4vllm31rms_norm_per_block_quant_kernelIN3c104HalfENS1_13Float8_e4m3fnELb0ELb1ELi64EEEvPT0_PfPKT_S9_PKffiiPS7_l,comdat
.Lfunc_end60:
	.size	_ZN4vllm31rms_norm_per_block_quant_kernelIN3c104HalfENS1_13Float8_e4m3fnELb0ELb1ELi64EEEvPT0_PfPKT_S9_PKffiiPS7_l, .Lfunc_end60-_ZN4vllm31rms_norm_per_block_quant_kernelIN3c104HalfENS1_13Float8_e4m3fnELb0ELb1ELi64EEEvPT0_PfPKT_S9_PKffiiPS7_l
                                        ; -- End function
	.section	.AMDGPU.csdata,"",@progbits
; Kernel info:
; codeLenInByte = 9656
; NumSgprs: 50
; NumVgprs: 40
; NumAgprs: 0
; TotalNumVgprs: 40
; ScratchSize: 0
; MemoryBound: 0
; FloatMode: 240
; IeeeMode: 1
; LDSByteSize: 4164 bytes/workgroup (compile time only)
; SGPRBlocks: 6
; VGPRBlocks: 4
; NumSGPRsForWavesPerEU: 50
; NumVGPRsForWavesPerEU: 40
; AccumOffset: 40
; Occupancy: 8
; WaveLimiterHint : 0
; COMPUTE_PGM_RSRC2:SCRATCH_EN: 0
; COMPUTE_PGM_RSRC2:USER_SGPR: 6
; COMPUTE_PGM_RSRC2:TRAP_HANDLER: 0
; COMPUTE_PGM_RSRC2:TGID_X_EN: 1
; COMPUTE_PGM_RSRC2:TGID_Y_EN: 0
; COMPUTE_PGM_RSRC2:TGID_Z_EN: 0
; COMPUTE_PGM_RSRC2:TIDIG_COMP_CNT: 0
; COMPUTE_PGM_RSRC3_GFX90A:ACCUM_OFFSET: 9
; COMPUTE_PGM_RSRC3_GFX90A:TG_SPLIT: 0
	.section	.text._ZN4vllm31rms_norm_per_block_quant_kernelIN3c104HalfENS1_15Float8_e4m3fnuzELb0ELb1ELi64EEEvPT0_PfPKT_S9_PKffiiPS7_l,"axG",@progbits,_ZN4vllm31rms_norm_per_block_quant_kernelIN3c104HalfENS1_15Float8_e4m3fnuzELb0ELb1ELi64EEEvPT0_PfPKT_S9_PKffiiPS7_l,comdat
	.protected	_ZN4vllm31rms_norm_per_block_quant_kernelIN3c104HalfENS1_15Float8_e4m3fnuzELb0ELb1ELi64EEEvPT0_PfPKT_S9_PKffiiPS7_l ; -- Begin function _ZN4vllm31rms_norm_per_block_quant_kernelIN3c104HalfENS1_15Float8_e4m3fnuzELb0ELb1ELi64EEEvPT0_PfPKT_S9_PKffiiPS7_l
	.globl	_ZN4vllm31rms_norm_per_block_quant_kernelIN3c104HalfENS1_15Float8_e4m3fnuzELb0ELb1ELi64EEEvPT0_PfPKT_S9_PKffiiPS7_l
	.p2align	8
	.type	_ZN4vllm31rms_norm_per_block_quant_kernelIN3c104HalfENS1_15Float8_e4m3fnuzELb0ELb1ELi64EEEvPT0_PfPKT_S9_PKffiiPS7_l,@function
_ZN4vllm31rms_norm_per_block_quant_kernelIN3c104HalfENS1_15Float8_e4m3fnuzELb0ELb1ELi64EEEvPT0_PfPKT_S9_PKffiiPS7_l: ; @_ZN4vllm31rms_norm_per_block_quant_kernelIN3c104HalfENS1_15Float8_e4m3fnuzELb0ELb1ELi64EEEvPT0_PfPKT_S9_PKffiiPS7_l
; %bb.0:
	s_load_dwordx4 s[16:19], s[4:5], 0x28
	s_load_dwordx8 s[8:15], s[4:5], 0x0
	s_load_dword s46, s[4:5], 0x48
	s_mov_b32 s7, 0
	v_mov_b32_e32 v1, 0
	s_waitcnt lgkmcnt(0)
	s_ashr_i32 s0, s18, 31
	s_mul_hi_u32 s1, s18, s6
	s_mul_i32 s0, s0, s6
	s_add_i32 s1, s1, s0
	s_mul_i32 s0, s18, s6
	s_lshl_b64 s[0:1], s[0:1], 1
	s_add_u32 s33, s12, s0
	s_addc_u32 s44, s13, s1
	s_ashr_i32 s12, s17, 2
	s_add_u32 s18, s4, 0x48
	s_mov_b32 s20, s17
	v_cmp_gt_u32_e64 s[0:1], s12, v0
	s_addc_u32 s19, s5, 0
	s_and_saveexec_b64 s[2:3], s[0:1]
	s_cbranch_execz .LBB61_10
; %bb.1:
	s_cmp_lt_u32 s6, s46
	s_cselect_b32 s13, 12, 18
	s_add_u32 s22, s18, s13
	s_addc_u32 s23, s19, 0
	v_mov_b32_e32 v3, 0
	global_load_ushort v8, v3, s[22:23]
	s_mov_b64 s[22:23], 0
	v_mov_b32_e32 v9, s44
	v_mov_b32_e32 v2, v0
                                        ; implicit-def: $sgpr24_sgpr25
	s_waitcnt vmcnt(0)
	v_add_u32_e32 v1, v8, v8
	v_mul_lo_u32 v10, v8, 3
	v_lshlrev_b32_e32 v11, 1, v8
	v_add_u32_e32 v12, v1, v8
	v_mov_b32_e32 v1, v3
	s_branch .LBB61_5
.LBB61_2:                               ;   in Loop: Header=BB61_5 Depth=1
	s_or_b64 exec, exec, s[30:31]
	s_orn2_b64 s[30:31], s[34:35], exec
.LBB61_3:                               ;   in Loop: Header=BB61_5 Depth=1
	s_or_b64 exec, exec, s[28:29]
	s_andn2_b64 s[24:25], s[24:25], exec
	s_and_b64 s[28:29], s[30:31], exec
	s_or_b64 s[24:25], s[24:25], s[28:29]
.LBB61_4:                               ;   in Loop: Header=BB61_5 Depth=1
	s_or_b64 exec, exec, s[26:27]
	s_and_b64 s[26:27], exec, s[24:25]
	s_or_b64 s[22:23], s[26:27], s[22:23]
	s_andn2_b64 exec, exec, s[22:23]
	s_cbranch_execz .LBB61_9
.LBB61_5:                               ; =>This Inner Loop Header: Depth=1
	v_lshlrev_b64 v[4:5], 3, v[2:3]
	v_add_co_u32_e32 v4, vcc, s33, v4
	v_addc_co_u32_e32 v5, vcc, v9, v5, vcc
	global_load_dwordx2 v[6:7], v[4:5], off
	v_add_u32_e32 v4, v2, v8
	v_cmp_gt_u32_e32 vcc, s12, v4
	s_or_b64 s[24:25], s[24:25], exec
	s_waitcnt vmcnt(0)
	v_fma_mix_f32 v1, v6, v6, v1 op_sel_hi:[1,1,0]
	v_fma_mix_f32 v1, v6, v6, v1 op_sel:[1,1,0] op_sel_hi:[1,1,0]
	v_fma_mix_f32 v1, v7, v7, v1 op_sel_hi:[1,1,0]
	v_fma_mix_f32 v1, v7, v7, v1 op_sel:[1,1,0] op_sel_hi:[1,1,0]
	s_and_saveexec_b64 s[26:27], vcc
	s_cbranch_execz .LBB61_4
; %bb.6:                                ;   in Loop: Header=BB61_5 Depth=1
	v_mov_b32_e32 v5, v3
	v_lshlrev_b64 v[6:7], 3, v[4:5]
	v_add_co_u32_e32 v6, vcc, s33, v6
	v_addc_co_u32_e32 v7, vcc, v9, v7, vcc
	global_load_dwordx2 v[14:15], v[6:7], off
	v_add_u32_e32 v6, v11, v2
	v_cmp_gt_u32_e32 vcc, s12, v6
	s_mov_b64 s[30:31], -1
	s_waitcnt vmcnt(0)
	v_fma_mix_f32 v1, v14, v14, v1 op_sel_hi:[1,1,0]
	v_fma_mix_f32 v1, v14, v14, v1 op_sel:[1,1,0] op_sel_hi:[1,1,0]
	v_fma_mix_f32 v1, v15, v15, v1 op_sel_hi:[1,1,0]
	v_fma_mix_f32 v1, v15, v15, v1 op_sel:[1,1,0] op_sel_hi:[1,1,0]
	s_and_saveexec_b64 s[28:29], vcc
	s_cbranch_execz .LBB61_3
; %bb.7:                                ;   in Loop: Header=BB61_5 Depth=1
	v_mov_b32_e32 v7, v3
	v_lshlrev_b64 v[6:7], 3, v[6:7]
	v_add_co_u32_e32 v6, vcc, s33, v6
	v_addc_co_u32_e32 v7, vcc, v9, v7, vcc
	global_load_dwordx2 v[6:7], v[6:7], off
	v_add_u32_e32 v2, v10, v2
	v_cmp_gt_u32_e32 vcc, s12, v2
	s_mov_b64 s[34:35], -1
	s_waitcnt vmcnt(0)
	v_fma_mix_f32 v1, v6, v6, v1 op_sel_hi:[1,1,0]
	v_fma_mix_f32 v1, v6, v6, v1 op_sel:[1,1,0] op_sel_hi:[1,1,0]
	v_fma_mix_f32 v1, v7, v7, v1 op_sel_hi:[1,1,0]
	v_fma_mix_f32 v1, v7, v7, v1 op_sel:[1,1,0] op_sel_hi:[1,1,0]
	s_and_saveexec_b64 s[30:31], vcc
	s_xor_b64 s[30:31], exec, s[30:31]
	s_cbranch_execz .LBB61_2
; %bb.8:                                ;   in Loop: Header=BB61_5 Depth=1
	v_lshlrev_b64 v[6:7], 3, v[2:3]
	v_add_co_u32_e32 v6, vcc, s33, v6
	v_addc_co_u32_e32 v7, vcc, v9, v7, vcc
	global_load_dwordx2 v[6:7], v[6:7], off
	v_add_u32_e32 v2, v12, v4
	v_cmp_le_u32_e32 vcc, s12, v2
	s_orn2_b64 s[34:35], vcc, exec
	s_waitcnt vmcnt(0)
	v_fma_mix_f32 v1, v6, v6, v1 op_sel_hi:[1,1,0]
	v_fma_mix_f32 v1, v6, v6, v1 op_sel:[1,1,0] op_sel_hi:[1,1,0]
	v_fma_mix_f32 v1, v7, v7, v1 op_sel_hi:[1,1,0]
	v_fma_mix_f32 v1, v7, v7, v1 op_sel:[1,1,0] op_sel_hi:[1,1,0]
	s_branch .LBB61_2
.LBB61_9:
	s_or_b64 exec, exec, s[22:23]
.LBB61_10:
	s_or_b64 exec, exec, s[2:3]
	v_mbcnt_lo_u32_b32 v2, -1, 0
	v_mbcnt_hi_u32_b32 v2, -1, v2
	v_and_b32_e32 v3, 63, v2
	v_cmp_ne_u32_e32 vcc, 63, v3
	s_load_dword s2, s[18:19], 0xc
	v_addc_co_u32_e32 v4, vcc, 0, v2, vcc
	v_lshlrev_b32_e32 v4, 2, v4
	ds_bpermute_b32 v4, v4, v1
	s_waitcnt lgkmcnt(0)
	s_and_b32 s13, s2, 0xffff
	v_and_b32_e32 v5, 0x3c0, v0
	v_sub_u32_e64 v5, s13, v5 clamp
	v_add_u32_e32 v6, 1, v2
	v_add_f32_e32 v4, v1, v4
	v_cmp_lt_u32_e32 vcc, v6, v5
	v_cndmask_b32_e32 v1, v1, v4, vcc
	v_cmp_gt_u32_e32 vcc, 62, v3
	v_cndmask_b32_e64 v4, 0, 1, vcc
	v_lshlrev_b32_e32 v4, 1, v4
	v_add_lshl_u32 v4, v4, v2, 2
	ds_bpermute_b32 v4, v4, v1
	v_add_u32_e32 v6, 2, v2
	v_cmp_lt_u32_e32 vcc, v6, v5
	v_add_u32_e32 v6, 4, v2
	s_waitcnt lgkmcnt(0)
	v_add_f32_e32 v4, v1, v4
	v_cndmask_b32_e32 v1, v1, v4, vcc
	v_cmp_gt_u32_e32 vcc, 60, v3
	v_cndmask_b32_e64 v4, 0, 1, vcc
	v_lshlrev_b32_e32 v4, 2, v4
	v_add_lshl_u32 v4, v4, v2, 2
	ds_bpermute_b32 v4, v4, v1
	v_cmp_lt_u32_e32 vcc, v6, v5
	v_add_u32_e32 v6, 8, v2
	s_waitcnt lgkmcnt(0)
	v_add_f32_e32 v4, v1, v4
	v_cndmask_b32_e32 v1, v1, v4, vcc
	v_cmp_gt_u32_e32 vcc, 56, v3
	v_cndmask_b32_e64 v4, 0, 1, vcc
	v_lshlrev_b32_e32 v4, 3, v4
	v_add_lshl_u32 v4, v4, v2, 2
	ds_bpermute_b32 v4, v4, v1
	;; [unrolled: 10-line block ×3, first 2 shown]
	v_cmp_lt_u32_e32 vcc, v6, v5
	s_waitcnt lgkmcnt(0)
	v_add_f32_e32 v4, v1, v4
	v_cndmask_b32_e32 v1, v1, v4, vcc
	v_cmp_gt_u32_e32 vcc, 32, v3
	v_cndmask_b32_e64 v3, 0, 1, vcc
	v_lshlrev_b32_e32 v3, 5, v3
	v_add_lshl_u32 v3, v3, v2, 2
	ds_bpermute_b32 v3, v3, v1
	v_add_u32_e32 v4, 32, v2
	v_cmp_lt_u32_e32 vcc, v4, v5
	s_waitcnt lgkmcnt(0)
	v_add_f32_e32 v3, v1, v3
	v_cndmask_b32_e32 v1, v1, v3, vcc
	v_cmp_eq_u32_e32 vcc, 0, v2
	s_and_saveexec_b64 s[2:3], vcc
	s_cbranch_execz .LBB61_12
; %bb.11:
	v_lshrrev_b32_e32 v3, 4, v0
	v_and_b32_e32 v3, 60, v3
	ds_write_b32 v3, v1 offset:4096
.LBB61_12:
	s_or_b64 exec, exec, s[2:3]
	v_cmp_gt_u32_e32 vcc, 16, v0
	s_waitcnt lgkmcnt(0)
	s_barrier
	s_and_saveexec_b64 s[22:23], vcc
	s_cbranch_execz .LBB61_14
; %bb.13:
	v_lshlrev_b32_e32 v1, 2, v2
	ds_read_b32 v1, v1 offset:4096
	v_and_b32_e32 v3, 15, v2
	v_cmp_ne_u32_e32 vcc, 15, v3
	v_addc_co_u32_e32 v4, vcc, 0, v2, vcc
	v_lshlrev_b32_e32 v4, 2, v4
	s_waitcnt lgkmcnt(0)
	ds_bpermute_b32 v4, v4, v1
	s_add_i32 s13, s13, 63
	s_lshr_b32 s13, s13, 6
	v_add_u32_e32 v5, 1, v3
	v_cmp_gt_u32_e64 s[2:3], 14, v3
	v_cmp_gt_u32_e32 vcc, s13, v5
	v_cndmask_b32_e64 v5, 0, 1, s[2:3]
	s_waitcnt lgkmcnt(0)
	v_add_f32_e32 v4, v1, v4
	v_lshlrev_b32_e32 v5, 1, v5
	v_cndmask_b32_e32 v4, v1, v4, vcc
	v_add_lshl_u32 v5, v5, v2, 2
	ds_bpermute_b32 v5, v5, v4
	v_add_u32_e32 v6, 2, v3
	v_cmp_gt_u32_e64 s[2:3], s13, v6
	v_add_u32_e32 v6, 4, v3
	s_waitcnt lgkmcnt(0)
	v_add_f32_e32 v5, v4, v5
	v_cndmask_b32_e64 v4, v4, v5, s[2:3]
	v_cmp_gt_u32_e64 s[2:3], 12, v3
	v_cndmask_b32_e64 v5, 0, 1, s[2:3]
	v_lshlrev_b32_e32 v5, 2, v5
	v_add_lshl_u32 v5, v5, v2, 2
	ds_bpermute_b32 v5, v5, v4
	v_cmp_gt_u32_e64 s[2:3], s13, v6
	s_waitcnt lgkmcnt(0)
	v_add_f32_e32 v5, v4, v5
	v_cndmask_b32_e64 v4, v4, v5, s[2:3]
	v_cmp_gt_u32_e64 s[2:3], 8, v3
	v_cndmask_b32_e64 v5, 0, 1, s[2:3]
	v_lshlrev_b32_e32 v5, 3, v5
	v_add_lshl_u32 v2, v5, v2, 2
	ds_bpermute_b32 v2, v2, v4
	v_add_u32_e32 v3, 8, v3
	v_cmp_gt_u32_e64 s[2:3], s13, v3
	s_waitcnt lgkmcnt(0)
	v_add_f32_e32 v2, v4, v2
	v_cndmask_b32_e64 v2, v4, v2, s[2:3]
	v_cndmask_b32_e32 v1, v1, v2, vcc
.LBB61_14:
	s_or_b64 exec, exec, s[22:23]
	v_cmp_eq_u32_e32 vcc, 0, v0
	s_and_saveexec_b64 s[2:3], vcc
	s_cbranch_execz .LBB61_16
; %bb.15:
	v_cvt_f32_i32_e32 v2, s17
	s_mov_b32 s13, 0x800000
	v_div_scale_f32 v3, s[22:23], v2, v2, v1
	v_rcp_f32_e32 v4, v3
	v_div_scale_f32 v5, vcc, v1, v2, v1
	v_fma_f32 v6, -v3, v4, 1.0
	v_fmac_f32_e32 v4, v6, v4
	v_mul_f32_e32 v6, v5, v4
	v_fma_f32 v7, -v3, v6, v5
	v_fmac_f32_e32 v6, v7, v4
	v_fma_f32 v3, -v3, v6, v5
	v_div_fmas_f32 v3, v3, v4, v6
	v_div_fixup_f32 v1, v3, v2, v1
	v_add_f32_e32 v1, s16, v1
	v_mul_f32_e32 v2, 0x4b800000, v1
	v_cmp_gt_f32_e32 vcc, s13, v1
	v_cndmask_b32_e32 v1, v1, v2, vcc
	v_rsq_f32_e32 v1, v1
	v_mul_f32_e32 v2, 0x45800000, v1
	v_cndmask_b32_e32 v1, v1, v2, vcc
	v_mov_b32_e32 v2, 0
	ds_write_b32 v2, v1 offset:4160
.LBB61_16:
	s_or_b64 exec, exec, s[2:3]
	s_ashr_i32 s21, s17, 31
	s_lshr_b32 s2, s21, 26
	s_add_i32 s3, s17, s2
	s_ashr_i32 s2, s3, 6
	s_cmp_lt_u32 s6, s46
	s_cselect_b32 s13, 12, 18
	s_add_u32 s18, s18, s13
	v_mov_b32_e32 v5, 0
	s_addc_u32 s19, s19, 0
	s_waitcnt lgkmcnt(0)
	s_barrier
	global_load_ushort v1, v5, s[18:19]
	ds_read_b32 v36, v5 offset:4160
	s_abs_i32 s13, s2
	v_cvt_f32_u32_e32 v2, s13
	s_sub_i32 s16, 0, s13
	s_ashr_i32 s3, s3, 31
	v_mov_b32_e32 v10, s12
	v_rcp_iflag_f32_e32 v2, v2
	v_mul_f32_e32 v2, 0x4f7ffffe, v2
	v_cvt_u32_f32_e32 v2, v2
	v_readfirstlane_b32 s18, v2
	s_mul_i32 s16, s16, s18
	s_mul_hi_u32 s16, s18, s16
	s_add_i32 s18, s18, s16
	s_waitcnt vmcnt(0)
	v_readfirstlane_b32 s45, v1
	s_mul_hi_u32 s16, s45, s18
	s_mul_i32 s18, s16, s13
	s_sub_i32 s18, s45, s18
	s_add_i32 s19, s16, 1
	s_sub_i32 s22, s18, s13
	s_cmp_ge_u32 s18, s13
	s_cselect_b32 s16, s19, s16
	s_cselect_b32 s18, s22, s18
	s_add_i32 s19, s16, 1
	s_cmp_ge_u32 s18, s13
	s_cselect_b32 s13, s19, s16
	s_xor_b32 s13, s13, s3
	s_sub_i32 s18, s13, s3
	s_abs_i32 s3, s18
	v_cvt_f32_u32_e32 v1, s3
	s_sub_i32 s16, 0, s3
	s_ashr_i32 s19, s18, 31
	s_ashr_i32 s13, s12, 31
	v_rcp_iflag_f32_e32 v1, v1
	v_mov_b32_e32 v11, s13
	v_mul_f32_e32 v1, 0x4f7ffffe, v1
	v_cvt_u32_f32_e32 v1, v1
	v_mul_lo_u32 v2, s16, v1
	v_mul_hi_u32 v2, v1, v2
	v_add_u32_e32 v1, v1, v2
	v_mul_hi_u32 v1, v0, v1
	v_mul_lo_u32 v2, v1, s3
	v_sub_u32_e32 v2, v0, v2
	v_add_u32_e32 v3, 1, v1
	v_cmp_le_u32_e32 vcc, s3, v2
	v_cndmask_b32_e32 v1, v1, v3, vcc
	v_subrev_u32_e32 v3, s3, v2
	v_cndmask_b32_e32 v2, v2, v3, vcc
	v_add_u32_e32 v3, 1, v1
	v_cmp_le_u32_e32 vcc, s3, v2
	v_cndmask_b32_e32 v1, v1, v3, vcc
	v_xor_b32_e32 v1, s19, v1
	v_subrev_u32_e32 v2, s19, v1
	v_mul_lo_u32 v1, v2, s18
	v_ashrrev_i32_e32 v3, 31, v2
	v_sub_u32_e32 v4, v0, v1
	v_lshlrev_b64 v[8:9], 4, v[2:3]
	v_add_co_u32_e32 v6, vcc, v8, v4
	v_addc_co_u32_e32 v7, vcc, 0, v9, vcc
	v_add_co_u32_e32 v8, vcc, 16, v8
	v_addc_co_u32_e32 v9, vcc, 0, v9, vcc
	v_cmp_gt_i64_e32 vcc, s[12:13], v[8:9]
	v_cndmask_b32_e32 v8, v10, v8, vcc
	v_cndmask_b32_e32 v9, v11, v9, vcc
	v_ashrrev_i32_e32 v11, 31, v8
	v_mov_b32_e32 v10, v8
	v_cmp_lt_i64_e32 vcc, v[6:7], v[10:11]
	s_and_saveexec_b64 s[22:23], vcc
	s_cbranch_execz .LBB61_26
; %bb.17:
	v_lshlrev_b64 v[12:13], 7, v[2:3]
	v_lshlrev_b64 v[14:15], 3, v[4:5]
	v_add_co_u32_e32 v12, vcc, v12, v14
	v_addc_co_u32_e32 v1, vcc, v13, v15, vcc
	s_lshl_b64 s[24:25], s[18:19], 5
	s_mul_hi_i32 s3, s18, 3
	s_mul_i32 s13, s18, 3
	s_lshl_b64 s[26:27], s[18:19], 1
	s_lshl_b64 s[30:31], s[18:19], 3
	s_mov_b64 s[28:29], 0
	v_mov_b32_e32 v5, 0
	v_mov_b32_e32 v13, s44
	;; [unrolled: 1-line block ×4, first 2 shown]
	v_pk_mov_b32 v[14:15], v[6:7], v[6:7] op_sel:[0,1]
                                        ; implicit-def: $sgpr34_sgpr35
	s_branch .LBB61_21
.LBB61_18:                              ;   in Loop: Header=BB61_21 Depth=1
	s_or_b64 exec, exec, s[40:41]
	s_orn2_b64 s[40:41], s[42:43], exec
.LBB61_19:                              ;   in Loop: Header=BB61_21 Depth=1
	s_or_b64 exec, exec, s[38:39]
	s_andn2_b64 s[34:35], s[34:35], exec
	s_and_b64 s[38:39], s[40:41], exec
	s_or_b64 s[34:35], s[34:35], s[38:39]
.LBB61_20:                              ;   in Loop: Header=BB61_21 Depth=1
	s_or_b64 exec, exec, s[36:37]
	s_and_b64 s[36:37], exec, s[34:35]
	s_or_b64 s[28:29], s[36:37], s[28:29]
	s_andn2_b64 exec, exec, s[28:29]
	s_cbranch_execz .LBB61_25
.LBB61_21:                              ; =>This Inner Loop Header: Depth=1
	v_add_co_u32_e32 v18, vcc, s33, v12
	v_addc_co_u32_e32 v19, vcc, v13, v1, vcc
	v_add_co_u32_e32 v20, vcc, s14, v12
	global_load_dwordx2 v[16:17], v[18:19], off
	v_addc_co_u32_e32 v21, vcc, v22, v1, vcc
	global_load_dwordx2 v[24:25], v[20:21], off
	s_or_b64 s[34:35], s[34:35], exec
	s_waitcnt vmcnt(1) lgkmcnt(0)
	v_fma_mixlo_f16 v26, v36, v16, 0 op_sel_hi:[0,1,0]
	v_fma_mixlo_f16 v16, v36, v16, 0 op_sel:[0,1,0] op_sel_hi:[0,1,0]
	v_fma_mixlo_f16 v27, v36, v17, 0 op_sel_hi:[0,1,0]
	v_fma_mixlo_f16 v17, v36, v17, 0 op_sel:[0,1,0] op_sel_hi:[0,1,0]
	s_waitcnt vmcnt(0)
	v_mul_f16_e32 v26, v24, v26
	v_mul_f16_sdwa v16, v24, v16 dst_sel:DWORD dst_unused:UNUSED_PAD src0_sel:WORD_1 src1_sel:DWORD
	v_mul_f16_e32 v24, v25, v27
	v_mul_f16_sdwa v17, v25, v17 dst_sel:DWORD dst_unused:UNUSED_PAD src0_sel:WORD_1 src1_sel:DWORD
	v_cvt_f32_f16_e64 v25, |v26|
	v_cvt_f32_f16_e64 v26, |v16|
	;; [unrolled: 1-line block ×4, first 2 shown]
	v_add_co_u32_e32 v16, vcc, s18, v14
	v_addc_co_u32_e32 v17, vcc, v15, v23, vcc
	v_max3_f32 v5, v5, v25, v26
	v_cmp_lt_i64_e32 vcc, v[16:17], v[10:11]
	v_max3_f32 v5, v5, v24, v27
	s_and_saveexec_b64 s[36:37], vcc
	s_cbranch_execz .LBB61_20
; %bb.22:                               ;   in Loop: Header=BB61_21 Depth=1
	v_mov_b32_e32 v26, s31
	v_add_co_u32_e32 v18, vcc, s30, v18
	v_addc_co_u32_e32 v19, vcc, v19, v26, vcc
	v_add_co_u32_e32 v20, vcc, s30, v20
	global_load_dwordx2 v[24:25], v[18:19], off
	v_addc_co_u32_e32 v21, vcc, v21, v26, vcc
	global_load_dwordx2 v[26:27], v[20:21], off
	v_mov_b32_e32 v28, s27
	s_mov_b64 s[40:41], -1
	s_waitcnt vmcnt(1)
	v_fma_mixlo_f16 v29, v36, v24, 0 op_sel_hi:[0,1,0]
	v_fma_mixlo_f16 v24, v36, v24, 0 op_sel:[0,1,0] op_sel_hi:[0,1,0]
	v_fma_mixlo_f16 v30, v36, v25, 0 op_sel_hi:[0,1,0]
	v_fma_mixlo_f16 v25, v36, v25, 0 op_sel:[0,1,0] op_sel_hi:[0,1,0]
	s_waitcnt vmcnt(0)
	v_mul_f16_e32 v29, v26, v29
	v_mul_f16_sdwa v24, v26, v24 dst_sel:DWORD dst_unused:UNUSED_PAD src0_sel:WORD_1 src1_sel:DWORD
	v_mul_f16_e32 v26, v27, v30
	v_mul_f16_sdwa v25, v27, v25 dst_sel:DWORD dst_unused:UNUSED_PAD src0_sel:WORD_1 src1_sel:DWORD
	v_cvt_f32_f16_e64 v27, |v29|
	v_cvt_f32_f16_e64 v29, |v24|
	;; [unrolled: 1-line block ×4, first 2 shown]
	v_add_co_u32_e32 v24, vcc, s26, v14
	v_addc_co_u32_e32 v25, vcc, v28, v15, vcc
	v_max3_f32 v5, v5, v27, v29
	v_cmp_lt_i64_e32 vcc, v[24:25], v[10:11]
	v_max3_f32 v5, v5, v26, v30
	s_and_saveexec_b64 s[38:39], vcc
	s_cbranch_execz .LBB61_19
; %bb.23:                               ;   in Loop: Header=BB61_21 Depth=1
	v_mov_b32_e32 v26, s31
	v_add_co_u32_e32 v18, vcc, s30, v18
	v_addc_co_u32_e32 v19, vcc, v19, v26, vcc
	v_add_co_u32_e32 v20, vcc, s30, v20
	global_load_dwordx2 v[24:25], v[18:19], off
	v_addc_co_u32_e32 v21, vcc, v21, v26, vcc
	global_load_dwordx2 v[26:27], v[20:21], off
	v_mov_b32_e32 v28, s3
	v_add_co_u32_e32 v14, vcc, s13, v14
	v_addc_co_u32_e32 v15, vcc, v28, v15, vcc
	v_cmp_lt_i64_e32 vcc, v[14:15], v[10:11]
	s_mov_b64 s[42:43], -1
                                        ; implicit-def: $vgpr14_vgpr15
	s_waitcnt vmcnt(1)
	v_fma_mixlo_f16 v29, v36, v24, 0 op_sel_hi:[0,1,0]
	v_fma_mixlo_f16 v24, v36, v24, 0 op_sel:[0,1,0] op_sel_hi:[0,1,0]
	v_fma_mixlo_f16 v30, v36, v25, 0 op_sel_hi:[0,1,0]
	v_fma_mixlo_f16 v25, v36, v25, 0 op_sel:[0,1,0] op_sel_hi:[0,1,0]
	s_waitcnt vmcnt(0)
	v_mul_f16_e32 v29, v26, v29
	v_mul_f16_sdwa v24, v26, v24 dst_sel:DWORD dst_unused:UNUSED_PAD src0_sel:WORD_1 src1_sel:DWORD
	v_mul_f16_e32 v26, v27, v30
	v_mul_f16_sdwa v25, v27, v25 dst_sel:DWORD dst_unused:UNUSED_PAD src0_sel:WORD_1 src1_sel:DWORD
	v_cvt_f32_f16_e64 v27, |v29|
	v_cvt_f32_f16_e64 v24, |v24|
	v_cvt_f32_f16_e64 v26, |v26|
	v_cvt_f32_f16_e64 v25, |v25|
	v_max3_f32 v5, v5, v27, v24
	v_max3_f32 v5, v5, v26, v25
	s_and_saveexec_b64 s[40:41], vcc
	s_xor_b64 s[40:41], exec, s[40:41]
	s_cbranch_execz .LBB61_18
; %bb.24:                               ;   in Loop: Header=BB61_21 Depth=1
	v_mov_b32_e32 v24, s31
	v_add_co_u32_e32 v14, vcc, s30, v18
	v_addc_co_u32_e32 v15, vcc, v19, v24, vcc
	v_add_co_u32_e32 v18, vcc, s30, v20
	global_load_dwordx2 v[14:15], v[14:15], off
	v_addc_co_u32_e32 v19, vcc, v21, v24, vcc
	global_load_dwordx2 v[18:19], v[18:19], off
	s_add_u32 s16, s18, s18
	s_addc_u32 s42, s19, s19
	v_mov_b32_e32 v20, s25
	v_add_co_u32_e32 v12, vcc, s24, v12
	s_add_u32 s16, s16, s18
	v_addc_co_u32_e32 v1, vcc, v1, v20, vcc
	s_addc_u32 s42, s42, s19
	v_mov_b32_e32 v20, s42
	s_waitcnt vmcnt(1)
	v_fma_mixlo_f16 v21, v36, v14, 0 op_sel_hi:[0,1,0]
	v_fma_mixlo_f16 v14, v36, v14, 0 op_sel:[0,1,0] op_sel_hi:[0,1,0]
	v_fma_mixlo_f16 v24, v36, v15, 0 op_sel_hi:[0,1,0]
	v_fma_mixlo_f16 v15, v36, v15, 0 op_sel:[0,1,0] op_sel_hi:[0,1,0]
	s_waitcnt vmcnt(0)
	v_mul_f16_e32 v21, v18, v21
	v_mul_f16_sdwa v14, v18, v14 dst_sel:DWORD dst_unused:UNUSED_PAD src0_sel:WORD_1 src1_sel:DWORD
	v_mul_f16_e32 v18, v19, v24
	v_mul_f16_sdwa v15, v19, v15 dst_sel:DWORD dst_unused:UNUSED_PAD src0_sel:WORD_1 src1_sel:DWORD
	v_cvt_f32_f16_e64 v19, |v21|
	v_cvt_f32_f16_e64 v21, |v14|
	;; [unrolled: 1-line block ×4, first 2 shown]
	v_add_co_u32_e32 v14, vcc, s16, v16
	v_addc_co_u32_e32 v15, vcc, v20, v17, vcc
	v_cmp_ge_i64_e32 vcc, v[14:15], v[10:11]
	v_max3_f32 v5, v5, v19, v21
	v_max3_f32 v5, v5, v18, v24
	s_orn2_b64 s[42:43], vcc, exec
	s_branch .LBB61_18
.LBB61_25:
	s_or_b64 exec, exec, s[28:29]
.LBB61_26:
	s_or_b64 exec, exec, s[22:23]
	s_lshr_b32 s13, s45, 6
	v_cvt_f32_u32_e32 v10, s13
	v_lshlrev_b32_e32 v1, 2, v0
	ds_write_b32 v1, v5
	s_sub_i32 s22, 0, s13
	v_rcp_iflag_f32_e32 v5, v10
	s_add_i32 s3, s2, s13
	s_add_i32 s3, s3, -1
	s_ashr_i32 s16, s3, 31
	v_mul_f32_e32 v5, 0x4f7ffffe, v5
	v_cvt_u32_f32_e32 v5, v5
	s_abs_i32 s3, s3
	s_waitcnt lgkmcnt(0)
	s_barrier
	v_readfirstlane_b32 s23, v5
	s_mul_i32 s22, s22, s23
	s_mul_hi_u32 s22, s23, s22
	s_add_i32 s23, s23, s22
	s_mul_hi_u32 s22, s3, s23
	s_mul_i32 s23, s22, s13
	s_sub_i32 s3, s3, s23
	s_add_i32 s23, s22, 1
	s_sub_i32 s24, s3, s13
	s_cmp_ge_u32 s3, s13
	s_cselect_b32 s22, s23, s22
	s_cselect_b32 s3, s24, s3
	s_add_i32 s23, s22, 1
	s_cmp_ge_u32 s3, s13
	s_cselect_b32 s3, s23, s22
	s_xor_b32 s3, s3, s16
	s_sub_i32 s22, s3, s16
	s_ashr_i32 s23, s22, 31
	v_cmp_lt_i64_e64 s[24:25], s[22:23], 1
	s_and_b64 vcc, exec, s[24:25]
	s_cbranch_vccnz .LBB61_48
; %bb.27:
	v_and_b32_e32 v12, 63, v0
	v_add_co_u32_e32 v14, vcc, 32, v12
	v_addc_co_u32_e64 v15, s[24:25], 0, 0, vcc
	v_add_co_u32_e32 v16, vcc, 16, v12
	v_addc_co_u32_e64 v17, s[24:25], 0, 0, vcc
	v_add_co_u32_e32 v18, vcc, 8, v12
	v_lshrrev_b32_e32 v10, 6, v0
	v_addc_co_u32_e64 v19, s[24:25], 0, 0, vcc
	v_add_co_u32_e32 v20, vcc, 4, v12
	v_addc_co_u32_e64 v21, s[24:25], 0, 0, vcc
	v_add_co_u32_e32 v22, vcc, 2, v12
	v_mul_lo_u32 v5, s18, v10
	v_addc_co_u32_e64 v23, s[24:25], 0, 0, vcc
	v_add_co_u32_e32 v24, vcc, 1, v12
	v_lshlrev_b32_e32 v5, 2, v5
	v_lshlrev_b32_e32 v26, 2, v12
	s_movk_i32 s16, 0x100
	v_mov_b32_e32 v11, 0
	v_addc_co_u32_e64 v25, s[24:25], 0, 0, vcc
	v_add3_u32 v5, v5, v26, s16
	s_mul_i32 s16, s18, s13
	s_ashr_i32 s3, s2, 31
	v_mov_b32_e32 v13, v11
	s_lshl_b32 s16, s16, 2
	s_mov_b64 s[24:25], 0
	v_mov_b32_e32 v37, s13
	s_mov_b64 s[26:27], src_shared_base
	s_branch .LBB61_30
.LBB61_28:                              ;   in Loop: Header=BB61_30 Depth=1
	s_or_b64 exec, exec, s[30:31]
	v_mov_b32_e32 v27, s27
	flat_load_dword v26, v[26:27] glc
	s_waitcnt vmcnt(0)
.LBB61_29:                              ;   in Loop: Header=BB61_30 Depth=1
	s_or_b64 exec, exec, s[28:29]
	s_add_u32 s24, s24, 1
	s_addc_u32 s25, s25, 0
	s_cmp_eq_u64 s[24:25], s[22:23]
	v_add_u32_e32 v5, s16, v5
	s_cbranch_scc1 .LBB61_48
.LBB61_30:                              ; =>This Loop Header: Depth=1
                                        ;     Child Loop BB61_33 Depth 2
	v_mad_u64_u32 v[30:31], s[28:29], s24, v37, v[10:11]
	s_mul_i32 s26, s25, s13
	v_add_u32_e32 v31, s26, v31
	v_cmp_gt_i64_e32 vcc, s[2:3], v[30:31]
	s_and_saveexec_b64 s[28:29], vcc
	s_cbranch_execz .LBB61_29
; %bb.31:                               ;   in Loop: Header=BB61_30 Depth=1
	v_pk_mov_b32 v[32:33], s[18:19], s[18:19] op_sel:[0,1]
	v_mul_lo_u32 v29, v31, s18
	v_mul_lo_u32 v38, v30, s19
	v_mad_u64_u32 v[32:33], s[30:31], v30, s18, v[32:33]
	v_add3_u32 v33, v29, v33, v38
	v_mov_b32_e32 v28, s21
	v_cmp_gt_i64_e32 vcc, s[20:21], v[32:33]
	s_waitcnt lgkmcnt(0)
	v_mad_u64_u32 v[26:27], s[30:31], v30, s18, v[12:13]
	v_cndmask_b32_e32 v33, v28, v33, vcc
	v_mov_b32_e32 v28, s17
	v_add3_u32 v27, v29, v27, v38
	v_cndmask_b32_e32 v32, v28, v32, vcc
	v_add_co_u32_e32 v34, vcc, 64, v26
	v_addc_co_u32_e32 v35, vcc, 0, v27, vcc
	v_cmp_lt_i64_e32 vcc, v[34:35], v[32:33]
	v_lshlrev_b32_e32 v28, 2, v26
	s_and_saveexec_b64 s[30:31], vcc
	s_cbranch_execz .LBB61_34
; %bb.32:                               ;   in Loop: Header=BB61_30 Depth=1
	ds_read_b32 v31, v28
	s_mov_b64 s[34:35], 0
	v_mov_b32_e32 v27, v5
.LBB61_33:                              ;   Parent Loop BB61_30 Depth=1
                                        ; =>  This Inner Loop Header: Depth=2
	ds_read_b32 v39, v27
	v_add_co_u32_e32 v34, vcc, 64, v34
	v_addc_co_u32_e32 v35, vcc, 0, v35, vcc
	s_waitcnt lgkmcnt(1)
	v_max_f32_e32 v31, v31, v31
	v_cmp_ge_i64_e32 vcc, v[34:35], v[32:33]
	s_waitcnt lgkmcnt(0)
	v_max_f32_e32 v39, v39, v39
	v_add_u32_e32 v27, 0x100, v27
	s_or_b64 s[34:35], vcc, s[34:35]
	v_max_f32_e32 v31, v31, v39
	ds_write_b32 v28, v31
	s_andn2_b64 exec, exec, s[34:35]
	s_cbranch_execnz .LBB61_33
.LBB61_34:                              ;   in Loop: Header=BB61_30 Depth=1
	s_or_b64 exec, exec, s[30:31]
	v_mad_u64_u32 v[30:31], s[30:31], v30, s18, 0
	v_add3_u32 v27, v31, v38, v29
	v_sub_co_u32_e32 v30, vcc, v32, v30
	v_subb_co_u32_e32 v31, vcc, v33, v27, vcc
	v_cmp_gt_i64_e32 vcc, 64, v[30:31]
	v_cndmask_b32_e32 v31, 0, v31, vcc
	v_cndmask_b32_e32 v30, 64, v30, vcc
	v_cmp_lt_i64_e32 vcc, v[14:15], v[30:31]
	s_and_saveexec_b64 s[30:31], vcc
	s_cbranch_execnz .LBB61_46
; %bb.35:                               ;   in Loop: Header=BB61_30 Depth=1
	s_or_b64 exec, exec, s[30:31]
	v_cmp_lt_i64_e32 vcc, v[16:17], v[30:31]
	s_and_saveexec_b64 s[30:31], vcc
	s_cbranch_execnz .LBB61_47
.LBB61_36:                              ;   in Loop: Header=BB61_30 Depth=1
	s_or_b64 exec, exec, s[30:31]
	v_cmp_lt_i64_e32 vcc, v[18:19], v[30:31]
	s_and_saveexec_b64 s[30:31], vcc
	s_cbranch_execz .LBB61_38
.LBB61_37:                              ;   in Loop: Header=BB61_30 Depth=1
	v_mov_b32_e32 v29, s27
	v_add_u32_e32 v32, 32, v28
	v_mov_b32_e32 v33, s27
	flat_load_dword v27, v[28:29] glc
	s_waitcnt vmcnt(0)
	flat_load_dword v34, v[32:33] glc
	s_waitcnt vmcnt(0) lgkmcnt(0)
	v_max_f32_e32 v27, v27, v27
	v_max_f32_e32 v32, v34, v34
	;; [unrolled: 1-line block ×3, first 2 shown]
	flat_store_dword v[28:29], v27
	s_waitcnt vmcnt(0)
.LBB61_38:                              ;   in Loop: Header=BB61_30 Depth=1
	s_or_b64 exec, exec, s[30:31]
	v_cmp_ge_i64_e32 vcc, v[20:21], v[30:31]
	s_and_saveexec_b64 s[30:31], vcc
	s_xor_b64 s[30:31], exec, s[30:31]
; %bb.39:                               ;   in Loop: Header=BB61_30 Depth=1
                                        ; implicit-def: $vgpr28
; %bb.40:                               ;   in Loop: Header=BB61_30 Depth=1
	s_andn2_saveexec_b64 s[30:31], s[30:31]
	s_cbranch_execz .LBB61_42
; %bb.41:                               ;   in Loop: Header=BB61_30 Depth=1
	v_mov_b32_e32 v29, s27
	v_add_u32_e32 v32, 16, v28
	v_mov_b32_e32 v33, s27
	flat_load_dword v27, v[28:29] glc
	s_waitcnt vmcnt(0)
	flat_load_dword v34, v[32:33] glc
	s_waitcnt vmcnt(0) lgkmcnt(0)
	v_max_f32_e32 v27, v27, v27
	v_max_f32_e32 v32, v34, v34
	;; [unrolled: 1-line block ×3, first 2 shown]
	flat_store_dword v[28:29], v27
	s_waitcnt vmcnt(0)
.LBB61_42:                              ;   in Loop: Header=BB61_30 Depth=1
	s_or_b64 exec, exec, s[30:31]
	v_cmp_lt_i64_e32 vcc, v[22:23], v[30:31]
	v_lshlrev_b32_e32 v26, 2, v26
	s_and_saveexec_b64 s[30:31], vcc
	s_cbranch_execz .LBB61_44
; %bb.43:                               ;   in Loop: Header=BB61_30 Depth=1
	v_mov_b32_e32 v27, s27
	v_add_u32_e32 v28, 8, v26
	v_mov_b32_e32 v29, s27
	flat_load_dword v32, v[26:27] glc
	s_waitcnt vmcnt(0)
	flat_load_dword v33, v[28:29] glc
	s_waitcnt vmcnt(0) lgkmcnt(0)
	v_max_f32_e32 v28, v32, v32
	v_max_f32_e32 v29, v33, v33
	;; [unrolled: 1-line block ×3, first 2 shown]
	flat_store_dword v[26:27], v28
	s_waitcnt vmcnt(0)
.LBB61_44:                              ;   in Loop: Header=BB61_30 Depth=1
	s_or_b64 exec, exec, s[30:31]
	v_cmp_lt_i64_e32 vcc, v[24:25], v[30:31]
	s_and_saveexec_b64 s[30:31], vcc
	s_cbranch_execz .LBB61_28
; %bb.45:                               ;   in Loop: Header=BB61_30 Depth=1
	v_mov_b32_e32 v27, s27
	v_add_u32_e32 v28, 4, v26
	v_mov_b32_e32 v29, s27
	flat_load_dword v30, v[26:27] glc
	s_waitcnt vmcnt(0)
	flat_load_dword v31, v[28:29] glc
	s_waitcnt vmcnt(0) lgkmcnt(0)
	v_max_f32_e32 v28, v30, v30
	v_max_f32_e32 v29, v31, v31
	;; [unrolled: 1-line block ×3, first 2 shown]
	flat_store_dword v[26:27], v28
	s_waitcnt vmcnt(0)
	s_branch .LBB61_28
.LBB61_46:                              ;   in Loop: Header=BB61_30 Depth=1
	v_mov_b32_e32 v29, s27
	v_add_u32_e32 v32, 0x80, v28
	v_mov_b32_e32 v33, s27
	flat_load_dword v27, v[28:29] glc
	s_waitcnt vmcnt(0)
	flat_load_dword v34, v[32:33] glc
	s_waitcnt vmcnt(0) lgkmcnt(0)
	v_max_f32_e32 v27, v27, v27
	v_max_f32_e32 v32, v34, v34
	;; [unrolled: 1-line block ×3, first 2 shown]
	flat_store_dword v[28:29], v27
	s_waitcnt vmcnt(0)
	s_or_b64 exec, exec, s[30:31]
	v_cmp_lt_i64_e32 vcc, v[16:17], v[30:31]
	s_and_saveexec_b64 s[30:31], vcc
	s_cbranch_execz .LBB61_36
.LBB61_47:                              ;   in Loop: Header=BB61_30 Depth=1
	v_mov_b32_e32 v29, s27
	v_add_u32_e32 v32, 64, v28
	v_mov_b32_e32 v33, s27
	flat_load_dword v27, v[28:29] glc
	s_waitcnt vmcnt(0)
	flat_load_dword v34, v[32:33] glc
	s_waitcnt vmcnt(0) lgkmcnt(0)
	v_max_f32_e32 v27, v27, v27
	v_max_f32_e32 v32, v34, v34
	;; [unrolled: 1-line block ×3, first 2 shown]
	flat_store_dword v[28:29], v27
	s_waitcnt vmcnt(0)
	s_or_b64 exec, exec, s[30:31]
	v_cmp_lt_i64_e32 vcc, v[18:19], v[30:31]
	s_and_saveexec_b64 s[30:31], vcc
	s_cbranch_execnz .LBB61_37
	s_branch .LBB61_38
.LBB61_48:
	s_load_dwordx2 s[18:19], s[4:5], 0x40
	v_cmp_eq_u32_e32 vcc, 0, v4
	v_cmp_lt_i64_e64 s[2:3], v[6:7], v[8:9]
	s_and_b64 s[2:3], vcc, s[2:3]
	s_waitcnt lgkmcnt(0)
	s_barrier
	s_and_saveexec_b64 s[22:23], s[2:3]
	s_cbranch_execz .LBB61_55
; %bb.49:
	s_load_dwordx2 s[2:3], s[4:5], 0x20
	ds_read_b32 v1, v1
	s_waitcnt lgkmcnt(0)
	s_cmp_eq_u64 s[2:3], 0
	s_cbranch_scc1 .LBB61_51
; %bb.50:
	s_load_dword s2, s[2:3], 0x0
	v_max_f32_e32 v1, v1, v1
	s_waitcnt lgkmcnt(0)
	v_max_f32_e64 v4, s2, s2
	v_min_f32_e32 v1, v1, v4
.LBB61_51:
	s_add_u32 s3, s18, s46
	s_addc_u32 s4, s19, 0
	s_add_u32 s24, s3, -1
	s_addc_u32 s25, s4, -1
	s_or_b64 s[4:5], s[24:25], s[18:19]
	s_mov_b32 s2, 0
	s_mov_b32 s3, s5
	s_cmp_lg_u64 s[2:3], 0
	s_mov_b64 s[26:27], -1
	s_cbranch_scc0 .LBB61_196
; %bb.52:
	s_ashr_i32 s2, s19, 31
	s_add_u32 s4, s18, s2
	s_mov_b32 s3, s2
	s_addc_u32 s5, s19, s2
	s_xor_b64 s[28:29], s[4:5], s[2:3]
	v_cvt_f32_u32_e32 v4, s28
	v_cvt_f32_u32_e32 v5, s29
	s_sub_u32 s2, 0, s28
	s_subb_u32 s3, 0, s29
	v_madmk_f32 v4, v5, 0x4f800000, v4
	v_rcp_f32_e32 v4, v4
	v_mul_f32_e32 v4, 0x5f7ffffc, v4
	v_mul_f32_e32 v5, 0x2f800000, v4
	v_trunc_f32_e32 v5, v5
	v_madmk_f32 v4, v5, 0xcf800000, v4
	v_cvt_u32_f32_e32 v5, v5
	v_cvt_u32_f32_e32 v4, v4
	v_readfirstlane_b32 s4, v5
	v_readfirstlane_b32 s5, v4
	s_mul_i32 s13, s2, s4
	s_mul_hi_u32 s20, s2, s5
	s_mul_i32 s16, s3, s5
	s_add_i32 s13, s20, s13
	s_add_i32 s13, s13, s16
	s_mul_i32 s30, s2, s5
	s_mul_hi_u32 s16, s5, s13
	s_mul_i32 s20, s5, s13
	s_mul_hi_u32 s5, s5, s30
	s_add_u32 s5, s5, s20
	s_addc_u32 s16, 0, s16
	s_mul_hi_u32 s31, s4, s30
	s_mul_i32 s30, s4, s30
	s_add_u32 s5, s5, s30
	s_mul_hi_u32 s20, s4, s13
	s_addc_u32 s5, s16, s31
	s_addc_u32 s16, s20, 0
	s_mul_i32 s13, s4, s13
	s_add_u32 s5, s5, s13
	s_addc_u32 s13, 0, s16
	v_add_co_u32_e32 v4, vcc, s5, v4
	s_cmp_lg_u64 vcc, 0
	s_addc_u32 s4, s4, s13
	v_readfirstlane_b32 s13, v4
	s_mul_i32 s5, s2, s4
	s_mul_hi_u32 s16, s2, s13
	s_add_i32 s5, s16, s5
	s_mul_i32 s3, s3, s13
	s_add_i32 s5, s5, s3
	s_mul_i32 s2, s2, s13
	s_mul_hi_u32 s16, s4, s2
	s_mul_i32 s20, s4, s2
	s_mul_i32 s31, s13, s5
	s_mul_hi_u32 s2, s13, s2
	s_mul_hi_u32 s30, s13, s5
	s_add_u32 s2, s2, s31
	s_addc_u32 s13, 0, s30
	s_add_u32 s2, s2, s20
	s_mul_hi_u32 s3, s4, s5
	s_addc_u32 s2, s13, s16
	s_addc_u32 s3, s3, 0
	s_mul_i32 s5, s4, s5
	s_add_u32 s2, s2, s5
	s_addc_u32 s3, 0, s3
	v_add_co_u32_e32 v4, vcc, s2, v4
	s_cmp_lg_u64 vcc, 0
	s_addc_u32 s4, s4, s3
	s_ashr_i32 s30, s25, 31
	s_add_u32 s2, s24, s30
	s_mov_b32 s31, s30
	s_addc_u32 s3, s25, s30
	s_xor_b64 s[34:35], s[2:3], s[30:31]
	v_readfirstlane_b32 s5, v4
	s_mul_i32 s3, s34, s4
	s_mul_hi_u32 s13, s34, s5
	s_mul_hi_u32 s2, s34, s4
	s_add_u32 s3, s13, s3
	s_addc_u32 s2, 0, s2
	s_mul_hi_u32 s16, s35, s5
	s_mul_i32 s5, s35, s5
	s_add_u32 s3, s3, s5
	s_mul_hi_u32 s13, s35, s4
	s_addc_u32 s2, s2, s16
	s_addc_u32 s3, s13, 0
	s_mul_i32 s4, s35, s4
	s_add_u32 s2, s2, s4
	s_addc_u32 s3, 0, s3
	s_mul_i32 s3, s28, s3
	s_mul_hi_u32 s4, s28, s2
	s_add_i32 s3, s4, s3
	s_mul_i32 s4, s29, s2
	s_mul_i32 s2, s28, s2
	s_add_i32 s13, s3, s4
	v_mov_b32_e32 v4, s2
	s_sub_i32 s3, s35, s13
	v_sub_co_u32_e32 v4, vcc, s34, v4
	s_cmp_lg_u64 vcc, 0
	s_subb_u32 s16, s3, s29
	v_subrev_co_u32_e64 v5, s[2:3], s28, v4
	s_cmp_lg_u64 s[2:3], 0
	s_subb_u32 s20, s16, 0
	s_cmp_ge_u32 s20, s29
	s_cselect_b32 s31, -1, 0
	v_cmp_le_u32_e64 s[4:5], s28, v5
	s_cmp_eq_u32 s20, s29
	v_cndmask_b32_e64 v6, 0, -1, s[4:5]
	v_mov_b32_e32 v7, s31
	s_cselect_b64 s[4:5], -1, 0
	s_cmp_lg_u64 s[2:3], 0
	v_cndmask_b32_e64 v6, v7, v6, s[4:5]
	s_subb_u32 s4, s16, s29
	v_subrev_co_u32_e64 v7, s[2:3], s28, v5
	s_cmp_lg_u64 s[2:3], 0
	s_subb_u32 s4, s4, 0
	v_cmp_ne_u32_e64 s[2:3], 0, v6
	v_cndmask_b32_e64 v5, v5, v7, s[2:3]
	v_mov_b32_e32 v6, s20
	v_mov_b32_e32 v7, s4
	s_cmp_lg_u64 vcc, 0
	v_cndmask_b32_e64 v6, v6, v7, s[2:3]
	s_subb_u32 s2, s35, s13
	s_cmp_ge_u32 s2, s29
	s_cselect_b32 s3, -1, 0
	v_cmp_le_u32_e32 vcc, s28, v4
	s_cmp_eq_u32 s2, s29
	v_cndmask_b32_e64 v7, 0, -1, vcc
	v_mov_b32_e32 v8, s3
	s_cselect_b64 vcc, -1, 0
	v_cndmask_b32_e32 v7, v8, v7, vcc
	v_cmp_ne_u32_e32 vcc, 0, v7
	v_mov_b32_e32 v8, s2
	v_cndmask_b32_e32 v4, v4, v5, vcc
	v_cndmask_b32_e32 v6, v8, v6, vcc
	v_xor_b32_e32 v4, s30, v4
	v_xor_b32_e32 v5, s30, v6
	v_mov_b32_e32 v6, s30
	v_subrev_co_u32_e32 v4, vcc, s30, v4
	v_subb_co_u32_e32 v5, vcc, v5, v6, vcc
	s_cbranch_execnz .LBB61_54
.LBB61_53:
	v_cvt_f32_u32_e32 v4, s18
	s_sub_i32 s2, 0, s18
	v_rcp_iflag_f32_e32 v4, v4
	v_mul_f32_e32 v4, 0x4f7ffffe, v4
	v_cvt_u32_f32_e32 v4, v4
	v_mul_lo_u32 v5, s2, v4
	v_mul_hi_u32 v5, v4, v5
	v_add_u32_e32 v4, v4, v5
	v_mul_hi_u32 v4, s24, v4
	v_mul_lo_u32 v4, v4, s18
	v_sub_u32_e32 v4, s24, v4
	v_subrev_u32_e32 v5, s18, v4
	v_cmp_le_u32_e32 vcc, s18, v4
	v_cndmask_b32_e32 v4, v4, v5, vcc
	v_subrev_u32_e32 v5, s18, v4
	v_cmp_le_u32_e32 vcc, s18, v4
	v_cndmask_b32_e32 v4, v4, v5, vcc
	v_mov_b32_e32 v5, 0
.LBB61_54:
	s_mov_b32 s4, 0x43600000
	v_div_scale_f32 v6, s[2:3], s4, s4, v1
	v_rcp_f32_e32 v7, v6
	v_div_scale_f32 v8, vcc, v1, s4, v1
	v_fma_f32 v9, -v6, v7, 1.0
	v_fmac_f32_e32 v7, v9, v7
	v_mul_f32_e32 v9, v8, v7
	v_fma_f32 v10, -v6, v9, v8
	v_fmac_f32_e32 v9, v10, v7
	v_fma_f32 v6, -v6, v9, v8
	v_div_fmas_f32 v6, v6, v7, v9
	v_div_fixup_f32 v1, v6, s4, v1
	v_mov_b32_e32 v6, s25
	v_sub_co_u32_e32 v4, vcc, s24, v4
	v_subb_co_u32_e32 v5, vcc, v6, v5, vcc
	v_mul_lo_u32 v5, v5, v2
	v_mul_lo_u32 v6, v4, v3
	v_mad_u64_u32 v[2:3], s[2:3], v4, v2, 0
	s_lshl_b64 s[2:3], s[6:7], 2
	v_add3_u32 v3, v3, v6, v5
	s_add_u32 s2, s2, s10
	v_lshlrev_b64 v[2:3], 2, v[2:3]
	s_addc_u32 s3, s3, s11
	v_mov_b32_e32 v4, s3
	v_add_co_u32_e32 v2, vcc, s2, v2
	v_max_f32_e32 v1, 0x37124925, v1
	v_addc_co_u32_e32 v3, vcc, v4, v3, vcc
	global_store_dword v[2:3], v1, off
.LBB61_55:
	s_or_b64 exec, exec, s[22:23]
	s_barrier
	s_and_saveexec_b64 s[2:3], s[0:1]
	s_cbranch_execz .LBB61_195
; %bb.56:
	s_add_u32 s1, s18, s46
	s_addc_u32 s2, s19, 0
	s_add_u32 s4, s1, -1
	s_addc_u32 s5, s2, -1
	s_or_b64 s[2:3], s[4:5], s[18:19]
	s_mov_b32 s0, 0
	s_mov_b32 s1, s3
	s_cmp_lg_u64 s[0:1], 0
	s_mov_b64 s[22:23], -1
	s_cbranch_scc0 .LBB61_197
; %bb.57:
	s_ashr_i32 s0, s19, 31
	s_add_u32 s2, s18, s0
	s_mov_b32 s1, s0
	s_addc_u32 s3, s19, s0
	s_xor_b64 s[24:25], s[2:3], s[0:1]
	v_cvt_f32_u32_e32 v1, s24
	v_cvt_f32_u32_e32 v2, s25
	s_sub_u32 s0, 0, s24
	s_subb_u32 s1, 0, s25
	v_madmk_f32 v1, v2, 0x4f800000, v1
	v_rcp_f32_e32 v1, v1
	v_mul_f32_e32 v1, 0x5f7ffffc, v1
	v_mul_f32_e32 v2, 0x2f800000, v1
	v_trunc_f32_e32 v2, v2
	v_madmk_f32 v1, v2, 0xcf800000, v1
	v_cvt_u32_f32_e32 v2, v2
	v_cvt_u32_f32_e32 v1, v1
	v_readfirstlane_b32 s2, v2
	v_readfirstlane_b32 s3, v1
	s_mul_i32 s13, s0, s2
	s_mul_hi_u32 s19, s0, s3
	s_mul_i32 s16, s1, s3
	s_add_i32 s13, s19, s13
	s_add_i32 s13, s13, s16
	s_mul_i32 s20, s0, s3
	s_mul_hi_u32 s16, s3, s13
	s_mul_i32 s19, s3, s13
	s_mul_hi_u32 s3, s3, s20
	s_add_u32 s3, s3, s19
	s_addc_u32 s16, 0, s16
	s_mul_hi_u32 s26, s2, s20
	s_mul_i32 s20, s2, s20
	s_add_u32 s3, s3, s20
	s_mul_hi_u32 s19, s2, s13
	s_addc_u32 s3, s16, s26
	s_addc_u32 s16, s19, 0
	s_mul_i32 s13, s2, s13
	s_add_u32 s3, s3, s13
	s_addc_u32 s13, 0, s16
	v_add_co_u32_e32 v1, vcc, s3, v1
	s_cmp_lg_u64 vcc, 0
	s_addc_u32 s2, s2, s13
	v_readfirstlane_b32 s13, v1
	s_mul_i32 s3, s0, s2
	s_mul_hi_u32 s16, s0, s13
	s_add_i32 s3, s16, s3
	s_mul_i32 s1, s1, s13
	s_add_i32 s3, s3, s1
	s_mul_i32 s0, s0, s13
	s_mul_hi_u32 s16, s2, s0
	s_mul_i32 s19, s2, s0
	s_mul_i32 s26, s13, s3
	s_mul_hi_u32 s0, s13, s0
	s_mul_hi_u32 s20, s13, s3
	s_add_u32 s0, s0, s26
	s_addc_u32 s13, 0, s20
	s_add_u32 s0, s0, s19
	s_mul_hi_u32 s1, s2, s3
	s_addc_u32 s0, s13, s16
	s_addc_u32 s1, s1, 0
	s_mul_i32 s3, s2, s3
	s_add_u32 s0, s0, s3
	s_addc_u32 s1, 0, s1
	v_add_co_u32_e32 v1, vcc, s0, v1
	s_cmp_lg_u64 vcc, 0
	s_addc_u32 s2, s2, s1
	s_ashr_i32 s26, s5, 31
	s_add_u32 s0, s4, s26
	s_mov_b32 s27, s26
	s_addc_u32 s1, s5, s26
	s_xor_b64 s[28:29], s[0:1], s[26:27]
	v_readfirstlane_b32 s3, v1
	s_mul_i32 s1, s28, s2
	s_mul_hi_u32 s13, s28, s3
	s_mul_hi_u32 s0, s28, s2
	s_add_u32 s1, s13, s1
	s_addc_u32 s0, 0, s0
	s_mul_hi_u32 s16, s29, s3
	s_mul_i32 s3, s29, s3
	s_add_u32 s1, s1, s3
	s_mul_hi_u32 s13, s29, s2
	s_addc_u32 s0, s0, s16
	s_addc_u32 s1, s13, 0
	s_mul_i32 s2, s29, s2
	s_add_u32 s0, s0, s2
	s_addc_u32 s1, 0, s1
	s_mul_i32 s1, s24, s1
	s_mul_hi_u32 s2, s24, s0
	s_add_i32 s1, s2, s1
	s_mul_i32 s2, s25, s0
	s_mul_i32 s0, s24, s0
	s_add_i32 s13, s1, s2
	v_mov_b32_e32 v1, s0
	s_sub_i32 s1, s29, s13
	v_sub_co_u32_e32 v1, vcc, s28, v1
	s_cmp_lg_u64 vcc, 0
	s_subb_u32 s16, s1, s25
	v_subrev_co_u32_e64 v2, s[0:1], s24, v1
	s_cmp_lg_u64 s[0:1], 0
	s_subb_u32 s19, s16, 0
	s_cmp_ge_u32 s19, s25
	s_cselect_b32 s20, -1, 0
	v_cmp_le_u32_e64 s[2:3], s24, v2
	s_cmp_eq_u32 s19, s25
	v_cndmask_b32_e64 v3, 0, -1, s[2:3]
	v_mov_b32_e32 v4, s20
	s_cselect_b64 s[2:3], -1, 0
	s_cmp_lg_u64 s[0:1], 0
	v_cndmask_b32_e64 v3, v4, v3, s[2:3]
	s_subb_u32 s2, s16, s25
	v_subrev_co_u32_e64 v4, s[0:1], s24, v2
	s_cmp_lg_u64 s[0:1], 0
	s_subb_u32 s2, s2, 0
	v_cmp_ne_u32_e64 s[0:1], 0, v3
	v_cndmask_b32_e64 v2, v2, v4, s[0:1]
	v_mov_b32_e32 v3, s19
	v_mov_b32_e32 v4, s2
	s_cmp_lg_u64 vcc, 0
	v_cndmask_b32_e64 v3, v3, v4, s[0:1]
	s_subb_u32 s0, s29, s13
	s_cmp_ge_u32 s0, s25
	s_cselect_b32 s1, -1, 0
	v_cmp_le_u32_e32 vcc, s24, v1
	s_cmp_eq_u32 s0, s25
	v_cndmask_b32_e64 v4, 0, -1, vcc
	v_mov_b32_e32 v5, s1
	s_cselect_b64 vcc, -1, 0
	v_cndmask_b32_e32 v4, v5, v4, vcc
	v_cmp_ne_u32_e32 vcc, 0, v4
	v_mov_b32_e32 v5, s0
	v_cndmask_b32_e32 v1, v1, v2, vcc
	v_cndmask_b32_e32 v3, v5, v3, vcc
	v_xor_b32_e32 v1, s26, v1
	v_xor_b32_e32 v3, s26, v3
	v_mov_b32_e32 v4, s26
	v_subrev_co_u32_e32 v2, vcc, s26, v1
	v_subb_co_u32_e32 v3, vcc, v3, v4, vcc
	s_cbranch_execnz .LBB61_59
.LBB61_58:
	v_cvt_f32_u32_e32 v1, s18
	s_sub_i32 s0, 0, s18
	v_mov_b32_e32 v3, 0
	v_rcp_iflag_f32_e32 v1, v1
	v_mul_f32_e32 v1, 0x4f7ffffe, v1
	v_cvt_u32_f32_e32 v1, v1
	v_mul_lo_u32 v2, s0, v1
	v_mul_hi_u32 v2, v1, v2
	v_add_u32_e32 v1, v1, v2
	v_mul_hi_u32 v1, s4, v1
	v_mul_lo_u32 v1, v1, s18
	v_sub_u32_e32 v1, s4, v1
	v_subrev_u32_e32 v2, s18, v1
	v_cmp_le_u32_e32 vcc, s18, v1
	v_cndmask_b32_e32 v1, v1, v2, vcc
	v_subrev_u32_e32 v2, s18, v1
	v_cmp_le_u32_e32 vcc, s18, v1
	v_cndmask_b32_e32 v2, v1, v2, vcc
.LBB61_59:
	s_mul_i32 s0, s21, s6
	s_mul_hi_u32 s1, s17, s6
	s_add_i32 s1, s1, s0
	s_mul_i32 s0, s17, s6
	s_add_u32 s13, s8, s0
	s_addc_u32 s18, s9, s1
	s_lshl_b64 s[0:1], s[6:7], 2
	s_add_u32 s19, s10, s0
	s_addc_u32 s20, s11, s1
	v_mov_b32_e32 v1, s5
	v_sub_co_u32_e32 v10, vcc, s4, v2
	v_subb_co_u32_e32 v11, vcc, v1, v3, vcc
	s_mul_i32 s21, s45, 3
	s_lshl_b32 s22, s45, 1
	s_mov_b64 s[0:1], 0
	v_mov_b32_e32 v1, 0
	v_mov_b32_e32 v12, s44
	v_mov_b32_e32 v13, s15
	v_mov_b32_e32 v14, s20
	s_mov_b32 s23, 0x43800000
	s_mov_b32 s24, 0x3bffffff
	;; [unrolled: 1-line block ×4, first 2 shown]
	s_movk_i32 s27, 0x80
	s_mov_b32 s28, 0x4020c0c
	s_branch .LBB61_65
.LBB61_60:                              ;   in Loop: Header=BB61_65 Depth=1
	s_or_b64 exec, exec, s[16:17]
.LBB61_61:                              ;   in Loop: Header=BB61_65 Depth=1
	s_or_b64 exec, exec, s[8:9]
	v_lshlrev_b64 v[16:17], 2, v[0:1]
	v_mov_b32_e32 v0, s18
	v_add_co_u32_e32 v16, vcc, s13, v16
	v_addc_co_u32_e32 v17, vcc, v0, v17, vcc
	v_lshlrev_b32_e32 v0, 16, v6
	v_lshlrev_b32_e32 v3, 8, v3
	v_perm_b32 v0, v4, v0, s28
	v_and_b32_e32 v3, 0xff00, v3
	v_and_b32_e32 v4, 0xff, v8
	s_add_i32 s8, s45, s45
	v_or3_b32 v0, v0, v3, v4
	s_add_i32 s8, s8, s45
	global_store_dword v[16:17], v0, off
	v_add_u32_e32 v0, s8, v2
	v_cmp_le_u32_e32 vcc, s12, v0
	s_orn2_b64 s[8:9], vcc, exec
.LBB61_62:                              ;   in Loop: Header=BB61_65 Depth=1
	s_or_b64 exec, exec, s[6:7]
	s_orn2_b64 s[6:7], s[8:9], exec
.LBB61_63:                              ;   in Loop: Header=BB61_65 Depth=1
	s_or_b64 exec, exec, s[4:5]
	s_orn2_b64 s[4:5], s[6:7], exec
.LBB61_64:                              ;   in Loop: Header=BB61_65 Depth=1
	s_or_b64 exec, exec, s[2:3]
	s_and_b64 s[2:3], exec, s[4:5]
	s_or_b64 s[0:1], s[2:3], s[0:1]
	s_andn2_b64 exec, exec, s[0:1]
	s_cbranch_execz .LBB61_195
.LBB61_65:                              ; =>This Inner Loop Header: Depth=1
	v_lshlrev_b64 v[4:5], 3, v[0:1]
	v_add_co_u32_e32 v2, vcc, s33, v4
	v_addc_co_u32_e32 v3, vcc, v12, v5, vcc
	v_bfe_u32 v9, v0, 4, 26
	v_add_co_u32_e32 v4, vcc, s14, v4
	v_mad_u64_u32 v[6:7], s[2:3], v10, v9, 0
	global_load_dwordx2 v[2:3], v[2:3], off
	v_addc_co_u32_e32 v5, vcc, v13, v5, vcc
	v_mov_b32_e32 v8, v7
	global_load_dwordx2 v[4:5], v[4:5], off
	v_mad_u64_u32 v[8:9], s[2:3], v11, v9, v[8:9]
	v_mov_b32_e32 v7, v8
	v_lshlrev_b64 v[6:7], 2, v[6:7]
	v_add_co_u32_e32 v6, vcc, s19, v6
	v_addc_co_u32_e32 v7, vcc, v14, v7, vcc
	global_load_dword v7, v[6:7], off
	s_waitcnt vmcnt(2)
	v_fma_mixlo_f16 v6, v36, v2, 0 op_sel_hi:[0,1,0]
	s_waitcnt vmcnt(1)
	v_mul_f16_e32 v6, v4, v6
	v_cvt_f32_f16_e32 v8, v6
	v_mov_b32_e32 v6, 0x80
	s_waitcnt vmcnt(0)
	v_div_scale_f32 v9, s[2:3], v7, v7, v8
	v_rcp_f32_e32 v15, v9
	v_div_scale_f32 v16, vcc, v8, v7, v8
	v_fma_f32 v17, -v9, v15, 1.0
	v_fmac_f32_e32 v15, v17, v15
	v_mul_f32_e32 v17, v16, v15
	v_fma_f32 v18, -v9, v17, v16
	v_fmac_f32_e32 v17, v18, v15
	v_fma_f32 v9, -v9, v17, v16
	v_div_fmas_f32 v9, v9, v15, v17
	v_div_fixup_f32 v8, v9, v7, v8
	v_min_f32_e32 v8, 0x43600000, v8
	v_max_f32_e32 v9, 0xc3600000, v8
	v_and_b32_e32 v15, 0x7fffffff, v9
	v_cmp_gt_u32_e32 vcc, s23, v15
	v_mov_b32_e32 v8, 0x80
	s_and_saveexec_b64 s[2:3], vcc
	s_cbranch_execz .LBB61_71
; %bb.66:                               ;   in Loop: Header=BB61_65 Depth=1
	v_cmp_lt_u32_e32 vcc, s24, v15
	s_mov_b64 s[4:5], 0
                                        ; implicit-def: $vgpr15
	s_and_saveexec_b64 s[6:7], vcc
	s_xor_b64 s[6:7], exec, s[6:7]
	s_cbranch_execnz .LBB61_162
; %bb.67:                               ;   in Loop: Header=BB61_65 Depth=1
	s_or_saveexec_b64 s[6:7], s[6:7]
                                        ; implicit-def: $sgpr8
	s_xor_b64 exec, exec, s[6:7]
	s_cbranch_execnz .LBB61_163
.LBB61_68:                              ;   in Loop: Header=BB61_65 Depth=1
	s_or_b64 exec, exec, s[6:7]
	v_mov_b32_e32 v8, s8
	s_and_saveexec_b64 s[6:7], s[4:5]
.LBB61_69:                              ;   in Loop: Header=BB61_65 Depth=1
	v_lshrrev_b32_e32 v8, 24, v9
	v_and_or_b32 v8, v8, s27, v15
.LBB61_70:                              ;   in Loop: Header=BB61_65 Depth=1
	s_or_b64 exec, exec, s[6:7]
.LBB61_71:                              ;   in Loop: Header=BB61_65 Depth=1
	s_or_b64 exec, exec, s[2:3]
	v_fma_mixlo_f16 v2, v36, v2, 0 op_sel:[0,1,0] op_sel_hi:[0,1,0]
	v_mul_f16_sdwa v2, v4, v2 dst_sel:DWORD dst_unused:UNUSED_PAD src0_sel:WORD_1 src1_sel:DWORD
	v_cvt_f32_f16_e32 v2, v2
	v_div_scale_f32 v4, s[2:3], v7, v7, v2
	v_rcp_f32_e32 v9, v4
	v_div_scale_f32 v15, vcc, v2, v7, v2
	v_fma_f32 v16, -v4, v9, 1.0
	v_fmac_f32_e32 v9, v16, v9
	v_mul_f32_e32 v16, v15, v9
	v_fma_f32 v17, -v4, v16, v15
	v_fmac_f32_e32 v16, v17, v9
	v_fma_f32 v4, -v4, v16, v15
	v_div_fmas_f32 v4, v4, v9, v16
	v_div_fixup_f32 v2, v4, v7, v2
	v_min_f32_e32 v2, 0x43600000, v2
	v_max_f32_e32 v2, 0xc3600000, v2
	v_and_b32_e32 v4, 0x7fffffff, v2
	v_cmp_gt_u32_e32 vcc, s23, v4
	s_and_saveexec_b64 s[2:3], vcc
	s_cbranch_execz .LBB61_77
; %bb.72:                               ;   in Loop: Header=BB61_65 Depth=1
	v_cmp_lt_u32_e32 vcc, s24, v4
	s_mov_b64 s[4:5], 0
                                        ; implicit-def: $vgpr4
	s_and_saveexec_b64 s[6:7], vcc
	s_xor_b64 s[6:7], exec, s[6:7]
	s_cbranch_execnz .LBB61_164
; %bb.73:                               ;   in Loop: Header=BB61_65 Depth=1
	s_or_saveexec_b64 s[6:7], s[6:7]
                                        ; implicit-def: $sgpr8
	s_xor_b64 exec, exec, s[6:7]
	s_cbranch_execnz .LBB61_165
.LBB61_74:                              ;   in Loop: Header=BB61_65 Depth=1
	s_or_b64 exec, exec, s[6:7]
	v_mov_b32_e32 v6, s8
	s_and_saveexec_b64 s[6:7], s[4:5]
.LBB61_75:                              ;   in Loop: Header=BB61_65 Depth=1
	v_lshrrev_b32_e32 v2, 24, v2
	v_and_or_b32 v6, v2, s27, v4
.LBB61_76:                              ;   in Loop: Header=BB61_65 Depth=1
	s_or_b64 exec, exec, s[6:7]
.LBB61_77:                              ;   in Loop: Header=BB61_65 Depth=1
	s_or_b64 exec, exec, s[2:3]
	v_fma_mixlo_f16 v2, v36, v3, 0 op_sel_hi:[0,1,0]
	v_mul_f16_e32 v2, v5, v2
	v_cvt_f32_f16_e32 v4, v2
	v_mov_b32_e32 v2, 0x80
	v_div_scale_f32 v9, s[2:3], v7, v7, v4
	v_rcp_f32_e32 v15, v9
	v_div_scale_f32 v16, vcc, v4, v7, v4
	v_fma_f32 v17, -v9, v15, 1.0
	v_fmac_f32_e32 v15, v17, v15
	v_mul_f32_e32 v17, v16, v15
	v_fma_f32 v18, -v9, v17, v16
	v_fmac_f32_e32 v17, v18, v15
	v_fma_f32 v9, -v9, v17, v16
	v_div_fmas_f32 v9, v9, v15, v17
	v_div_fixup_f32 v4, v9, v7, v4
	v_min_f32_e32 v4, 0x43600000, v4
	v_max_f32_e32 v9, 0xc3600000, v4
	v_and_b32_e32 v15, 0x7fffffff, v9
	v_cmp_gt_u32_e32 vcc, s23, v15
	v_mov_b32_e32 v4, 0x80
	s_and_saveexec_b64 s[2:3], vcc
	s_cbranch_execz .LBB61_83
; %bb.78:                               ;   in Loop: Header=BB61_65 Depth=1
	v_cmp_lt_u32_e32 vcc, s24, v15
	s_mov_b64 s[4:5], 0
                                        ; implicit-def: $vgpr15
	s_and_saveexec_b64 s[6:7], vcc
	s_xor_b64 s[6:7], exec, s[6:7]
	s_cbranch_execnz .LBB61_166
; %bb.79:                               ;   in Loop: Header=BB61_65 Depth=1
	s_or_saveexec_b64 s[6:7], s[6:7]
                                        ; implicit-def: $sgpr8
	s_xor_b64 exec, exec, s[6:7]
	s_cbranch_execnz .LBB61_167
.LBB61_80:                              ;   in Loop: Header=BB61_65 Depth=1
	s_or_b64 exec, exec, s[6:7]
	v_mov_b32_e32 v4, s8
	s_and_saveexec_b64 s[6:7], s[4:5]
.LBB61_81:                              ;   in Loop: Header=BB61_65 Depth=1
	v_lshrrev_b32_e32 v4, 24, v9
	v_and_or_b32 v4, v4, s27, v15
.LBB61_82:                              ;   in Loop: Header=BB61_65 Depth=1
	s_or_b64 exec, exec, s[6:7]
.LBB61_83:                              ;   in Loop: Header=BB61_65 Depth=1
	s_or_b64 exec, exec, s[2:3]
	v_fma_mixlo_f16 v3, v36, v3, 0 op_sel:[0,1,0] op_sel_hi:[0,1,0]
	v_mul_f16_sdwa v3, v5, v3 dst_sel:DWORD dst_unused:UNUSED_PAD src0_sel:WORD_1 src1_sel:DWORD
	v_cvt_f32_f16_e32 v3, v3
	v_div_scale_f32 v5, s[2:3], v7, v7, v3
	v_rcp_f32_e32 v9, v5
	v_div_scale_f32 v15, vcc, v3, v7, v3
	v_fma_f32 v16, -v5, v9, 1.0
	v_fmac_f32_e32 v9, v16, v9
	v_mul_f32_e32 v16, v15, v9
	v_fma_f32 v17, -v5, v16, v15
	v_fmac_f32_e32 v16, v17, v9
	v_fma_f32 v5, -v5, v16, v15
	v_div_fmas_f32 v5, v5, v9, v16
	v_div_fixup_f32 v3, v5, v7, v3
	v_min_f32_e32 v3, 0x43600000, v3
	v_max_f32_e32 v3, 0xc3600000, v3
	v_and_b32_e32 v5, 0x7fffffff, v3
	v_cmp_gt_u32_e32 vcc, s23, v5
	s_and_saveexec_b64 s[2:3], vcc
	s_cbranch_execz .LBB61_89
; %bb.84:                               ;   in Loop: Header=BB61_65 Depth=1
	v_cmp_lt_u32_e32 vcc, s24, v5
	s_mov_b64 s[4:5], 0
                                        ; implicit-def: $vgpr5
	s_and_saveexec_b64 s[6:7], vcc
	s_xor_b64 s[6:7], exec, s[6:7]
	s_cbranch_execnz .LBB61_168
; %bb.85:                               ;   in Loop: Header=BB61_65 Depth=1
	s_or_saveexec_b64 s[6:7], s[6:7]
                                        ; implicit-def: $sgpr8
	s_xor_b64 exec, exec, s[6:7]
	s_cbranch_execnz .LBB61_169
.LBB61_86:                              ;   in Loop: Header=BB61_65 Depth=1
	s_or_b64 exec, exec, s[6:7]
	v_mov_b32_e32 v2, s8
	s_and_saveexec_b64 s[6:7], s[4:5]
.LBB61_87:                              ;   in Loop: Header=BB61_65 Depth=1
	v_lshrrev_b32_e32 v2, 24, v3
	v_and_or_b32 v2, v2, s27, v5
.LBB61_88:                              ;   in Loop: Header=BB61_65 Depth=1
	s_or_b64 exec, exec, s[6:7]
.LBB61_89:                              ;   in Loop: Header=BB61_65 Depth=1
	s_or_b64 exec, exec, s[2:3]
	v_lshlrev_b64 v[16:17], 2, v[0:1]
	v_mov_b32_e32 v3, s18
	v_add_co_u32_e32 v16, vcc, s13, v16
	v_addc_co_u32_e32 v17, vcc, v3, v17, vcc
	v_lshlrev_b32_e32 v3, 16, v4
	v_perm_b32 v2, v2, v3, s28
	v_lshlrev_b32_e32 v3, 8, v6
	v_and_b32_e32 v3, 0xff00, v3
	v_and_b32_e32 v4, 0xff, v8
	v_or3_b32 v2, v2, v3, v4
	global_store_dword v[16:17], v2, off
	v_add_u32_e32 v2, s45, v0
	v_cmp_gt_u32_e32 vcc, s12, v2
	s_mov_b64 s[4:5], -1
	s_and_saveexec_b64 s[2:3], vcc
	s_cbranch_execz .LBB61_64
; %bb.90:                               ;   in Loop: Header=BB61_65 Depth=1
	v_mov_b32_e32 v3, v1
	v_lshlrev_b64 v[6:7], 3, v[2:3]
	v_mov_b32_e32 v5, s44
	v_add_co_u32_e32 v4, vcc, s33, v6
	v_addc_co_u32_e32 v5, vcc, v5, v7, vcc
	v_mov_b32_e32 v8, s15
	v_add_co_u32_e32 v6, vcc, s14, v6
	v_bfe_u32 v15, v2, 4, 26
	v_addc_co_u32_e32 v7, vcc, v8, v7, vcc
	v_mad_u64_u32 v[8:9], s[4:5], v10, v15, 0
	global_load_dwordx2 v[4:5], v[4:5], off
	v_mov_b32_e32 v16, v9
	global_load_dwordx2 v[6:7], v[6:7], off
	v_mad_u64_u32 v[16:17], s[4:5], v11, v15, v[16:17]
	v_mov_b32_e32 v9, v16
	v_lshlrev_b64 v[8:9], 2, v[8:9]
	v_mov_b32_e32 v15, s20
	v_add_co_u32_e32 v8, vcc, s19, v8
	v_addc_co_u32_e32 v9, vcc, v15, v9, vcc
	global_load_dword v15, v[8:9], off
	s_waitcnt vmcnt(2)
	v_fma_mixlo_f16 v8, v36, v4, 0 op_sel_hi:[0,1,0]
	s_waitcnt vmcnt(1)
	v_mul_f16_e32 v8, v6, v8
	v_cvt_f32_f16_e32 v9, v8
	v_mov_b32_e32 v8, 0x80
	s_waitcnt vmcnt(0)
	v_div_scale_f32 v16, s[4:5], v15, v15, v9
	v_rcp_f32_e32 v17, v16
	v_div_scale_f32 v18, vcc, v9, v15, v9
	v_fma_f32 v19, -v16, v17, 1.0
	v_fmac_f32_e32 v17, v19, v17
	v_mul_f32_e32 v19, v18, v17
	v_fma_f32 v20, -v16, v19, v18
	v_fmac_f32_e32 v19, v20, v17
	v_fma_f32 v16, -v16, v19, v18
	v_div_fmas_f32 v16, v16, v17, v19
	v_div_fixup_f32 v9, v16, v15, v9
	v_min_f32_e32 v9, 0x43600000, v9
	v_max_f32_e32 v16, 0xc3600000, v9
	v_and_b32_e32 v17, 0x7fffffff, v16
	v_cmp_gt_u32_e32 vcc, s23, v17
	v_mov_b32_e32 v9, 0x80
	s_and_saveexec_b64 s[4:5], vcc
	s_cbranch_execz .LBB61_96
; %bb.91:                               ;   in Loop: Header=BB61_65 Depth=1
	v_cmp_lt_u32_e32 vcc, s24, v17
	s_mov_b64 s[6:7], 0
                                        ; implicit-def: $vgpr17
	s_and_saveexec_b64 s[8:9], vcc
	s_xor_b64 s[8:9], exec, s[8:9]
	s_cbranch_execnz .LBB61_170
; %bb.92:                               ;   in Loop: Header=BB61_65 Depth=1
	s_or_saveexec_b64 s[8:9], s[8:9]
                                        ; implicit-def: $sgpr10
	s_xor_b64 exec, exec, s[8:9]
	s_cbranch_execnz .LBB61_171
.LBB61_93:                              ;   in Loop: Header=BB61_65 Depth=1
	s_or_b64 exec, exec, s[8:9]
	v_mov_b32_e32 v9, s10
	s_and_saveexec_b64 s[8:9], s[6:7]
.LBB61_94:                              ;   in Loop: Header=BB61_65 Depth=1
	v_lshrrev_b32_e32 v9, 24, v16
	v_and_or_b32 v9, v9, s27, v17
.LBB61_95:                              ;   in Loop: Header=BB61_65 Depth=1
	s_or_b64 exec, exec, s[8:9]
.LBB61_96:                              ;   in Loop: Header=BB61_65 Depth=1
	s_or_b64 exec, exec, s[4:5]
	v_fma_mixlo_f16 v4, v36, v4, 0 op_sel:[0,1,0] op_sel_hi:[0,1,0]
	v_mul_f16_sdwa v4, v6, v4 dst_sel:DWORD dst_unused:UNUSED_PAD src0_sel:WORD_1 src1_sel:DWORD
	v_cvt_f32_f16_e32 v4, v4
	v_div_scale_f32 v6, s[4:5], v15, v15, v4
	v_rcp_f32_e32 v16, v6
	v_div_scale_f32 v17, vcc, v4, v15, v4
	v_fma_f32 v18, -v6, v16, 1.0
	v_fmac_f32_e32 v16, v18, v16
	v_mul_f32_e32 v18, v17, v16
	v_fma_f32 v19, -v6, v18, v17
	v_fmac_f32_e32 v18, v19, v16
	v_fma_f32 v6, -v6, v18, v17
	v_div_fmas_f32 v6, v6, v16, v18
	v_div_fixup_f32 v4, v6, v15, v4
	v_min_f32_e32 v4, 0x43600000, v4
	v_max_f32_e32 v4, 0xc3600000, v4
	v_and_b32_e32 v6, 0x7fffffff, v4
	v_cmp_gt_u32_e32 vcc, s23, v6
	s_and_saveexec_b64 s[4:5], vcc
	s_cbranch_execz .LBB61_102
; %bb.97:                               ;   in Loop: Header=BB61_65 Depth=1
	v_cmp_lt_u32_e32 vcc, s24, v6
	s_mov_b64 s[6:7], 0
                                        ; implicit-def: $vgpr6
	s_and_saveexec_b64 s[8:9], vcc
	s_xor_b64 s[8:9], exec, s[8:9]
	s_cbranch_execnz .LBB61_172
; %bb.98:                               ;   in Loop: Header=BB61_65 Depth=1
	s_or_saveexec_b64 s[8:9], s[8:9]
                                        ; implicit-def: $sgpr10
	s_xor_b64 exec, exec, s[8:9]
	s_cbranch_execnz .LBB61_173
.LBB61_99:                              ;   in Loop: Header=BB61_65 Depth=1
	s_or_b64 exec, exec, s[8:9]
	v_mov_b32_e32 v8, s10
	s_and_saveexec_b64 s[8:9], s[6:7]
.LBB61_100:                             ;   in Loop: Header=BB61_65 Depth=1
	v_lshrrev_b32_e32 v4, 24, v4
	v_and_or_b32 v8, v4, s27, v6
.LBB61_101:                             ;   in Loop: Header=BB61_65 Depth=1
	s_or_b64 exec, exec, s[8:9]
.LBB61_102:                             ;   in Loop: Header=BB61_65 Depth=1
	s_or_b64 exec, exec, s[4:5]
	v_fma_mixlo_f16 v4, v36, v5, 0 op_sel_hi:[0,1,0]
	v_mul_f16_e32 v4, v7, v4
	v_cvt_f32_f16_e32 v6, v4
	v_mov_b32_e32 v4, 0x80
	v_div_scale_f32 v16, s[4:5], v15, v15, v6
	v_rcp_f32_e32 v17, v16
	v_div_scale_f32 v18, vcc, v6, v15, v6
	v_fma_f32 v19, -v16, v17, 1.0
	v_fmac_f32_e32 v17, v19, v17
	v_mul_f32_e32 v19, v18, v17
	v_fma_f32 v20, -v16, v19, v18
	v_fmac_f32_e32 v19, v20, v17
	v_fma_f32 v16, -v16, v19, v18
	v_div_fmas_f32 v16, v16, v17, v19
	v_div_fixup_f32 v6, v16, v15, v6
	v_min_f32_e32 v6, 0x43600000, v6
	v_max_f32_e32 v16, 0xc3600000, v6
	v_and_b32_e32 v17, 0x7fffffff, v16
	v_cmp_gt_u32_e32 vcc, s23, v17
	v_mov_b32_e32 v6, 0x80
	s_and_saveexec_b64 s[4:5], vcc
	s_cbranch_execz .LBB61_108
; %bb.103:                              ;   in Loop: Header=BB61_65 Depth=1
	v_cmp_lt_u32_e32 vcc, s24, v17
	s_mov_b64 s[6:7], 0
                                        ; implicit-def: $vgpr17
	s_and_saveexec_b64 s[8:9], vcc
	s_xor_b64 s[8:9], exec, s[8:9]
	s_cbranch_execnz .LBB61_174
; %bb.104:                              ;   in Loop: Header=BB61_65 Depth=1
	s_or_saveexec_b64 s[8:9], s[8:9]
                                        ; implicit-def: $sgpr10
	s_xor_b64 exec, exec, s[8:9]
	s_cbranch_execnz .LBB61_175
.LBB61_105:                             ;   in Loop: Header=BB61_65 Depth=1
	s_or_b64 exec, exec, s[8:9]
	v_mov_b32_e32 v6, s10
	s_and_saveexec_b64 s[8:9], s[6:7]
.LBB61_106:                             ;   in Loop: Header=BB61_65 Depth=1
	v_lshrrev_b32_e32 v6, 24, v16
	v_and_or_b32 v6, v6, s27, v17
.LBB61_107:                             ;   in Loop: Header=BB61_65 Depth=1
	s_or_b64 exec, exec, s[8:9]
.LBB61_108:                             ;   in Loop: Header=BB61_65 Depth=1
	s_or_b64 exec, exec, s[4:5]
	v_fma_mixlo_f16 v5, v36, v5, 0 op_sel:[0,1,0] op_sel_hi:[0,1,0]
	v_mul_f16_sdwa v5, v7, v5 dst_sel:DWORD dst_unused:UNUSED_PAD src0_sel:WORD_1 src1_sel:DWORD
	v_cvt_f32_f16_e32 v5, v5
	v_div_scale_f32 v7, s[4:5], v15, v15, v5
	v_rcp_f32_e32 v16, v7
	v_div_scale_f32 v17, vcc, v5, v15, v5
	v_fma_f32 v18, -v7, v16, 1.0
	v_fmac_f32_e32 v16, v18, v16
	v_mul_f32_e32 v18, v17, v16
	v_fma_f32 v19, -v7, v18, v17
	v_fmac_f32_e32 v18, v19, v16
	v_fma_f32 v7, -v7, v18, v17
	v_div_fmas_f32 v7, v7, v16, v18
	v_div_fixup_f32 v5, v7, v15, v5
	v_min_f32_e32 v5, 0x43600000, v5
	v_max_f32_e32 v5, 0xc3600000, v5
	v_and_b32_e32 v7, 0x7fffffff, v5
	v_cmp_gt_u32_e32 vcc, s23, v7
	s_and_saveexec_b64 s[4:5], vcc
	s_cbranch_execz .LBB61_114
; %bb.109:                              ;   in Loop: Header=BB61_65 Depth=1
	v_cmp_lt_u32_e32 vcc, s24, v7
	s_mov_b64 s[6:7], 0
                                        ; implicit-def: $vgpr7
	s_and_saveexec_b64 s[8:9], vcc
	s_xor_b64 s[8:9], exec, s[8:9]
	s_cbranch_execnz .LBB61_176
; %bb.110:                              ;   in Loop: Header=BB61_65 Depth=1
	s_or_saveexec_b64 s[8:9], s[8:9]
                                        ; implicit-def: $sgpr10
	s_xor_b64 exec, exec, s[8:9]
	s_cbranch_execnz .LBB61_177
.LBB61_111:                             ;   in Loop: Header=BB61_65 Depth=1
	s_or_b64 exec, exec, s[8:9]
	v_mov_b32_e32 v4, s10
	s_and_saveexec_b64 s[8:9], s[6:7]
.LBB61_112:                             ;   in Loop: Header=BB61_65 Depth=1
	v_lshrrev_b32_e32 v4, 24, v5
	v_and_or_b32 v4, v4, s27, v7
.LBB61_113:                             ;   in Loop: Header=BB61_65 Depth=1
	s_or_b64 exec, exec, s[8:9]
.LBB61_114:                             ;   in Loop: Header=BB61_65 Depth=1
	s_or_b64 exec, exec, s[4:5]
	v_lshlrev_b64 v[16:17], 2, v[2:3]
	v_mov_b32_e32 v3, s18
	v_add_co_u32_e32 v16, vcc, s13, v16
	v_addc_co_u32_e32 v17, vcc, v3, v17, vcc
	v_lshlrev_b32_e32 v3, 16, v6
	v_perm_b32 v3, v4, v3, s28
	v_lshlrev_b32_e32 v4, 8, v8
	v_and_b32_e32 v4, 0xff00, v4
	v_and_b32_e32 v5, 0xff, v9
	v_or3_b32 v3, v3, v4, v5
	v_add_u32_e32 v4, s22, v0
	v_cmp_gt_u32_e32 vcc, s12, v4
	s_mov_b64 s[6:7], -1
	global_store_dword v[16:17], v3, off
	s_and_saveexec_b64 s[4:5], vcc
	s_cbranch_execz .LBB61_63
; %bb.115:                              ;   in Loop: Header=BB61_65 Depth=1
	v_mov_b32_e32 v5, v1
	v_lshlrev_b64 v[8:9], 3, v[4:5]
	v_mov_b32_e32 v3, s44
	v_add_co_u32_e32 v6, vcc, s33, v8
	v_addc_co_u32_e32 v7, vcc, v3, v9, vcc
	v_mov_b32_e32 v3, s15
	v_add_co_u32_e32 v8, vcc, s14, v8
	v_addc_co_u32_e32 v9, vcc, v3, v9, vcc
	v_bfe_u32 v3, v4, 4, 26
	v_mad_u64_u32 v[16:17], s[6:7], v10, v3, 0
	global_load_dwordx2 v[6:7], v[6:7], off
	v_mov_b32_e32 v18, v17
	global_load_dwordx2 v[8:9], v[8:9], off
	v_mad_u64_u32 v[18:19], s[6:7], v11, v3, v[18:19]
	v_mov_b32_e32 v17, v18
	v_lshlrev_b64 v[16:17], 2, v[16:17]
	v_mov_b32_e32 v3, s20
	v_add_co_u32_e32 v16, vcc, s19, v16
	v_addc_co_u32_e32 v17, vcc, v3, v17, vcc
	global_load_dword v16, v[16:17], off
	s_waitcnt vmcnt(2)
	v_fma_mixlo_f16 v3, v36, v6, 0 op_sel_hi:[0,1,0]
	s_waitcnt vmcnt(1)
	v_mul_f16_e32 v3, v8, v3
	v_cvt_f32_f16_e32 v15, v3
	v_mov_b32_e32 v3, 0x80
	s_waitcnt vmcnt(0)
	v_div_scale_f32 v17, s[6:7], v16, v16, v15
	v_rcp_f32_e32 v18, v17
	v_div_scale_f32 v19, vcc, v15, v16, v15
	v_fma_f32 v20, -v17, v18, 1.0
	v_fmac_f32_e32 v18, v20, v18
	v_mul_f32_e32 v20, v19, v18
	v_fma_f32 v21, -v17, v20, v19
	v_fmac_f32_e32 v20, v21, v18
	v_fma_f32 v17, -v17, v20, v19
	v_div_fmas_f32 v17, v17, v18, v20
	v_div_fixup_f32 v15, v17, v16, v15
	v_min_f32_e32 v15, 0x43600000, v15
	v_max_f32_e32 v17, 0xc3600000, v15
	v_and_b32_e32 v18, 0x7fffffff, v17
	v_cmp_gt_u32_e32 vcc, s23, v18
	v_mov_b32_e32 v15, 0x80
	s_and_saveexec_b64 s[6:7], vcc
	s_cbranch_execz .LBB61_121
; %bb.116:                              ;   in Loop: Header=BB61_65 Depth=1
	v_cmp_lt_u32_e32 vcc, s24, v18
	s_mov_b64 s[8:9], 0
                                        ; implicit-def: $vgpr18
	s_and_saveexec_b64 s[10:11], vcc
	s_xor_b64 s[10:11], exec, s[10:11]
	s_cbranch_execnz .LBB61_178
; %bb.117:                              ;   in Loop: Header=BB61_65 Depth=1
	s_or_saveexec_b64 s[10:11], s[10:11]
                                        ; implicit-def: $sgpr16
	s_xor_b64 exec, exec, s[10:11]
	s_cbranch_execnz .LBB61_179
.LBB61_118:                             ;   in Loop: Header=BB61_65 Depth=1
	s_or_b64 exec, exec, s[10:11]
	v_mov_b32_e32 v15, s16
	s_and_saveexec_b64 s[10:11], s[8:9]
.LBB61_119:                             ;   in Loop: Header=BB61_65 Depth=1
	v_lshrrev_b32_e32 v15, 24, v17
	v_and_or_b32 v15, v15, s27, v18
.LBB61_120:                             ;   in Loop: Header=BB61_65 Depth=1
	s_or_b64 exec, exec, s[10:11]
.LBB61_121:                             ;   in Loop: Header=BB61_65 Depth=1
	s_or_b64 exec, exec, s[6:7]
	v_fma_mixlo_f16 v6, v36, v6, 0 op_sel:[0,1,0] op_sel_hi:[0,1,0]
	v_mul_f16_sdwa v6, v8, v6 dst_sel:DWORD dst_unused:UNUSED_PAD src0_sel:WORD_1 src1_sel:DWORD
	v_cvt_f32_f16_e32 v6, v6
	v_div_scale_f32 v8, s[6:7], v16, v16, v6
	v_rcp_f32_e32 v17, v8
	v_div_scale_f32 v18, vcc, v6, v16, v6
	v_fma_f32 v19, -v8, v17, 1.0
	v_fmac_f32_e32 v17, v19, v17
	v_mul_f32_e32 v19, v18, v17
	v_fma_f32 v20, -v8, v19, v18
	v_fmac_f32_e32 v19, v20, v17
	v_fma_f32 v8, -v8, v19, v18
	v_div_fmas_f32 v8, v8, v17, v19
	v_div_fixup_f32 v6, v8, v16, v6
	v_min_f32_e32 v6, 0x43600000, v6
	v_max_f32_e32 v6, 0xc3600000, v6
	v_and_b32_e32 v8, 0x7fffffff, v6
	v_cmp_gt_u32_e32 vcc, s23, v8
	s_and_saveexec_b64 s[6:7], vcc
	s_cbranch_execz .LBB61_127
; %bb.122:                              ;   in Loop: Header=BB61_65 Depth=1
	v_cmp_lt_u32_e32 vcc, s24, v8
	s_mov_b64 s[8:9], 0
                                        ; implicit-def: $vgpr8
	s_and_saveexec_b64 s[10:11], vcc
	s_xor_b64 s[10:11], exec, s[10:11]
	s_cbranch_execnz .LBB61_180
; %bb.123:                              ;   in Loop: Header=BB61_65 Depth=1
	s_or_saveexec_b64 s[10:11], s[10:11]
                                        ; implicit-def: $sgpr16
	s_xor_b64 exec, exec, s[10:11]
	s_cbranch_execnz .LBB61_181
.LBB61_124:                             ;   in Loop: Header=BB61_65 Depth=1
	s_or_b64 exec, exec, s[10:11]
	v_mov_b32_e32 v3, s16
	s_and_saveexec_b64 s[10:11], s[8:9]
.LBB61_125:                             ;   in Loop: Header=BB61_65 Depth=1
	v_lshrrev_b32_e32 v3, 24, v6
	v_and_or_b32 v3, v3, s27, v8
.LBB61_126:                             ;   in Loop: Header=BB61_65 Depth=1
	s_or_b64 exec, exec, s[10:11]
.LBB61_127:                             ;   in Loop: Header=BB61_65 Depth=1
	s_or_b64 exec, exec, s[6:7]
	v_fma_mixlo_f16 v6, v36, v7, 0 op_sel_hi:[0,1,0]
	v_mul_f16_e32 v6, v9, v6
	v_cvt_f32_f16_e32 v8, v6
	v_mov_b32_e32 v6, 0x80
	v_div_scale_f32 v17, s[6:7], v16, v16, v8
	v_rcp_f32_e32 v18, v17
	v_div_scale_f32 v19, vcc, v8, v16, v8
	v_fma_f32 v20, -v17, v18, 1.0
	v_fmac_f32_e32 v18, v20, v18
	v_mul_f32_e32 v20, v19, v18
	v_fma_f32 v21, -v17, v20, v19
	v_fmac_f32_e32 v20, v21, v18
	v_fma_f32 v17, -v17, v20, v19
	v_div_fmas_f32 v17, v17, v18, v20
	v_div_fixup_f32 v8, v17, v16, v8
	v_min_f32_e32 v8, 0x43600000, v8
	v_max_f32_e32 v17, 0xc3600000, v8
	v_and_b32_e32 v18, 0x7fffffff, v17
	v_cmp_gt_u32_e32 vcc, s23, v18
	v_mov_b32_e32 v8, 0x80
	s_and_saveexec_b64 s[6:7], vcc
	s_cbranch_execz .LBB61_133
; %bb.128:                              ;   in Loop: Header=BB61_65 Depth=1
	v_cmp_lt_u32_e32 vcc, s24, v18
	s_mov_b64 s[8:9], 0
                                        ; implicit-def: $vgpr18
	s_and_saveexec_b64 s[10:11], vcc
	s_xor_b64 s[10:11], exec, s[10:11]
	s_cbranch_execnz .LBB61_182
; %bb.129:                              ;   in Loop: Header=BB61_65 Depth=1
	s_or_saveexec_b64 s[10:11], s[10:11]
                                        ; implicit-def: $sgpr16
	s_xor_b64 exec, exec, s[10:11]
	s_cbranch_execnz .LBB61_183
.LBB61_130:                             ;   in Loop: Header=BB61_65 Depth=1
	s_or_b64 exec, exec, s[10:11]
	v_mov_b32_e32 v8, s16
	s_and_saveexec_b64 s[10:11], s[8:9]
.LBB61_131:                             ;   in Loop: Header=BB61_65 Depth=1
	v_lshrrev_b32_e32 v8, 24, v17
	v_and_or_b32 v8, v8, s27, v18
.LBB61_132:                             ;   in Loop: Header=BB61_65 Depth=1
	s_or_b64 exec, exec, s[10:11]
.LBB61_133:                             ;   in Loop: Header=BB61_65 Depth=1
	s_or_b64 exec, exec, s[6:7]
	v_fma_mixlo_f16 v7, v36, v7, 0 op_sel:[0,1,0] op_sel_hi:[0,1,0]
	v_mul_f16_sdwa v7, v9, v7 dst_sel:DWORD dst_unused:UNUSED_PAD src0_sel:WORD_1 src1_sel:DWORD
	v_cvt_f32_f16_e32 v7, v7
	v_div_scale_f32 v9, s[6:7], v16, v16, v7
	v_rcp_f32_e32 v17, v9
	v_div_scale_f32 v18, vcc, v7, v16, v7
	v_fma_f32 v19, -v9, v17, 1.0
	v_fmac_f32_e32 v17, v19, v17
	v_mul_f32_e32 v19, v18, v17
	v_fma_f32 v20, -v9, v19, v18
	v_fmac_f32_e32 v19, v20, v17
	v_fma_f32 v9, -v9, v19, v18
	v_div_fmas_f32 v9, v9, v17, v19
	v_div_fixup_f32 v7, v9, v16, v7
	v_min_f32_e32 v7, 0x43600000, v7
	v_max_f32_e32 v7, 0xc3600000, v7
	v_and_b32_e32 v9, 0x7fffffff, v7
	v_cmp_gt_u32_e32 vcc, s23, v9
	s_and_saveexec_b64 s[6:7], vcc
	s_cbranch_execz .LBB61_139
; %bb.134:                              ;   in Loop: Header=BB61_65 Depth=1
	v_cmp_lt_u32_e32 vcc, s24, v9
	s_mov_b64 s[8:9], 0
                                        ; implicit-def: $vgpr9
	s_and_saveexec_b64 s[10:11], vcc
	s_xor_b64 s[10:11], exec, s[10:11]
	s_cbranch_execnz .LBB61_184
; %bb.135:                              ;   in Loop: Header=BB61_65 Depth=1
	s_or_saveexec_b64 s[10:11], s[10:11]
                                        ; implicit-def: $sgpr16
	s_xor_b64 exec, exec, s[10:11]
	s_cbranch_execnz .LBB61_185
.LBB61_136:                             ;   in Loop: Header=BB61_65 Depth=1
	s_or_b64 exec, exec, s[10:11]
	v_mov_b32_e32 v6, s16
	s_and_saveexec_b64 s[10:11], s[8:9]
.LBB61_137:                             ;   in Loop: Header=BB61_65 Depth=1
	v_lshrrev_b32_e32 v6, 24, v7
	v_and_or_b32 v6, v6, s27, v9
.LBB61_138:                             ;   in Loop: Header=BB61_65 Depth=1
	s_or_b64 exec, exec, s[10:11]
.LBB61_139:                             ;   in Loop: Header=BB61_65 Depth=1
	s_or_b64 exec, exec, s[6:7]
	v_lshlrev_b64 v[4:5], 2, v[4:5]
	v_mov_b32_e32 v7, s18
	v_add_co_u32_e32 v4, vcc, s13, v4
	v_addc_co_u32_e32 v5, vcc, v7, v5, vcc
	v_lshlrev_b32_e32 v7, 16, v8
	v_lshlrev_b32_e32 v3, 8, v3
	v_perm_b32 v6, v6, v7, s28
	v_and_b32_e32 v3, 0xff00, v3
	v_and_b32_e32 v7, 0xff, v15
	v_add_u32_e32 v0, s21, v0
	v_or3_b32 v3, v6, v3, v7
	v_cmp_gt_u32_e32 vcc, s12, v0
	s_mov_b64 s[8:9], -1
	global_store_dword v[4:5], v3, off
	s_and_saveexec_b64 s[6:7], vcc
	s_cbranch_execz .LBB61_62
; %bb.140:                              ;   in Loop: Header=BB61_65 Depth=1
	v_lshlrev_b64 v[6:7], 3, v[0:1]
	v_mov_b32_e32 v3, s44
	v_add_co_u32_e32 v4, vcc, s33, v6
	v_addc_co_u32_e32 v5, vcc, v3, v7, vcc
	v_mov_b32_e32 v3, s15
	v_add_co_u32_e32 v6, vcc, s14, v6
	v_addc_co_u32_e32 v7, vcc, v3, v7, vcc
	v_bfe_u32 v3, v0, 4, 26
	v_mad_u64_u32 v[8:9], s[8:9], v10, v3, 0
	global_load_dwordx2 v[4:5], v[4:5], off
	v_mov_b32_e32 v16, v9
	global_load_dwordx2 v[6:7], v[6:7], off
	v_mad_u64_u32 v[16:17], s[8:9], v11, v3, v[16:17]
	v_mov_b32_e32 v9, v16
	v_lshlrev_b64 v[8:9], 2, v[8:9]
	v_mov_b32_e32 v3, s20
	v_add_co_u32_e32 v8, vcc, s19, v8
	v_addc_co_u32_e32 v9, vcc, v3, v9, vcc
	global_load_dword v9, v[8:9], off
	s_waitcnt vmcnt(2)
	v_fma_mixlo_f16 v3, v36, v4, 0 op_sel_hi:[0,1,0]
	s_waitcnt vmcnt(1)
	v_mul_f16_e32 v3, v6, v3
	v_cvt_f32_f16_e32 v8, v3
	v_mov_b32_e32 v3, 0x80
	s_waitcnt vmcnt(0)
	v_div_scale_f32 v15, s[8:9], v9, v9, v8
	v_rcp_f32_e32 v16, v15
	v_div_scale_f32 v17, vcc, v8, v9, v8
	v_fma_f32 v18, -v15, v16, 1.0
	v_fmac_f32_e32 v16, v18, v16
	v_mul_f32_e32 v18, v17, v16
	v_fma_f32 v19, -v15, v18, v17
	v_fmac_f32_e32 v18, v19, v16
	v_fma_f32 v15, -v15, v18, v17
	v_div_fmas_f32 v15, v15, v16, v18
	v_div_fixup_f32 v8, v15, v9, v8
	v_min_f32_e32 v8, 0x43600000, v8
	v_max_f32_e32 v15, 0xc3600000, v8
	v_and_b32_e32 v16, 0x7fffffff, v15
	v_cmp_gt_u32_e32 vcc, s23, v16
	v_mov_b32_e32 v8, 0x80
	s_and_saveexec_b64 s[8:9], vcc
	s_cbranch_execz .LBB61_146
; %bb.141:                              ;   in Loop: Header=BB61_65 Depth=1
	v_cmp_lt_u32_e32 vcc, s24, v16
	s_mov_b64 s[10:11], 0
                                        ; implicit-def: $vgpr16
	s_and_saveexec_b64 s[16:17], vcc
	s_xor_b64 s[16:17], exec, s[16:17]
	s_cbranch_execnz .LBB61_186
; %bb.142:                              ;   in Loop: Header=BB61_65 Depth=1
	s_or_saveexec_b64 s[16:17], s[16:17]
                                        ; implicit-def: $sgpr29
	s_xor_b64 exec, exec, s[16:17]
	s_cbranch_execnz .LBB61_187
.LBB61_143:                             ;   in Loop: Header=BB61_65 Depth=1
	s_or_b64 exec, exec, s[16:17]
	v_mov_b32_e32 v8, s29
	s_and_saveexec_b64 s[16:17], s[10:11]
.LBB61_144:                             ;   in Loop: Header=BB61_65 Depth=1
	v_lshrrev_b32_e32 v8, 24, v15
	v_and_or_b32 v8, v8, s27, v16
.LBB61_145:                             ;   in Loop: Header=BB61_65 Depth=1
	s_or_b64 exec, exec, s[16:17]
.LBB61_146:                             ;   in Loop: Header=BB61_65 Depth=1
	s_or_b64 exec, exec, s[8:9]
	v_fma_mixlo_f16 v4, v36, v4, 0 op_sel:[0,1,0] op_sel_hi:[0,1,0]
	v_mul_f16_sdwa v4, v6, v4 dst_sel:DWORD dst_unused:UNUSED_PAD src0_sel:WORD_1 src1_sel:DWORD
	v_cvt_f32_f16_e32 v4, v4
	v_div_scale_f32 v6, s[8:9], v9, v9, v4
	v_rcp_f32_e32 v15, v6
	v_div_scale_f32 v16, vcc, v4, v9, v4
	v_fma_f32 v17, -v6, v15, 1.0
	v_fmac_f32_e32 v15, v17, v15
	v_mul_f32_e32 v17, v16, v15
	v_fma_f32 v18, -v6, v17, v16
	v_fmac_f32_e32 v17, v18, v15
	v_fma_f32 v6, -v6, v17, v16
	v_div_fmas_f32 v6, v6, v15, v17
	v_div_fixup_f32 v4, v6, v9, v4
	v_min_f32_e32 v4, 0x43600000, v4
	v_max_f32_e32 v4, 0xc3600000, v4
	v_and_b32_e32 v6, 0x7fffffff, v4
	v_cmp_gt_u32_e32 vcc, s23, v6
	s_and_saveexec_b64 s[8:9], vcc
	s_cbranch_execz .LBB61_152
; %bb.147:                              ;   in Loop: Header=BB61_65 Depth=1
	v_cmp_lt_u32_e32 vcc, s24, v6
	s_mov_b64 s[10:11], 0
                                        ; implicit-def: $vgpr6
	s_and_saveexec_b64 s[16:17], vcc
	s_xor_b64 s[16:17], exec, s[16:17]
	s_cbranch_execnz .LBB61_188
; %bb.148:                              ;   in Loop: Header=BB61_65 Depth=1
	s_or_saveexec_b64 s[16:17], s[16:17]
                                        ; implicit-def: $sgpr29
	s_xor_b64 exec, exec, s[16:17]
	s_cbranch_execnz .LBB61_189
.LBB61_149:                             ;   in Loop: Header=BB61_65 Depth=1
	s_or_b64 exec, exec, s[16:17]
	v_mov_b32_e32 v3, s29
	s_and_saveexec_b64 s[16:17], s[10:11]
.LBB61_150:                             ;   in Loop: Header=BB61_65 Depth=1
	v_lshrrev_b32_e32 v3, 24, v4
	v_and_or_b32 v3, v3, s27, v6
.LBB61_151:                             ;   in Loop: Header=BB61_65 Depth=1
	s_or_b64 exec, exec, s[16:17]
.LBB61_152:                             ;   in Loop: Header=BB61_65 Depth=1
	s_or_b64 exec, exec, s[8:9]
	v_fma_mixlo_f16 v4, v36, v5, 0 op_sel_hi:[0,1,0]
	v_mul_f16_e32 v4, v7, v4
	v_cvt_f32_f16_e32 v6, v4
	v_mov_b32_e32 v4, 0x80
	v_div_scale_f32 v15, s[8:9], v9, v9, v6
	v_rcp_f32_e32 v16, v15
	v_div_scale_f32 v17, vcc, v6, v9, v6
	v_fma_f32 v18, -v15, v16, 1.0
	v_fmac_f32_e32 v16, v18, v16
	v_mul_f32_e32 v18, v17, v16
	v_fma_f32 v19, -v15, v18, v17
	v_fmac_f32_e32 v18, v19, v16
	v_fma_f32 v15, -v15, v18, v17
	v_div_fmas_f32 v15, v15, v16, v18
	v_div_fixup_f32 v6, v15, v9, v6
	v_min_f32_e32 v6, 0x43600000, v6
	v_max_f32_e32 v15, 0xc3600000, v6
	v_and_b32_e32 v16, 0x7fffffff, v15
	v_cmp_gt_u32_e32 vcc, s23, v16
	v_mov_b32_e32 v6, 0x80
	s_and_saveexec_b64 s[8:9], vcc
	s_cbranch_execz .LBB61_158
; %bb.153:                              ;   in Loop: Header=BB61_65 Depth=1
	v_cmp_lt_u32_e32 vcc, s24, v16
	s_mov_b64 s[10:11], 0
                                        ; implicit-def: $vgpr16
	s_and_saveexec_b64 s[16:17], vcc
	s_xor_b64 s[16:17], exec, s[16:17]
	s_cbranch_execnz .LBB61_190
; %bb.154:                              ;   in Loop: Header=BB61_65 Depth=1
	s_or_saveexec_b64 s[16:17], s[16:17]
                                        ; implicit-def: $sgpr29
	s_xor_b64 exec, exec, s[16:17]
	s_cbranch_execnz .LBB61_191
.LBB61_155:                             ;   in Loop: Header=BB61_65 Depth=1
	s_or_b64 exec, exec, s[16:17]
	v_mov_b32_e32 v6, s29
	s_and_saveexec_b64 s[16:17], s[10:11]
.LBB61_156:                             ;   in Loop: Header=BB61_65 Depth=1
	v_lshrrev_b32_e32 v6, 24, v15
	v_and_or_b32 v6, v6, s27, v16
.LBB61_157:                             ;   in Loop: Header=BB61_65 Depth=1
	s_or_b64 exec, exec, s[16:17]
.LBB61_158:                             ;   in Loop: Header=BB61_65 Depth=1
	s_or_b64 exec, exec, s[8:9]
	v_fma_mixlo_f16 v5, v36, v5, 0 op_sel:[0,1,0] op_sel_hi:[0,1,0]
	v_mul_f16_sdwa v5, v7, v5 dst_sel:DWORD dst_unused:UNUSED_PAD src0_sel:WORD_1 src1_sel:DWORD
	v_cvt_f32_f16_e32 v5, v5
	v_div_scale_f32 v7, s[8:9], v9, v9, v5
	v_rcp_f32_e32 v15, v7
	v_div_scale_f32 v16, vcc, v5, v9, v5
	v_fma_f32 v17, -v7, v15, 1.0
	v_fmac_f32_e32 v15, v17, v15
	v_mul_f32_e32 v17, v16, v15
	v_fma_f32 v18, -v7, v17, v16
	v_fmac_f32_e32 v17, v18, v15
	v_fma_f32 v7, -v7, v17, v16
	v_div_fmas_f32 v7, v7, v15, v17
	v_div_fixup_f32 v5, v7, v9, v5
	v_min_f32_e32 v5, 0x43600000, v5
	v_max_f32_e32 v5, 0xc3600000, v5
	v_and_b32_e32 v7, 0x7fffffff, v5
	v_cmp_gt_u32_e32 vcc, s23, v7
	s_and_saveexec_b64 s[8:9], vcc
	s_cbranch_execz .LBB61_61
; %bb.159:                              ;   in Loop: Header=BB61_65 Depth=1
	v_cmp_lt_u32_e32 vcc, s24, v7
	s_mov_b64 s[10:11], 0
                                        ; implicit-def: $vgpr7
	s_and_saveexec_b64 s[16:17], vcc
	s_xor_b64 s[16:17], exec, s[16:17]
	s_cbranch_execnz .LBB61_192
; %bb.160:                              ;   in Loop: Header=BB61_65 Depth=1
	s_or_saveexec_b64 s[16:17], s[16:17]
                                        ; implicit-def: $sgpr29
	s_xor_b64 exec, exec, s[16:17]
	s_cbranch_execnz .LBB61_193
.LBB61_161:                             ;   in Loop: Header=BB61_65 Depth=1
	s_or_b64 exec, exec, s[16:17]
	v_mov_b32_e32 v4, s29
	s_and_saveexec_b64 s[16:17], s[10:11]
	s_cbranch_execz .LBB61_60
	s_branch .LBB61_194
.LBB61_162:                             ;   in Loop: Header=BB61_65 Depth=1
	v_bfe_u32 v8, v9, 20, 1
	v_add3_u32 v8, v9, v8, s25
	s_mov_b64 s[4:5], exec
	v_lshrrev_b32_e32 v15, 20, v8
	s_or_saveexec_b64 s[6:7], s[6:7]
                                        ; implicit-def: $sgpr8
	s_xor_b64 exec, exec, s[6:7]
	s_cbranch_execz .LBB61_68
.LBB61_163:                             ;   in Loop: Header=BB61_65 Depth=1
	v_add_f32_e64 v8, |v9|, s26
	v_and_b32_e32 v15, 0xff, v8
	v_cmp_ne_u32_e32 vcc, 0, v15
	s_andn2_b64 s[4:5], s[4:5], exec
	s_and_b64 s[10:11], vcc, exec
	s_mov_b32 s8, 0
	s_or_b64 s[4:5], s[4:5], s[10:11]
	s_or_b64 exec, exec, s[6:7]
	v_mov_b32_e32 v8, s8
	s_and_saveexec_b64 s[6:7], s[4:5]
	s_cbranch_execnz .LBB61_69
	s_branch .LBB61_70
.LBB61_164:                             ;   in Loop: Header=BB61_65 Depth=1
	v_bfe_u32 v4, v2, 20, 1
	v_add3_u32 v4, v2, v4, s25
	s_mov_b64 s[4:5], exec
	v_lshrrev_b32_e32 v4, 20, v4
	s_or_saveexec_b64 s[6:7], s[6:7]
                                        ; implicit-def: $sgpr8
	s_xor_b64 exec, exec, s[6:7]
	s_cbranch_execz .LBB61_74
.LBB61_165:                             ;   in Loop: Header=BB61_65 Depth=1
	v_add_f32_e64 v4, |v2|, s26
	v_and_b32_e32 v4, 0xff, v4
	v_cmp_ne_u32_e32 vcc, 0, v4
	s_andn2_b64 s[4:5], s[4:5], exec
	s_and_b64 s[10:11], vcc, exec
	s_mov_b32 s8, 0
	s_or_b64 s[4:5], s[4:5], s[10:11]
	s_or_b64 exec, exec, s[6:7]
	v_mov_b32_e32 v6, s8
	s_and_saveexec_b64 s[6:7], s[4:5]
	s_cbranch_execnz .LBB61_75
	s_branch .LBB61_76
.LBB61_166:                             ;   in Loop: Header=BB61_65 Depth=1
	v_bfe_u32 v4, v9, 20, 1
	v_add3_u32 v4, v9, v4, s25
	s_mov_b64 s[4:5], exec
	v_lshrrev_b32_e32 v15, 20, v4
	s_or_saveexec_b64 s[6:7], s[6:7]
                                        ; implicit-def: $sgpr8
	s_xor_b64 exec, exec, s[6:7]
	s_cbranch_execz .LBB61_80
.LBB61_167:                             ;   in Loop: Header=BB61_65 Depth=1
	v_add_f32_e64 v4, |v9|, s26
	v_and_b32_e32 v15, 0xff, v4
	v_cmp_ne_u32_e32 vcc, 0, v15
	s_andn2_b64 s[4:5], s[4:5], exec
	s_and_b64 s[10:11], vcc, exec
	s_mov_b32 s8, 0
	s_or_b64 s[4:5], s[4:5], s[10:11]
	s_or_b64 exec, exec, s[6:7]
	v_mov_b32_e32 v4, s8
	s_and_saveexec_b64 s[6:7], s[4:5]
	s_cbranch_execnz .LBB61_81
	s_branch .LBB61_82
.LBB61_168:                             ;   in Loop: Header=BB61_65 Depth=1
	v_bfe_u32 v2, v3, 20, 1
	v_add3_u32 v2, v3, v2, s25
	s_mov_b64 s[4:5], exec
	v_lshrrev_b32_e32 v5, 20, v2
	s_or_saveexec_b64 s[6:7], s[6:7]
                                        ; implicit-def: $sgpr8
	s_xor_b64 exec, exec, s[6:7]
	s_cbranch_execz .LBB61_86
.LBB61_169:                             ;   in Loop: Header=BB61_65 Depth=1
	v_add_f32_e64 v2, |v3|, s26
	v_and_b32_e32 v5, 0xff, v2
	v_cmp_ne_u32_e32 vcc, 0, v5
	s_andn2_b64 s[4:5], s[4:5], exec
	s_and_b64 s[10:11], vcc, exec
	s_mov_b32 s8, 0
	s_or_b64 s[4:5], s[4:5], s[10:11]
	s_or_b64 exec, exec, s[6:7]
	v_mov_b32_e32 v2, s8
	s_and_saveexec_b64 s[6:7], s[4:5]
	s_cbranch_execnz .LBB61_87
	s_branch .LBB61_88
.LBB61_170:                             ;   in Loop: Header=BB61_65 Depth=1
	v_bfe_u32 v9, v16, 20, 1
	v_add3_u32 v9, v16, v9, s25
	s_mov_b64 s[6:7], exec
	v_lshrrev_b32_e32 v17, 20, v9
	s_or_saveexec_b64 s[8:9], s[8:9]
                                        ; implicit-def: $sgpr10
	s_xor_b64 exec, exec, s[8:9]
	s_cbranch_execz .LBB61_93
.LBB61_171:                             ;   in Loop: Header=BB61_65 Depth=1
	v_add_f32_e64 v9, |v16|, s26
	v_and_b32_e32 v17, 0xff, v9
	v_cmp_ne_u32_e32 vcc, 0, v17
	s_andn2_b64 s[6:7], s[6:7], exec
	s_and_b64 s[16:17], vcc, exec
	s_mov_b32 s10, 0
	s_or_b64 s[6:7], s[6:7], s[16:17]
	s_or_b64 exec, exec, s[8:9]
	v_mov_b32_e32 v9, s10
	s_and_saveexec_b64 s[8:9], s[6:7]
	s_cbranch_execnz .LBB61_94
	s_branch .LBB61_95
.LBB61_172:                             ;   in Loop: Header=BB61_65 Depth=1
	v_bfe_u32 v6, v4, 20, 1
	v_add3_u32 v6, v4, v6, s25
	s_mov_b64 s[6:7], exec
	v_lshrrev_b32_e32 v6, 20, v6
	s_or_saveexec_b64 s[8:9], s[8:9]
                                        ; implicit-def: $sgpr10
	s_xor_b64 exec, exec, s[8:9]
	s_cbranch_execz .LBB61_99
.LBB61_173:                             ;   in Loop: Header=BB61_65 Depth=1
	v_add_f32_e64 v6, |v4|, s26
	v_and_b32_e32 v6, 0xff, v6
	v_cmp_ne_u32_e32 vcc, 0, v6
	s_andn2_b64 s[6:7], s[6:7], exec
	s_and_b64 s[16:17], vcc, exec
	s_mov_b32 s10, 0
	s_or_b64 s[6:7], s[6:7], s[16:17]
	s_or_b64 exec, exec, s[8:9]
	v_mov_b32_e32 v8, s10
	s_and_saveexec_b64 s[8:9], s[6:7]
	s_cbranch_execnz .LBB61_100
	s_branch .LBB61_101
.LBB61_174:                             ;   in Loop: Header=BB61_65 Depth=1
	v_bfe_u32 v6, v16, 20, 1
	v_add3_u32 v6, v16, v6, s25
	s_mov_b64 s[6:7], exec
	v_lshrrev_b32_e32 v17, 20, v6
	s_or_saveexec_b64 s[8:9], s[8:9]
                                        ; implicit-def: $sgpr10
	s_xor_b64 exec, exec, s[8:9]
	s_cbranch_execz .LBB61_105
.LBB61_175:                             ;   in Loop: Header=BB61_65 Depth=1
	v_add_f32_e64 v6, |v16|, s26
	v_and_b32_e32 v17, 0xff, v6
	v_cmp_ne_u32_e32 vcc, 0, v17
	s_andn2_b64 s[6:7], s[6:7], exec
	s_and_b64 s[16:17], vcc, exec
	s_mov_b32 s10, 0
	s_or_b64 s[6:7], s[6:7], s[16:17]
	s_or_b64 exec, exec, s[8:9]
	v_mov_b32_e32 v6, s10
	s_and_saveexec_b64 s[8:9], s[6:7]
	s_cbranch_execnz .LBB61_106
	s_branch .LBB61_107
.LBB61_176:                             ;   in Loop: Header=BB61_65 Depth=1
	v_bfe_u32 v4, v5, 20, 1
	v_add3_u32 v4, v5, v4, s25
	s_mov_b64 s[6:7], exec
	v_lshrrev_b32_e32 v7, 20, v4
	s_or_saveexec_b64 s[8:9], s[8:9]
                                        ; implicit-def: $sgpr10
	s_xor_b64 exec, exec, s[8:9]
	s_cbranch_execz .LBB61_111
.LBB61_177:                             ;   in Loop: Header=BB61_65 Depth=1
	v_add_f32_e64 v4, |v5|, s26
	v_and_b32_e32 v7, 0xff, v4
	v_cmp_ne_u32_e32 vcc, 0, v7
	s_andn2_b64 s[6:7], s[6:7], exec
	s_and_b64 s[16:17], vcc, exec
	s_mov_b32 s10, 0
	s_or_b64 s[6:7], s[6:7], s[16:17]
	s_or_b64 exec, exec, s[8:9]
	v_mov_b32_e32 v4, s10
	s_and_saveexec_b64 s[8:9], s[6:7]
	s_cbranch_execnz .LBB61_112
	s_branch .LBB61_113
.LBB61_178:                             ;   in Loop: Header=BB61_65 Depth=1
	v_bfe_u32 v15, v17, 20, 1
	v_add3_u32 v15, v17, v15, s25
	s_mov_b64 s[8:9], exec
	v_lshrrev_b32_e32 v18, 20, v15
	s_or_saveexec_b64 s[10:11], s[10:11]
                                        ; implicit-def: $sgpr16
	s_xor_b64 exec, exec, s[10:11]
	s_cbranch_execz .LBB61_118
.LBB61_179:                             ;   in Loop: Header=BB61_65 Depth=1
	v_add_f32_e64 v15, |v17|, s26
	v_and_b32_e32 v18, 0xff, v15
	v_cmp_ne_u32_e32 vcc, 0, v18
	s_andn2_b64 s[8:9], s[8:9], exec
	s_and_b64 s[30:31], vcc, exec
	s_mov_b32 s16, 0
	s_or_b64 s[8:9], s[8:9], s[30:31]
	s_or_b64 exec, exec, s[10:11]
	v_mov_b32_e32 v15, s16
	s_and_saveexec_b64 s[10:11], s[8:9]
	s_cbranch_execnz .LBB61_119
	s_branch .LBB61_120
.LBB61_180:                             ;   in Loop: Header=BB61_65 Depth=1
	v_bfe_u32 v3, v6, 20, 1
	v_add3_u32 v3, v6, v3, s25
	s_mov_b64 s[8:9], exec
	v_lshrrev_b32_e32 v8, 20, v3
	s_or_saveexec_b64 s[10:11], s[10:11]
                                        ; implicit-def: $sgpr16
	s_xor_b64 exec, exec, s[10:11]
	s_cbranch_execz .LBB61_124
.LBB61_181:                             ;   in Loop: Header=BB61_65 Depth=1
	v_add_f32_e64 v3, |v6|, s26
	v_and_b32_e32 v8, 0xff, v3
	v_cmp_ne_u32_e32 vcc, 0, v8
	s_andn2_b64 s[8:9], s[8:9], exec
	s_and_b64 s[30:31], vcc, exec
	s_mov_b32 s16, 0
	s_or_b64 s[8:9], s[8:9], s[30:31]
	s_or_b64 exec, exec, s[10:11]
	v_mov_b32_e32 v3, s16
	s_and_saveexec_b64 s[10:11], s[8:9]
	s_cbranch_execnz .LBB61_125
	s_branch .LBB61_126
.LBB61_182:                             ;   in Loop: Header=BB61_65 Depth=1
	v_bfe_u32 v8, v17, 20, 1
	v_add3_u32 v8, v17, v8, s25
	s_mov_b64 s[8:9], exec
	v_lshrrev_b32_e32 v18, 20, v8
	s_or_saveexec_b64 s[10:11], s[10:11]
                                        ; implicit-def: $sgpr16
	s_xor_b64 exec, exec, s[10:11]
	s_cbranch_execz .LBB61_130
.LBB61_183:                             ;   in Loop: Header=BB61_65 Depth=1
	v_add_f32_e64 v8, |v17|, s26
	v_and_b32_e32 v18, 0xff, v8
	v_cmp_ne_u32_e32 vcc, 0, v18
	s_andn2_b64 s[8:9], s[8:9], exec
	s_and_b64 s[30:31], vcc, exec
	s_mov_b32 s16, 0
	s_or_b64 s[8:9], s[8:9], s[30:31]
	s_or_b64 exec, exec, s[10:11]
	v_mov_b32_e32 v8, s16
	s_and_saveexec_b64 s[10:11], s[8:9]
	s_cbranch_execnz .LBB61_131
	s_branch .LBB61_132
.LBB61_184:                             ;   in Loop: Header=BB61_65 Depth=1
	v_bfe_u32 v6, v7, 20, 1
	v_add3_u32 v6, v7, v6, s25
	s_mov_b64 s[8:9], exec
	v_lshrrev_b32_e32 v9, 20, v6
	s_or_saveexec_b64 s[10:11], s[10:11]
                                        ; implicit-def: $sgpr16
	s_xor_b64 exec, exec, s[10:11]
	s_cbranch_execz .LBB61_136
.LBB61_185:                             ;   in Loop: Header=BB61_65 Depth=1
	v_add_f32_e64 v6, |v7|, s26
	v_and_b32_e32 v9, 0xff, v6
	v_cmp_ne_u32_e32 vcc, 0, v9
	s_andn2_b64 s[8:9], s[8:9], exec
	s_and_b64 s[30:31], vcc, exec
	s_mov_b32 s16, 0
	s_or_b64 s[8:9], s[8:9], s[30:31]
	s_or_b64 exec, exec, s[10:11]
	v_mov_b32_e32 v6, s16
	s_and_saveexec_b64 s[10:11], s[8:9]
	s_cbranch_execnz .LBB61_137
	s_branch .LBB61_138
.LBB61_186:                             ;   in Loop: Header=BB61_65 Depth=1
	v_bfe_u32 v8, v15, 20, 1
	v_add3_u32 v8, v15, v8, s25
	s_mov_b64 s[10:11], exec
	v_lshrrev_b32_e32 v16, 20, v8
	s_or_saveexec_b64 s[16:17], s[16:17]
                                        ; implicit-def: $sgpr29
	s_xor_b64 exec, exec, s[16:17]
	s_cbranch_execz .LBB61_143
.LBB61_187:                             ;   in Loop: Header=BB61_65 Depth=1
	v_add_f32_e64 v8, |v15|, s26
	v_and_b32_e32 v16, 0xff, v8
	v_cmp_ne_u32_e32 vcc, 0, v16
	s_andn2_b64 s[10:11], s[10:11], exec
	s_and_b64 s[30:31], vcc, exec
	s_mov_b32 s29, 0
	s_or_b64 s[10:11], s[10:11], s[30:31]
	s_or_b64 exec, exec, s[16:17]
	v_mov_b32_e32 v8, s29
	s_and_saveexec_b64 s[16:17], s[10:11]
	s_cbranch_execnz .LBB61_144
	s_branch .LBB61_145
.LBB61_188:                             ;   in Loop: Header=BB61_65 Depth=1
	v_bfe_u32 v3, v4, 20, 1
	v_add3_u32 v3, v4, v3, s25
	s_mov_b64 s[10:11], exec
	v_lshrrev_b32_e32 v6, 20, v3
	s_or_saveexec_b64 s[16:17], s[16:17]
                                        ; implicit-def: $sgpr29
	s_xor_b64 exec, exec, s[16:17]
	s_cbranch_execz .LBB61_149
.LBB61_189:                             ;   in Loop: Header=BB61_65 Depth=1
	v_add_f32_e64 v3, |v4|, s26
	v_and_b32_e32 v6, 0xff, v3
	v_cmp_ne_u32_e32 vcc, 0, v6
	s_andn2_b64 s[10:11], s[10:11], exec
	s_and_b64 s[30:31], vcc, exec
	s_mov_b32 s29, 0
	s_or_b64 s[10:11], s[10:11], s[30:31]
	s_or_b64 exec, exec, s[16:17]
	v_mov_b32_e32 v3, s29
	s_and_saveexec_b64 s[16:17], s[10:11]
	s_cbranch_execnz .LBB61_150
	s_branch .LBB61_151
.LBB61_190:                             ;   in Loop: Header=BB61_65 Depth=1
	v_bfe_u32 v6, v15, 20, 1
	v_add3_u32 v6, v15, v6, s25
	s_mov_b64 s[10:11], exec
	v_lshrrev_b32_e32 v16, 20, v6
	s_or_saveexec_b64 s[16:17], s[16:17]
                                        ; implicit-def: $sgpr29
	s_xor_b64 exec, exec, s[16:17]
	s_cbranch_execz .LBB61_155
.LBB61_191:                             ;   in Loop: Header=BB61_65 Depth=1
	v_add_f32_e64 v6, |v15|, s26
	v_and_b32_e32 v16, 0xff, v6
	v_cmp_ne_u32_e32 vcc, 0, v16
	s_andn2_b64 s[10:11], s[10:11], exec
	s_and_b64 s[30:31], vcc, exec
	s_mov_b32 s29, 0
	s_or_b64 s[10:11], s[10:11], s[30:31]
	s_or_b64 exec, exec, s[16:17]
	v_mov_b32_e32 v6, s29
	s_and_saveexec_b64 s[16:17], s[10:11]
	s_cbranch_execnz .LBB61_156
	s_branch .LBB61_157
.LBB61_192:                             ;   in Loop: Header=BB61_65 Depth=1
	v_bfe_u32 v4, v5, 20, 1
	v_add3_u32 v4, v5, v4, s25
	s_mov_b64 s[10:11], exec
	v_lshrrev_b32_e32 v7, 20, v4
	s_or_saveexec_b64 s[16:17], s[16:17]
                                        ; implicit-def: $sgpr29
	s_xor_b64 exec, exec, s[16:17]
	s_cbranch_execz .LBB61_161
.LBB61_193:                             ;   in Loop: Header=BB61_65 Depth=1
	v_add_f32_e64 v4, |v5|, s26
	v_and_b32_e32 v7, 0xff, v4
	v_cmp_ne_u32_e32 vcc, 0, v7
	s_andn2_b64 s[10:11], s[10:11], exec
	s_and_b64 s[30:31], vcc, exec
	s_mov_b32 s29, 0
	s_or_b64 s[10:11], s[10:11], s[30:31]
	s_or_b64 exec, exec, s[16:17]
	v_mov_b32_e32 v4, s29
	s_and_saveexec_b64 s[16:17], s[10:11]
	s_cbranch_execz .LBB61_60
.LBB61_194:                             ;   in Loop: Header=BB61_65 Depth=1
	v_lshrrev_b32_e32 v4, 24, v5
	v_and_or_b32 v4, v4, s27, v7
	s_branch .LBB61_60
.LBB61_195:
	s_endpgm
.LBB61_196:
                                        ; implicit-def: $vgpr4_vgpr5
	s_andn2_b64 vcc, exec, s[26:27]
	s_cbranch_vccz .LBB61_53
	s_branch .LBB61_54
.LBB61_197:
                                        ; implicit-def: $vgpr2_vgpr3
	s_andn2_b64 vcc, exec, s[22:23]
	s_cbranch_vccz .LBB61_58
	s_branch .LBB61_59
	.section	.rodata,"a",@progbits
	.p2align	6, 0x0
	.amdhsa_kernel _ZN4vllm31rms_norm_per_block_quant_kernelIN3c104HalfENS1_15Float8_e4m3fnuzELb0ELb1ELi64EEEvPT0_PfPKT_S9_PKffiiPS7_l
		.amdhsa_group_segment_fixed_size 4164
		.amdhsa_private_segment_fixed_size 0
		.amdhsa_kernarg_size 328
		.amdhsa_user_sgpr_count 6
		.amdhsa_user_sgpr_private_segment_buffer 1
		.amdhsa_user_sgpr_dispatch_ptr 0
		.amdhsa_user_sgpr_queue_ptr 0
		.amdhsa_user_sgpr_kernarg_segment_ptr 1
		.amdhsa_user_sgpr_dispatch_id 0
		.amdhsa_user_sgpr_flat_scratch_init 0
		.amdhsa_user_sgpr_kernarg_preload_length 0
		.amdhsa_user_sgpr_kernarg_preload_offset 0
		.amdhsa_user_sgpr_private_segment_size 0
		.amdhsa_uses_dynamic_stack 0
		.amdhsa_system_sgpr_private_segment_wavefront_offset 0
		.amdhsa_system_sgpr_workgroup_id_x 1
		.amdhsa_system_sgpr_workgroup_id_y 0
		.amdhsa_system_sgpr_workgroup_id_z 0
		.amdhsa_system_sgpr_workgroup_info 0
		.amdhsa_system_vgpr_workitem_id 0
		.amdhsa_next_free_vgpr 40
		.amdhsa_next_free_sgpr 47
		.amdhsa_accum_offset 40
		.amdhsa_reserve_vcc 1
		.amdhsa_reserve_flat_scratch 0
		.amdhsa_float_round_mode_32 0
		.amdhsa_float_round_mode_16_64 0
		.amdhsa_float_denorm_mode_32 3
		.amdhsa_float_denorm_mode_16_64 3
		.amdhsa_dx10_clamp 1
		.amdhsa_ieee_mode 1
		.amdhsa_fp16_overflow 0
		.amdhsa_tg_split 0
		.amdhsa_exception_fp_ieee_invalid_op 0
		.amdhsa_exception_fp_denorm_src 0
		.amdhsa_exception_fp_ieee_div_zero 0
		.amdhsa_exception_fp_ieee_overflow 0
		.amdhsa_exception_fp_ieee_underflow 0
		.amdhsa_exception_fp_ieee_inexact 0
		.amdhsa_exception_int_div_zero 0
	.end_amdhsa_kernel
	.section	.text._ZN4vllm31rms_norm_per_block_quant_kernelIN3c104HalfENS1_15Float8_e4m3fnuzELb0ELb1ELi64EEEvPT0_PfPKT_S9_PKffiiPS7_l,"axG",@progbits,_ZN4vllm31rms_norm_per_block_quant_kernelIN3c104HalfENS1_15Float8_e4m3fnuzELb0ELb1ELi64EEEvPT0_PfPKT_S9_PKffiiPS7_l,comdat
.Lfunc_end61:
	.size	_ZN4vllm31rms_norm_per_block_quant_kernelIN3c104HalfENS1_15Float8_e4m3fnuzELb0ELb1ELi64EEEvPT0_PfPKT_S9_PKffiiPS7_l, .Lfunc_end61-_ZN4vllm31rms_norm_per_block_quant_kernelIN3c104HalfENS1_15Float8_e4m3fnuzELb0ELb1ELi64EEEvPT0_PfPKT_S9_PKffiiPS7_l
                                        ; -- End function
	.section	.AMDGPU.csdata,"",@progbits
; Kernel info:
; codeLenInByte = 11132
; NumSgprs: 51
; NumVgprs: 40
; NumAgprs: 0
; TotalNumVgprs: 40
; ScratchSize: 0
; MemoryBound: 0
; FloatMode: 240
; IeeeMode: 1
; LDSByteSize: 4164 bytes/workgroup (compile time only)
; SGPRBlocks: 6
; VGPRBlocks: 4
; NumSGPRsForWavesPerEU: 51
; NumVGPRsForWavesPerEU: 40
; AccumOffset: 40
; Occupancy: 8
; WaveLimiterHint : 0
; COMPUTE_PGM_RSRC2:SCRATCH_EN: 0
; COMPUTE_PGM_RSRC2:USER_SGPR: 6
; COMPUTE_PGM_RSRC2:TRAP_HANDLER: 0
; COMPUTE_PGM_RSRC2:TGID_X_EN: 1
; COMPUTE_PGM_RSRC2:TGID_Y_EN: 0
; COMPUTE_PGM_RSRC2:TGID_Z_EN: 0
; COMPUTE_PGM_RSRC2:TIDIG_COMP_CNT: 0
; COMPUTE_PGM_RSRC3_GFX90A:ACCUM_OFFSET: 9
; COMPUTE_PGM_RSRC3_GFX90A:TG_SPLIT: 0
	.section	.text._ZN4vllm31rms_norm_per_block_quant_kernelIN3c104HalfEaLb0ELb1ELi64EEEvPT0_PfPKT_S8_PKffiiPS6_l,"axG",@progbits,_ZN4vllm31rms_norm_per_block_quant_kernelIN3c104HalfEaLb0ELb1ELi64EEEvPT0_PfPKT_S8_PKffiiPS6_l,comdat
	.protected	_ZN4vllm31rms_norm_per_block_quant_kernelIN3c104HalfEaLb0ELb1ELi64EEEvPT0_PfPKT_S8_PKffiiPS6_l ; -- Begin function _ZN4vllm31rms_norm_per_block_quant_kernelIN3c104HalfEaLb0ELb1ELi64EEEvPT0_PfPKT_S8_PKffiiPS6_l
	.globl	_ZN4vllm31rms_norm_per_block_quant_kernelIN3c104HalfEaLb0ELb1ELi64EEEvPT0_PfPKT_S8_PKffiiPS6_l
	.p2align	8
	.type	_ZN4vllm31rms_norm_per_block_quant_kernelIN3c104HalfEaLb0ELb1ELi64EEEvPT0_PfPKT_S8_PKffiiPS6_l,@function
_ZN4vllm31rms_norm_per_block_quant_kernelIN3c104HalfEaLb0ELb1ELi64EEEvPT0_PfPKT_S8_PKffiiPS6_l: ; @_ZN4vllm31rms_norm_per_block_quant_kernelIN3c104HalfEaLb0ELb1ELi64EEEvPT0_PfPKT_S8_PKffiiPS6_l
; %bb.0:
	s_load_dwordx4 s[16:19], s[4:5], 0x28
	s_load_dwordx8 s[8:15], s[4:5], 0x0
	s_load_dword s46, s[4:5], 0x48
	s_mov_b32 s7, 0
	v_mov_b32_e32 v1, 0
	s_waitcnt lgkmcnt(0)
	s_ashr_i32 s0, s18, 31
	s_mul_hi_u32 s1, s18, s6
	s_mul_i32 s0, s0, s6
	s_add_i32 s1, s1, s0
	s_mul_i32 s0, s18, s6
	s_lshl_b64 s[0:1], s[0:1], 1
	s_add_u32 s33, s12, s0
	s_addc_u32 s44, s13, s1
	s_ashr_i32 s12, s17, 2
	s_add_u32 s18, s4, 0x48
	s_mov_b32 s20, s17
	v_cmp_gt_u32_e64 s[0:1], s12, v0
	s_addc_u32 s19, s5, 0
	s_and_saveexec_b64 s[2:3], s[0:1]
	s_cbranch_execz .LBB62_10
; %bb.1:
	s_cmp_lt_u32 s6, s46
	s_cselect_b32 s13, 12, 18
	s_add_u32 s22, s18, s13
	s_addc_u32 s23, s19, 0
	v_mov_b32_e32 v3, 0
	global_load_ushort v8, v3, s[22:23]
	s_mov_b64 s[22:23], 0
	v_mov_b32_e32 v9, s44
	v_mov_b32_e32 v2, v0
                                        ; implicit-def: $sgpr24_sgpr25
	s_waitcnt vmcnt(0)
	v_add_u32_e32 v1, v8, v8
	v_mul_lo_u32 v10, v8, 3
	v_lshlrev_b32_e32 v11, 1, v8
	v_add_u32_e32 v12, v1, v8
	v_mov_b32_e32 v1, v3
	s_branch .LBB62_5
.LBB62_2:                               ;   in Loop: Header=BB62_5 Depth=1
	s_or_b64 exec, exec, s[30:31]
	s_orn2_b64 s[30:31], s[34:35], exec
.LBB62_3:                               ;   in Loop: Header=BB62_5 Depth=1
	s_or_b64 exec, exec, s[28:29]
	s_andn2_b64 s[24:25], s[24:25], exec
	s_and_b64 s[28:29], s[30:31], exec
	s_or_b64 s[24:25], s[24:25], s[28:29]
.LBB62_4:                               ;   in Loop: Header=BB62_5 Depth=1
	s_or_b64 exec, exec, s[26:27]
	s_and_b64 s[26:27], exec, s[24:25]
	s_or_b64 s[22:23], s[26:27], s[22:23]
	s_andn2_b64 exec, exec, s[22:23]
	s_cbranch_execz .LBB62_9
.LBB62_5:                               ; =>This Inner Loop Header: Depth=1
	v_lshlrev_b64 v[4:5], 3, v[2:3]
	v_add_co_u32_e32 v4, vcc, s33, v4
	v_addc_co_u32_e32 v5, vcc, v9, v5, vcc
	global_load_dwordx2 v[6:7], v[4:5], off
	v_add_u32_e32 v4, v2, v8
	v_cmp_gt_u32_e32 vcc, s12, v4
	s_or_b64 s[24:25], s[24:25], exec
	s_waitcnt vmcnt(0)
	v_fma_mix_f32 v1, v6, v6, v1 op_sel_hi:[1,1,0]
	v_fma_mix_f32 v1, v6, v6, v1 op_sel:[1,1,0] op_sel_hi:[1,1,0]
	v_fma_mix_f32 v1, v7, v7, v1 op_sel_hi:[1,1,0]
	v_fma_mix_f32 v1, v7, v7, v1 op_sel:[1,1,0] op_sel_hi:[1,1,0]
	s_and_saveexec_b64 s[26:27], vcc
	s_cbranch_execz .LBB62_4
; %bb.6:                                ;   in Loop: Header=BB62_5 Depth=1
	v_mov_b32_e32 v5, v3
	v_lshlrev_b64 v[6:7], 3, v[4:5]
	v_add_co_u32_e32 v6, vcc, s33, v6
	v_addc_co_u32_e32 v7, vcc, v9, v7, vcc
	global_load_dwordx2 v[14:15], v[6:7], off
	v_add_u32_e32 v6, v11, v2
	v_cmp_gt_u32_e32 vcc, s12, v6
	s_mov_b64 s[30:31], -1
	s_waitcnt vmcnt(0)
	v_fma_mix_f32 v1, v14, v14, v1 op_sel_hi:[1,1,0]
	v_fma_mix_f32 v1, v14, v14, v1 op_sel:[1,1,0] op_sel_hi:[1,1,0]
	v_fma_mix_f32 v1, v15, v15, v1 op_sel_hi:[1,1,0]
	v_fma_mix_f32 v1, v15, v15, v1 op_sel:[1,1,0] op_sel_hi:[1,1,0]
	s_and_saveexec_b64 s[28:29], vcc
	s_cbranch_execz .LBB62_3
; %bb.7:                                ;   in Loop: Header=BB62_5 Depth=1
	v_mov_b32_e32 v7, v3
	v_lshlrev_b64 v[6:7], 3, v[6:7]
	v_add_co_u32_e32 v6, vcc, s33, v6
	v_addc_co_u32_e32 v7, vcc, v9, v7, vcc
	global_load_dwordx2 v[6:7], v[6:7], off
	v_add_u32_e32 v2, v10, v2
	v_cmp_gt_u32_e32 vcc, s12, v2
	s_mov_b64 s[34:35], -1
	s_waitcnt vmcnt(0)
	v_fma_mix_f32 v1, v6, v6, v1 op_sel_hi:[1,1,0]
	v_fma_mix_f32 v1, v6, v6, v1 op_sel:[1,1,0] op_sel_hi:[1,1,0]
	v_fma_mix_f32 v1, v7, v7, v1 op_sel_hi:[1,1,0]
	v_fma_mix_f32 v1, v7, v7, v1 op_sel:[1,1,0] op_sel_hi:[1,1,0]
	s_and_saveexec_b64 s[30:31], vcc
	s_xor_b64 s[30:31], exec, s[30:31]
	s_cbranch_execz .LBB62_2
; %bb.8:                                ;   in Loop: Header=BB62_5 Depth=1
	v_lshlrev_b64 v[6:7], 3, v[2:3]
	v_add_co_u32_e32 v6, vcc, s33, v6
	v_addc_co_u32_e32 v7, vcc, v9, v7, vcc
	global_load_dwordx2 v[6:7], v[6:7], off
	v_add_u32_e32 v2, v12, v4
	v_cmp_le_u32_e32 vcc, s12, v2
	s_orn2_b64 s[34:35], vcc, exec
	s_waitcnt vmcnt(0)
	v_fma_mix_f32 v1, v6, v6, v1 op_sel_hi:[1,1,0]
	v_fma_mix_f32 v1, v6, v6, v1 op_sel:[1,1,0] op_sel_hi:[1,1,0]
	v_fma_mix_f32 v1, v7, v7, v1 op_sel_hi:[1,1,0]
	v_fma_mix_f32 v1, v7, v7, v1 op_sel:[1,1,0] op_sel_hi:[1,1,0]
	s_branch .LBB62_2
.LBB62_9:
	s_or_b64 exec, exec, s[22:23]
.LBB62_10:
	s_or_b64 exec, exec, s[2:3]
	v_mbcnt_lo_u32_b32 v2, -1, 0
	v_mbcnt_hi_u32_b32 v2, -1, v2
	v_and_b32_e32 v3, 63, v2
	v_cmp_ne_u32_e32 vcc, 63, v3
	s_load_dword s2, s[18:19], 0xc
	v_addc_co_u32_e32 v4, vcc, 0, v2, vcc
	v_lshlrev_b32_e32 v4, 2, v4
	ds_bpermute_b32 v4, v4, v1
	s_waitcnt lgkmcnt(0)
	s_and_b32 s13, s2, 0xffff
	v_and_b32_e32 v5, 0x3c0, v0
	v_sub_u32_e64 v5, s13, v5 clamp
	v_add_u32_e32 v6, 1, v2
	v_add_f32_e32 v4, v1, v4
	v_cmp_lt_u32_e32 vcc, v6, v5
	v_cndmask_b32_e32 v1, v1, v4, vcc
	v_cmp_gt_u32_e32 vcc, 62, v3
	v_cndmask_b32_e64 v4, 0, 1, vcc
	v_lshlrev_b32_e32 v4, 1, v4
	v_add_lshl_u32 v4, v4, v2, 2
	ds_bpermute_b32 v4, v4, v1
	v_add_u32_e32 v6, 2, v2
	v_cmp_lt_u32_e32 vcc, v6, v5
	v_add_u32_e32 v6, 4, v2
	s_waitcnt lgkmcnt(0)
	v_add_f32_e32 v4, v1, v4
	v_cndmask_b32_e32 v1, v1, v4, vcc
	v_cmp_gt_u32_e32 vcc, 60, v3
	v_cndmask_b32_e64 v4, 0, 1, vcc
	v_lshlrev_b32_e32 v4, 2, v4
	v_add_lshl_u32 v4, v4, v2, 2
	ds_bpermute_b32 v4, v4, v1
	v_cmp_lt_u32_e32 vcc, v6, v5
	v_add_u32_e32 v6, 8, v2
	s_waitcnt lgkmcnt(0)
	v_add_f32_e32 v4, v1, v4
	v_cndmask_b32_e32 v1, v1, v4, vcc
	v_cmp_gt_u32_e32 vcc, 56, v3
	v_cndmask_b32_e64 v4, 0, 1, vcc
	v_lshlrev_b32_e32 v4, 3, v4
	v_add_lshl_u32 v4, v4, v2, 2
	ds_bpermute_b32 v4, v4, v1
	v_cmp_lt_u32_e32 vcc, v6, v5
	v_add_u32_e32 v6, 16, v2
	s_waitcnt lgkmcnt(0)
	v_add_f32_e32 v4, v1, v4
	v_cndmask_b32_e32 v1, v1, v4, vcc
	v_cmp_gt_u32_e32 vcc, 48, v3
	v_cndmask_b32_e64 v4, 0, 1, vcc
	v_lshlrev_b32_e32 v4, 4, v4
	v_add_lshl_u32 v4, v4, v2, 2
	ds_bpermute_b32 v4, v4, v1
	v_cmp_lt_u32_e32 vcc, v6, v5
	s_waitcnt lgkmcnt(0)
	v_add_f32_e32 v4, v1, v4
	v_cndmask_b32_e32 v1, v1, v4, vcc
	v_cmp_gt_u32_e32 vcc, 32, v3
	v_cndmask_b32_e64 v3, 0, 1, vcc
	v_lshlrev_b32_e32 v3, 5, v3
	v_add_lshl_u32 v3, v3, v2, 2
	ds_bpermute_b32 v3, v3, v1
	v_add_u32_e32 v4, 32, v2
	v_cmp_lt_u32_e32 vcc, v4, v5
	s_waitcnt lgkmcnt(0)
	v_add_f32_e32 v3, v1, v3
	v_cndmask_b32_e32 v1, v1, v3, vcc
	v_cmp_eq_u32_e32 vcc, 0, v2
	s_and_saveexec_b64 s[2:3], vcc
	s_cbranch_execz .LBB62_12
; %bb.11:
	v_lshrrev_b32_e32 v3, 4, v0
	v_and_b32_e32 v3, 60, v3
	ds_write_b32 v3, v1 offset:4096
.LBB62_12:
	s_or_b64 exec, exec, s[2:3]
	v_cmp_gt_u32_e32 vcc, 16, v0
	s_waitcnt lgkmcnt(0)
	s_barrier
	s_and_saveexec_b64 s[22:23], vcc
	s_cbranch_execz .LBB62_14
; %bb.13:
	v_lshlrev_b32_e32 v1, 2, v2
	ds_read_b32 v1, v1 offset:4096
	v_and_b32_e32 v3, 15, v2
	v_cmp_ne_u32_e32 vcc, 15, v3
	v_addc_co_u32_e32 v4, vcc, 0, v2, vcc
	v_lshlrev_b32_e32 v4, 2, v4
	s_waitcnt lgkmcnt(0)
	ds_bpermute_b32 v4, v4, v1
	s_add_i32 s13, s13, 63
	s_lshr_b32 s13, s13, 6
	v_add_u32_e32 v5, 1, v3
	v_cmp_gt_u32_e64 s[2:3], 14, v3
	v_cmp_gt_u32_e32 vcc, s13, v5
	v_cndmask_b32_e64 v5, 0, 1, s[2:3]
	s_waitcnt lgkmcnt(0)
	v_add_f32_e32 v4, v1, v4
	v_lshlrev_b32_e32 v5, 1, v5
	v_cndmask_b32_e32 v4, v1, v4, vcc
	v_add_lshl_u32 v5, v5, v2, 2
	ds_bpermute_b32 v5, v5, v4
	v_add_u32_e32 v6, 2, v3
	v_cmp_gt_u32_e64 s[2:3], s13, v6
	v_add_u32_e32 v6, 4, v3
	s_waitcnt lgkmcnt(0)
	v_add_f32_e32 v5, v4, v5
	v_cndmask_b32_e64 v4, v4, v5, s[2:3]
	v_cmp_gt_u32_e64 s[2:3], 12, v3
	v_cndmask_b32_e64 v5, 0, 1, s[2:3]
	v_lshlrev_b32_e32 v5, 2, v5
	v_add_lshl_u32 v5, v5, v2, 2
	ds_bpermute_b32 v5, v5, v4
	v_cmp_gt_u32_e64 s[2:3], s13, v6
	s_waitcnt lgkmcnt(0)
	v_add_f32_e32 v5, v4, v5
	v_cndmask_b32_e64 v4, v4, v5, s[2:3]
	v_cmp_gt_u32_e64 s[2:3], 8, v3
	v_cndmask_b32_e64 v5, 0, 1, s[2:3]
	v_lshlrev_b32_e32 v5, 3, v5
	v_add_lshl_u32 v2, v5, v2, 2
	ds_bpermute_b32 v2, v2, v4
	v_add_u32_e32 v3, 8, v3
	v_cmp_gt_u32_e64 s[2:3], s13, v3
	s_waitcnt lgkmcnt(0)
	v_add_f32_e32 v2, v4, v2
	v_cndmask_b32_e64 v2, v4, v2, s[2:3]
	v_cndmask_b32_e32 v1, v1, v2, vcc
.LBB62_14:
	s_or_b64 exec, exec, s[22:23]
	v_cmp_eq_u32_e32 vcc, 0, v0
	s_and_saveexec_b64 s[2:3], vcc
	s_cbranch_execz .LBB62_16
; %bb.15:
	v_cvt_f32_i32_e32 v2, s17
	s_mov_b32 s13, 0x800000
	v_div_scale_f32 v3, s[22:23], v2, v2, v1
	v_rcp_f32_e32 v4, v3
	v_div_scale_f32 v5, vcc, v1, v2, v1
	v_fma_f32 v6, -v3, v4, 1.0
	v_fmac_f32_e32 v4, v6, v4
	v_mul_f32_e32 v6, v5, v4
	v_fma_f32 v7, -v3, v6, v5
	v_fmac_f32_e32 v6, v7, v4
	v_fma_f32 v3, -v3, v6, v5
	v_div_fmas_f32 v3, v3, v4, v6
	v_div_fixup_f32 v1, v3, v2, v1
	v_add_f32_e32 v1, s16, v1
	v_mul_f32_e32 v2, 0x4b800000, v1
	v_cmp_gt_f32_e32 vcc, s13, v1
	v_cndmask_b32_e32 v1, v1, v2, vcc
	v_rsq_f32_e32 v1, v1
	v_mul_f32_e32 v2, 0x45800000, v1
	v_cndmask_b32_e32 v1, v1, v2, vcc
	v_mov_b32_e32 v2, 0
	ds_write_b32 v2, v1 offset:4160
.LBB62_16:
	s_or_b64 exec, exec, s[2:3]
	s_ashr_i32 s21, s17, 31
	s_lshr_b32 s2, s21, 26
	s_add_i32 s3, s17, s2
	s_ashr_i32 s2, s3, 6
	s_cmp_lt_u32 s6, s46
	s_cselect_b32 s13, 12, 18
	s_add_u32 s18, s18, s13
	v_mov_b32_e32 v5, 0
	s_addc_u32 s19, s19, 0
	s_waitcnt lgkmcnt(0)
	s_barrier
	global_load_ushort v1, v5, s[18:19]
	ds_read_b32 v36, v5 offset:4160
	s_abs_i32 s13, s2
	v_cvt_f32_u32_e32 v2, s13
	s_sub_i32 s16, 0, s13
	s_ashr_i32 s3, s3, 31
	v_mov_b32_e32 v10, s12
	v_rcp_iflag_f32_e32 v2, v2
	v_mul_f32_e32 v2, 0x4f7ffffe, v2
	v_cvt_u32_f32_e32 v2, v2
	v_readfirstlane_b32 s18, v2
	s_mul_i32 s16, s16, s18
	s_mul_hi_u32 s16, s18, s16
	s_add_i32 s18, s18, s16
	s_waitcnt vmcnt(0)
	v_readfirstlane_b32 s45, v1
	s_mul_hi_u32 s16, s45, s18
	s_mul_i32 s18, s16, s13
	s_sub_i32 s18, s45, s18
	s_add_i32 s19, s16, 1
	s_sub_i32 s22, s18, s13
	s_cmp_ge_u32 s18, s13
	s_cselect_b32 s16, s19, s16
	s_cselect_b32 s18, s22, s18
	s_add_i32 s19, s16, 1
	s_cmp_ge_u32 s18, s13
	s_cselect_b32 s13, s19, s16
	s_xor_b32 s13, s13, s3
	s_sub_i32 s18, s13, s3
	s_abs_i32 s3, s18
	v_cvt_f32_u32_e32 v1, s3
	s_sub_i32 s16, 0, s3
	s_ashr_i32 s19, s18, 31
	s_ashr_i32 s13, s12, 31
	v_rcp_iflag_f32_e32 v1, v1
	v_mov_b32_e32 v11, s13
	v_mul_f32_e32 v1, 0x4f7ffffe, v1
	v_cvt_u32_f32_e32 v1, v1
	v_mul_lo_u32 v2, s16, v1
	v_mul_hi_u32 v2, v1, v2
	v_add_u32_e32 v1, v1, v2
	v_mul_hi_u32 v1, v0, v1
	v_mul_lo_u32 v2, v1, s3
	v_sub_u32_e32 v2, v0, v2
	v_add_u32_e32 v3, 1, v1
	v_cmp_le_u32_e32 vcc, s3, v2
	v_cndmask_b32_e32 v1, v1, v3, vcc
	v_subrev_u32_e32 v3, s3, v2
	v_cndmask_b32_e32 v2, v2, v3, vcc
	v_add_u32_e32 v3, 1, v1
	v_cmp_le_u32_e32 vcc, s3, v2
	v_cndmask_b32_e32 v1, v1, v3, vcc
	v_xor_b32_e32 v1, s19, v1
	v_subrev_u32_e32 v2, s19, v1
	v_mul_lo_u32 v1, v2, s18
	v_ashrrev_i32_e32 v3, 31, v2
	v_sub_u32_e32 v4, v0, v1
	v_lshlrev_b64 v[8:9], 4, v[2:3]
	v_add_co_u32_e32 v6, vcc, v8, v4
	v_addc_co_u32_e32 v7, vcc, 0, v9, vcc
	v_add_co_u32_e32 v8, vcc, 16, v8
	v_addc_co_u32_e32 v9, vcc, 0, v9, vcc
	v_cmp_gt_i64_e32 vcc, s[12:13], v[8:9]
	v_cndmask_b32_e32 v8, v10, v8, vcc
	v_cndmask_b32_e32 v9, v11, v9, vcc
	v_ashrrev_i32_e32 v11, 31, v8
	v_mov_b32_e32 v10, v8
	v_cmp_lt_i64_e32 vcc, v[6:7], v[10:11]
	s_and_saveexec_b64 s[22:23], vcc
	s_cbranch_execz .LBB62_26
; %bb.17:
	v_lshlrev_b64 v[12:13], 7, v[2:3]
	v_lshlrev_b64 v[14:15], 3, v[4:5]
	v_add_co_u32_e32 v12, vcc, v12, v14
	v_addc_co_u32_e32 v1, vcc, v13, v15, vcc
	s_lshl_b64 s[24:25], s[18:19], 5
	s_mul_hi_i32 s3, s18, 3
	s_mul_i32 s13, s18, 3
	s_lshl_b64 s[26:27], s[18:19], 1
	s_lshl_b64 s[30:31], s[18:19], 3
	s_mov_b64 s[28:29], 0
	v_mov_b32_e32 v5, 0
	v_mov_b32_e32 v13, s44
	;; [unrolled: 1-line block ×4, first 2 shown]
	v_pk_mov_b32 v[14:15], v[6:7], v[6:7] op_sel:[0,1]
                                        ; implicit-def: $sgpr34_sgpr35
	s_branch .LBB62_21
.LBB62_18:                              ;   in Loop: Header=BB62_21 Depth=1
	s_or_b64 exec, exec, s[40:41]
	s_orn2_b64 s[40:41], s[42:43], exec
.LBB62_19:                              ;   in Loop: Header=BB62_21 Depth=1
	s_or_b64 exec, exec, s[38:39]
	s_andn2_b64 s[34:35], s[34:35], exec
	s_and_b64 s[38:39], s[40:41], exec
	s_or_b64 s[34:35], s[34:35], s[38:39]
.LBB62_20:                              ;   in Loop: Header=BB62_21 Depth=1
	s_or_b64 exec, exec, s[36:37]
	s_and_b64 s[36:37], exec, s[34:35]
	s_or_b64 s[28:29], s[36:37], s[28:29]
	s_andn2_b64 exec, exec, s[28:29]
	s_cbranch_execz .LBB62_25
.LBB62_21:                              ; =>This Inner Loop Header: Depth=1
	v_add_co_u32_e32 v18, vcc, s33, v12
	v_addc_co_u32_e32 v19, vcc, v13, v1, vcc
	v_add_co_u32_e32 v20, vcc, s14, v12
	global_load_dwordx2 v[16:17], v[18:19], off
	v_addc_co_u32_e32 v21, vcc, v22, v1, vcc
	global_load_dwordx2 v[24:25], v[20:21], off
	s_or_b64 s[34:35], s[34:35], exec
	s_waitcnt vmcnt(1) lgkmcnt(0)
	v_fma_mixlo_f16 v26, v36, v16, 0 op_sel_hi:[0,1,0]
	v_fma_mixlo_f16 v16, v36, v16, 0 op_sel:[0,1,0] op_sel_hi:[0,1,0]
	v_fma_mixlo_f16 v27, v36, v17, 0 op_sel_hi:[0,1,0]
	v_fma_mixlo_f16 v17, v36, v17, 0 op_sel:[0,1,0] op_sel_hi:[0,1,0]
	s_waitcnt vmcnt(0)
	v_mul_f16_e32 v26, v24, v26
	v_mul_f16_sdwa v16, v24, v16 dst_sel:DWORD dst_unused:UNUSED_PAD src0_sel:WORD_1 src1_sel:DWORD
	v_mul_f16_e32 v24, v25, v27
	v_mul_f16_sdwa v17, v25, v17 dst_sel:DWORD dst_unused:UNUSED_PAD src0_sel:WORD_1 src1_sel:DWORD
	v_cvt_f32_f16_e64 v25, |v26|
	v_cvt_f32_f16_e64 v26, |v16|
	;; [unrolled: 1-line block ×4, first 2 shown]
	v_add_co_u32_e32 v16, vcc, s18, v14
	v_addc_co_u32_e32 v17, vcc, v15, v23, vcc
	v_max3_f32 v5, v5, v25, v26
	v_cmp_lt_i64_e32 vcc, v[16:17], v[10:11]
	v_max3_f32 v5, v5, v24, v27
	s_and_saveexec_b64 s[36:37], vcc
	s_cbranch_execz .LBB62_20
; %bb.22:                               ;   in Loop: Header=BB62_21 Depth=1
	v_mov_b32_e32 v26, s31
	v_add_co_u32_e32 v18, vcc, s30, v18
	v_addc_co_u32_e32 v19, vcc, v19, v26, vcc
	v_add_co_u32_e32 v20, vcc, s30, v20
	global_load_dwordx2 v[24:25], v[18:19], off
	v_addc_co_u32_e32 v21, vcc, v21, v26, vcc
	global_load_dwordx2 v[26:27], v[20:21], off
	v_mov_b32_e32 v28, s27
	s_mov_b64 s[40:41], -1
	s_waitcnt vmcnt(1)
	v_fma_mixlo_f16 v29, v36, v24, 0 op_sel_hi:[0,1,0]
	v_fma_mixlo_f16 v24, v36, v24, 0 op_sel:[0,1,0] op_sel_hi:[0,1,0]
	v_fma_mixlo_f16 v30, v36, v25, 0 op_sel_hi:[0,1,0]
	v_fma_mixlo_f16 v25, v36, v25, 0 op_sel:[0,1,0] op_sel_hi:[0,1,0]
	s_waitcnt vmcnt(0)
	v_mul_f16_e32 v29, v26, v29
	v_mul_f16_sdwa v24, v26, v24 dst_sel:DWORD dst_unused:UNUSED_PAD src0_sel:WORD_1 src1_sel:DWORD
	v_mul_f16_e32 v26, v27, v30
	v_mul_f16_sdwa v25, v27, v25 dst_sel:DWORD dst_unused:UNUSED_PAD src0_sel:WORD_1 src1_sel:DWORD
	v_cvt_f32_f16_e64 v27, |v29|
	v_cvt_f32_f16_e64 v29, |v24|
	;; [unrolled: 1-line block ×4, first 2 shown]
	v_add_co_u32_e32 v24, vcc, s26, v14
	v_addc_co_u32_e32 v25, vcc, v28, v15, vcc
	v_max3_f32 v5, v5, v27, v29
	v_cmp_lt_i64_e32 vcc, v[24:25], v[10:11]
	v_max3_f32 v5, v5, v26, v30
	s_and_saveexec_b64 s[38:39], vcc
	s_cbranch_execz .LBB62_19
; %bb.23:                               ;   in Loop: Header=BB62_21 Depth=1
	v_mov_b32_e32 v26, s31
	v_add_co_u32_e32 v18, vcc, s30, v18
	v_addc_co_u32_e32 v19, vcc, v19, v26, vcc
	v_add_co_u32_e32 v20, vcc, s30, v20
	global_load_dwordx2 v[24:25], v[18:19], off
	v_addc_co_u32_e32 v21, vcc, v21, v26, vcc
	global_load_dwordx2 v[26:27], v[20:21], off
	v_mov_b32_e32 v28, s3
	v_add_co_u32_e32 v14, vcc, s13, v14
	v_addc_co_u32_e32 v15, vcc, v28, v15, vcc
	v_cmp_lt_i64_e32 vcc, v[14:15], v[10:11]
	s_mov_b64 s[42:43], -1
                                        ; implicit-def: $vgpr14_vgpr15
	s_waitcnt vmcnt(1)
	v_fma_mixlo_f16 v29, v36, v24, 0 op_sel_hi:[0,1,0]
	v_fma_mixlo_f16 v24, v36, v24, 0 op_sel:[0,1,0] op_sel_hi:[0,1,0]
	v_fma_mixlo_f16 v30, v36, v25, 0 op_sel_hi:[0,1,0]
	v_fma_mixlo_f16 v25, v36, v25, 0 op_sel:[0,1,0] op_sel_hi:[0,1,0]
	s_waitcnt vmcnt(0)
	v_mul_f16_e32 v29, v26, v29
	v_mul_f16_sdwa v24, v26, v24 dst_sel:DWORD dst_unused:UNUSED_PAD src0_sel:WORD_1 src1_sel:DWORD
	v_mul_f16_e32 v26, v27, v30
	v_mul_f16_sdwa v25, v27, v25 dst_sel:DWORD dst_unused:UNUSED_PAD src0_sel:WORD_1 src1_sel:DWORD
	v_cvt_f32_f16_e64 v27, |v29|
	v_cvt_f32_f16_e64 v24, |v24|
	;; [unrolled: 1-line block ×4, first 2 shown]
	v_max3_f32 v5, v5, v27, v24
	v_max3_f32 v5, v5, v26, v25
	s_and_saveexec_b64 s[40:41], vcc
	s_xor_b64 s[40:41], exec, s[40:41]
	s_cbranch_execz .LBB62_18
; %bb.24:                               ;   in Loop: Header=BB62_21 Depth=1
	v_mov_b32_e32 v24, s31
	v_add_co_u32_e32 v14, vcc, s30, v18
	v_addc_co_u32_e32 v15, vcc, v19, v24, vcc
	v_add_co_u32_e32 v18, vcc, s30, v20
	global_load_dwordx2 v[14:15], v[14:15], off
	v_addc_co_u32_e32 v19, vcc, v21, v24, vcc
	global_load_dwordx2 v[18:19], v[18:19], off
	s_add_u32 s16, s18, s18
	s_addc_u32 s42, s19, s19
	v_mov_b32_e32 v20, s25
	v_add_co_u32_e32 v12, vcc, s24, v12
	s_add_u32 s16, s16, s18
	v_addc_co_u32_e32 v1, vcc, v1, v20, vcc
	s_addc_u32 s42, s42, s19
	v_mov_b32_e32 v20, s42
	s_waitcnt vmcnt(1)
	v_fma_mixlo_f16 v21, v36, v14, 0 op_sel_hi:[0,1,0]
	v_fma_mixlo_f16 v14, v36, v14, 0 op_sel:[0,1,0] op_sel_hi:[0,1,0]
	v_fma_mixlo_f16 v24, v36, v15, 0 op_sel_hi:[0,1,0]
	v_fma_mixlo_f16 v15, v36, v15, 0 op_sel:[0,1,0] op_sel_hi:[0,1,0]
	s_waitcnt vmcnt(0)
	v_mul_f16_e32 v21, v18, v21
	v_mul_f16_sdwa v14, v18, v14 dst_sel:DWORD dst_unused:UNUSED_PAD src0_sel:WORD_1 src1_sel:DWORD
	v_mul_f16_e32 v18, v19, v24
	v_mul_f16_sdwa v15, v19, v15 dst_sel:DWORD dst_unused:UNUSED_PAD src0_sel:WORD_1 src1_sel:DWORD
	v_cvt_f32_f16_e64 v19, |v21|
	v_cvt_f32_f16_e64 v21, |v14|
	;; [unrolled: 1-line block ×4, first 2 shown]
	v_add_co_u32_e32 v14, vcc, s16, v16
	v_addc_co_u32_e32 v15, vcc, v20, v17, vcc
	v_cmp_ge_i64_e32 vcc, v[14:15], v[10:11]
	v_max3_f32 v5, v5, v19, v21
	v_max3_f32 v5, v5, v18, v24
	s_orn2_b64 s[42:43], vcc, exec
	s_branch .LBB62_18
.LBB62_25:
	s_or_b64 exec, exec, s[28:29]
.LBB62_26:
	s_or_b64 exec, exec, s[22:23]
	s_lshr_b32 s13, s45, 6
	v_cvt_f32_u32_e32 v10, s13
	v_lshlrev_b32_e32 v1, 2, v0
	ds_write_b32 v1, v5
	s_sub_i32 s22, 0, s13
	v_rcp_iflag_f32_e32 v5, v10
	s_add_i32 s3, s2, s13
	s_add_i32 s3, s3, -1
	s_ashr_i32 s16, s3, 31
	v_mul_f32_e32 v5, 0x4f7ffffe, v5
	v_cvt_u32_f32_e32 v5, v5
	s_abs_i32 s3, s3
	s_waitcnt lgkmcnt(0)
	s_barrier
	v_readfirstlane_b32 s23, v5
	s_mul_i32 s22, s22, s23
	s_mul_hi_u32 s22, s23, s22
	s_add_i32 s23, s23, s22
	s_mul_hi_u32 s22, s3, s23
	s_mul_i32 s23, s22, s13
	s_sub_i32 s3, s3, s23
	s_add_i32 s23, s22, 1
	s_sub_i32 s24, s3, s13
	s_cmp_ge_u32 s3, s13
	s_cselect_b32 s22, s23, s22
	s_cselect_b32 s3, s24, s3
	s_add_i32 s23, s22, 1
	s_cmp_ge_u32 s3, s13
	s_cselect_b32 s3, s23, s22
	s_xor_b32 s3, s3, s16
	s_sub_i32 s22, s3, s16
	s_ashr_i32 s23, s22, 31
	v_cmp_lt_i64_e64 s[24:25], s[22:23], 1
	s_and_b64 vcc, exec, s[24:25]
	s_cbranch_vccnz .LBB62_48
; %bb.27:
	v_and_b32_e32 v12, 63, v0
	v_add_co_u32_e32 v14, vcc, 32, v12
	v_addc_co_u32_e64 v15, s[24:25], 0, 0, vcc
	v_add_co_u32_e32 v16, vcc, 16, v12
	v_addc_co_u32_e64 v17, s[24:25], 0, 0, vcc
	v_add_co_u32_e32 v18, vcc, 8, v12
	v_lshrrev_b32_e32 v10, 6, v0
	v_addc_co_u32_e64 v19, s[24:25], 0, 0, vcc
	v_add_co_u32_e32 v20, vcc, 4, v12
	v_addc_co_u32_e64 v21, s[24:25], 0, 0, vcc
	v_add_co_u32_e32 v22, vcc, 2, v12
	v_mul_lo_u32 v5, s18, v10
	v_addc_co_u32_e64 v23, s[24:25], 0, 0, vcc
	v_add_co_u32_e32 v24, vcc, 1, v12
	v_lshlrev_b32_e32 v5, 2, v5
	v_lshlrev_b32_e32 v26, 2, v12
	s_movk_i32 s16, 0x100
	v_mov_b32_e32 v11, 0
	v_addc_co_u32_e64 v25, s[24:25], 0, 0, vcc
	v_add3_u32 v5, v5, v26, s16
	s_mul_i32 s16, s18, s13
	s_ashr_i32 s3, s2, 31
	v_mov_b32_e32 v13, v11
	s_lshl_b32 s16, s16, 2
	s_mov_b64 s[24:25], 0
	v_mov_b32_e32 v37, s13
	s_mov_b64 s[26:27], src_shared_base
	s_branch .LBB62_30
.LBB62_28:                              ;   in Loop: Header=BB62_30 Depth=1
	s_or_b64 exec, exec, s[30:31]
	v_mov_b32_e32 v27, s27
	flat_load_dword v26, v[26:27] glc
	s_waitcnt vmcnt(0)
.LBB62_29:                              ;   in Loop: Header=BB62_30 Depth=1
	s_or_b64 exec, exec, s[28:29]
	s_add_u32 s24, s24, 1
	s_addc_u32 s25, s25, 0
	s_cmp_eq_u64 s[24:25], s[22:23]
	v_add_u32_e32 v5, s16, v5
	s_cbranch_scc1 .LBB62_48
.LBB62_30:                              ; =>This Loop Header: Depth=1
                                        ;     Child Loop BB62_33 Depth 2
	v_mad_u64_u32 v[30:31], s[28:29], s24, v37, v[10:11]
	s_mul_i32 s26, s25, s13
	v_add_u32_e32 v31, s26, v31
	v_cmp_gt_i64_e32 vcc, s[2:3], v[30:31]
	s_and_saveexec_b64 s[28:29], vcc
	s_cbranch_execz .LBB62_29
; %bb.31:                               ;   in Loop: Header=BB62_30 Depth=1
	v_pk_mov_b32 v[32:33], s[18:19], s[18:19] op_sel:[0,1]
	v_mul_lo_u32 v29, v31, s18
	v_mul_lo_u32 v38, v30, s19
	v_mad_u64_u32 v[32:33], s[30:31], v30, s18, v[32:33]
	v_add3_u32 v33, v29, v33, v38
	v_mov_b32_e32 v28, s21
	v_cmp_gt_i64_e32 vcc, s[20:21], v[32:33]
	s_waitcnt lgkmcnt(0)
	v_mad_u64_u32 v[26:27], s[30:31], v30, s18, v[12:13]
	v_cndmask_b32_e32 v33, v28, v33, vcc
	v_mov_b32_e32 v28, s17
	v_add3_u32 v27, v29, v27, v38
	v_cndmask_b32_e32 v32, v28, v32, vcc
	v_add_co_u32_e32 v34, vcc, 64, v26
	v_addc_co_u32_e32 v35, vcc, 0, v27, vcc
	v_cmp_lt_i64_e32 vcc, v[34:35], v[32:33]
	v_lshlrev_b32_e32 v28, 2, v26
	s_and_saveexec_b64 s[30:31], vcc
	s_cbranch_execz .LBB62_34
; %bb.32:                               ;   in Loop: Header=BB62_30 Depth=1
	ds_read_b32 v31, v28
	s_mov_b64 s[34:35], 0
	v_mov_b32_e32 v27, v5
.LBB62_33:                              ;   Parent Loop BB62_30 Depth=1
                                        ; =>  This Inner Loop Header: Depth=2
	ds_read_b32 v39, v27
	v_add_co_u32_e32 v34, vcc, 64, v34
	v_addc_co_u32_e32 v35, vcc, 0, v35, vcc
	s_waitcnt lgkmcnt(1)
	v_max_f32_e32 v31, v31, v31
	v_cmp_ge_i64_e32 vcc, v[34:35], v[32:33]
	s_waitcnt lgkmcnt(0)
	v_max_f32_e32 v39, v39, v39
	v_add_u32_e32 v27, 0x100, v27
	s_or_b64 s[34:35], vcc, s[34:35]
	v_max_f32_e32 v31, v31, v39
	ds_write_b32 v28, v31
	s_andn2_b64 exec, exec, s[34:35]
	s_cbranch_execnz .LBB62_33
.LBB62_34:                              ;   in Loop: Header=BB62_30 Depth=1
	s_or_b64 exec, exec, s[30:31]
	v_mad_u64_u32 v[30:31], s[30:31], v30, s18, 0
	v_add3_u32 v27, v31, v38, v29
	v_sub_co_u32_e32 v30, vcc, v32, v30
	v_subb_co_u32_e32 v31, vcc, v33, v27, vcc
	v_cmp_gt_i64_e32 vcc, 64, v[30:31]
	v_cndmask_b32_e32 v31, 0, v31, vcc
	v_cndmask_b32_e32 v30, 64, v30, vcc
	v_cmp_lt_i64_e32 vcc, v[14:15], v[30:31]
	s_and_saveexec_b64 s[30:31], vcc
	s_cbranch_execnz .LBB62_46
; %bb.35:                               ;   in Loop: Header=BB62_30 Depth=1
	s_or_b64 exec, exec, s[30:31]
	v_cmp_lt_i64_e32 vcc, v[16:17], v[30:31]
	s_and_saveexec_b64 s[30:31], vcc
	s_cbranch_execnz .LBB62_47
.LBB62_36:                              ;   in Loop: Header=BB62_30 Depth=1
	s_or_b64 exec, exec, s[30:31]
	v_cmp_lt_i64_e32 vcc, v[18:19], v[30:31]
	s_and_saveexec_b64 s[30:31], vcc
	s_cbranch_execz .LBB62_38
.LBB62_37:                              ;   in Loop: Header=BB62_30 Depth=1
	v_mov_b32_e32 v29, s27
	v_add_u32_e32 v32, 32, v28
	v_mov_b32_e32 v33, s27
	flat_load_dword v27, v[28:29] glc
	s_waitcnt vmcnt(0)
	flat_load_dword v34, v[32:33] glc
	s_waitcnt vmcnt(0) lgkmcnt(0)
	v_max_f32_e32 v27, v27, v27
	v_max_f32_e32 v32, v34, v34
	;; [unrolled: 1-line block ×3, first 2 shown]
	flat_store_dword v[28:29], v27
	s_waitcnt vmcnt(0)
.LBB62_38:                              ;   in Loop: Header=BB62_30 Depth=1
	s_or_b64 exec, exec, s[30:31]
	v_cmp_ge_i64_e32 vcc, v[20:21], v[30:31]
	s_and_saveexec_b64 s[30:31], vcc
	s_xor_b64 s[30:31], exec, s[30:31]
; %bb.39:                               ;   in Loop: Header=BB62_30 Depth=1
                                        ; implicit-def: $vgpr28
; %bb.40:                               ;   in Loop: Header=BB62_30 Depth=1
	s_andn2_saveexec_b64 s[30:31], s[30:31]
	s_cbranch_execz .LBB62_42
; %bb.41:                               ;   in Loop: Header=BB62_30 Depth=1
	v_mov_b32_e32 v29, s27
	v_add_u32_e32 v32, 16, v28
	v_mov_b32_e32 v33, s27
	flat_load_dword v27, v[28:29] glc
	s_waitcnt vmcnt(0)
	flat_load_dword v34, v[32:33] glc
	s_waitcnt vmcnt(0) lgkmcnt(0)
	v_max_f32_e32 v27, v27, v27
	v_max_f32_e32 v32, v34, v34
	;; [unrolled: 1-line block ×3, first 2 shown]
	flat_store_dword v[28:29], v27
	s_waitcnt vmcnt(0)
.LBB62_42:                              ;   in Loop: Header=BB62_30 Depth=1
	s_or_b64 exec, exec, s[30:31]
	v_cmp_lt_i64_e32 vcc, v[22:23], v[30:31]
	v_lshlrev_b32_e32 v26, 2, v26
	s_and_saveexec_b64 s[30:31], vcc
	s_cbranch_execz .LBB62_44
; %bb.43:                               ;   in Loop: Header=BB62_30 Depth=1
	v_mov_b32_e32 v27, s27
	v_add_u32_e32 v28, 8, v26
	v_mov_b32_e32 v29, s27
	flat_load_dword v32, v[26:27] glc
	s_waitcnt vmcnt(0)
	flat_load_dword v33, v[28:29] glc
	s_waitcnt vmcnt(0) lgkmcnt(0)
	v_max_f32_e32 v28, v32, v32
	v_max_f32_e32 v29, v33, v33
	;; [unrolled: 1-line block ×3, first 2 shown]
	flat_store_dword v[26:27], v28
	s_waitcnt vmcnt(0)
.LBB62_44:                              ;   in Loop: Header=BB62_30 Depth=1
	s_or_b64 exec, exec, s[30:31]
	v_cmp_lt_i64_e32 vcc, v[24:25], v[30:31]
	s_and_saveexec_b64 s[30:31], vcc
	s_cbranch_execz .LBB62_28
; %bb.45:                               ;   in Loop: Header=BB62_30 Depth=1
	v_mov_b32_e32 v27, s27
	v_add_u32_e32 v28, 4, v26
	v_mov_b32_e32 v29, s27
	flat_load_dword v30, v[26:27] glc
	s_waitcnt vmcnt(0)
	flat_load_dword v31, v[28:29] glc
	s_waitcnt vmcnt(0) lgkmcnt(0)
	v_max_f32_e32 v28, v30, v30
	v_max_f32_e32 v29, v31, v31
	;; [unrolled: 1-line block ×3, first 2 shown]
	flat_store_dword v[26:27], v28
	s_waitcnt vmcnt(0)
	s_branch .LBB62_28
.LBB62_46:                              ;   in Loop: Header=BB62_30 Depth=1
	v_mov_b32_e32 v29, s27
	v_add_u32_e32 v32, 0x80, v28
	v_mov_b32_e32 v33, s27
	flat_load_dword v27, v[28:29] glc
	s_waitcnt vmcnt(0)
	flat_load_dword v34, v[32:33] glc
	s_waitcnt vmcnt(0) lgkmcnt(0)
	v_max_f32_e32 v27, v27, v27
	v_max_f32_e32 v32, v34, v34
	v_max_f32_e32 v27, v27, v32
	flat_store_dword v[28:29], v27
	s_waitcnt vmcnt(0)
	s_or_b64 exec, exec, s[30:31]
	v_cmp_lt_i64_e32 vcc, v[16:17], v[30:31]
	s_and_saveexec_b64 s[30:31], vcc
	s_cbranch_execz .LBB62_36
.LBB62_47:                              ;   in Loop: Header=BB62_30 Depth=1
	v_mov_b32_e32 v29, s27
	v_add_u32_e32 v32, 64, v28
	v_mov_b32_e32 v33, s27
	flat_load_dword v27, v[28:29] glc
	s_waitcnt vmcnt(0)
	flat_load_dword v34, v[32:33] glc
	s_waitcnt vmcnt(0) lgkmcnt(0)
	v_max_f32_e32 v27, v27, v27
	v_max_f32_e32 v32, v34, v34
	;; [unrolled: 1-line block ×3, first 2 shown]
	flat_store_dword v[28:29], v27
	s_waitcnt vmcnt(0)
	s_or_b64 exec, exec, s[30:31]
	v_cmp_lt_i64_e32 vcc, v[18:19], v[30:31]
	s_and_saveexec_b64 s[30:31], vcc
	s_cbranch_execnz .LBB62_37
	s_branch .LBB62_38
.LBB62_48:
	s_load_dwordx2 s[18:19], s[4:5], 0x40
	v_cmp_eq_u32_e32 vcc, 0, v4
	v_cmp_lt_i64_e64 s[2:3], v[6:7], v[8:9]
	s_and_b64 s[2:3], vcc, s[2:3]
	s_waitcnt lgkmcnt(0)
	s_barrier
	s_and_saveexec_b64 s[22:23], s[2:3]
	s_cbranch_execz .LBB62_55
; %bb.49:
	s_load_dwordx2 s[2:3], s[4:5], 0x20
	ds_read_b32 v1, v1
	s_waitcnt lgkmcnt(0)
	s_cmp_eq_u64 s[2:3], 0
	s_cbranch_scc1 .LBB62_51
; %bb.50:
	s_load_dword s2, s[2:3], 0x0
	v_max_f32_e32 v1, v1, v1
	s_waitcnt lgkmcnt(0)
	v_max_f32_e64 v4, s2, s2
	v_min_f32_e32 v1, v1, v4
.LBB62_51:
	s_add_u32 s3, s18, s46
	s_addc_u32 s4, s19, 0
	s_add_u32 s24, s3, -1
	s_addc_u32 s25, s4, -1
	s_or_b64 s[4:5], s[24:25], s[18:19]
	s_mov_b32 s2, 0
	s_mov_b32 s3, s5
	s_cmp_lg_u64 s[2:3], 0
	s_mov_b64 s[26:27], -1
	s_cbranch_scc0 .LBB62_68
; %bb.52:
	s_ashr_i32 s2, s19, 31
	s_add_u32 s4, s18, s2
	s_mov_b32 s3, s2
	s_addc_u32 s5, s19, s2
	s_xor_b64 s[28:29], s[4:5], s[2:3]
	v_cvt_f32_u32_e32 v4, s28
	v_cvt_f32_u32_e32 v5, s29
	s_sub_u32 s2, 0, s28
	s_subb_u32 s3, 0, s29
	v_madmk_f32 v4, v5, 0x4f800000, v4
	v_rcp_f32_e32 v4, v4
	v_mul_f32_e32 v4, 0x5f7ffffc, v4
	v_mul_f32_e32 v5, 0x2f800000, v4
	v_trunc_f32_e32 v5, v5
	v_madmk_f32 v4, v5, 0xcf800000, v4
	v_cvt_u32_f32_e32 v5, v5
	v_cvt_u32_f32_e32 v4, v4
	v_readfirstlane_b32 s4, v5
	v_readfirstlane_b32 s5, v4
	s_mul_i32 s13, s2, s4
	s_mul_hi_u32 s20, s2, s5
	s_mul_i32 s16, s3, s5
	s_add_i32 s13, s20, s13
	s_add_i32 s13, s13, s16
	s_mul_i32 s30, s2, s5
	s_mul_hi_u32 s16, s5, s13
	s_mul_i32 s20, s5, s13
	s_mul_hi_u32 s5, s5, s30
	s_add_u32 s5, s5, s20
	s_addc_u32 s16, 0, s16
	s_mul_hi_u32 s31, s4, s30
	s_mul_i32 s30, s4, s30
	s_add_u32 s5, s5, s30
	s_mul_hi_u32 s20, s4, s13
	s_addc_u32 s5, s16, s31
	s_addc_u32 s16, s20, 0
	s_mul_i32 s13, s4, s13
	s_add_u32 s5, s5, s13
	s_addc_u32 s13, 0, s16
	v_add_co_u32_e32 v4, vcc, s5, v4
	s_cmp_lg_u64 vcc, 0
	s_addc_u32 s4, s4, s13
	v_readfirstlane_b32 s13, v4
	s_mul_i32 s5, s2, s4
	s_mul_hi_u32 s16, s2, s13
	s_add_i32 s5, s16, s5
	s_mul_i32 s3, s3, s13
	s_add_i32 s5, s5, s3
	s_mul_i32 s2, s2, s13
	s_mul_hi_u32 s16, s4, s2
	s_mul_i32 s20, s4, s2
	s_mul_i32 s31, s13, s5
	s_mul_hi_u32 s2, s13, s2
	s_mul_hi_u32 s30, s13, s5
	s_add_u32 s2, s2, s31
	s_addc_u32 s13, 0, s30
	s_add_u32 s2, s2, s20
	s_mul_hi_u32 s3, s4, s5
	s_addc_u32 s2, s13, s16
	s_addc_u32 s3, s3, 0
	s_mul_i32 s5, s4, s5
	s_add_u32 s2, s2, s5
	s_addc_u32 s3, 0, s3
	v_add_co_u32_e32 v4, vcc, s2, v4
	s_cmp_lg_u64 vcc, 0
	s_addc_u32 s4, s4, s3
	s_ashr_i32 s30, s25, 31
	s_add_u32 s2, s24, s30
	s_mov_b32 s31, s30
	s_addc_u32 s3, s25, s30
	s_xor_b64 s[34:35], s[2:3], s[30:31]
	v_readfirstlane_b32 s5, v4
	s_mul_i32 s3, s34, s4
	s_mul_hi_u32 s13, s34, s5
	s_mul_hi_u32 s2, s34, s4
	s_add_u32 s3, s13, s3
	s_addc_u32 s2, 0, s2
	s_mul_hi_u32 s16, s35, s5
	s_mul_i32 s5, s35, s5
	s_add_u32 s3, s3, s5
	s_mul_hi_u32 s13, s35, s4
	s_addc_u32 s2, s2, s16
	s_addc_u32 s3, s13, 0
	s_mul_i32 s4, s35, s4
	s_add_u32 s2, s2, s4
	s_addc_u32 s3, 0, s3
	s_mul_i32 s3, s28, s3
	s_mul_hi_u32 s4, s28, s2
	s_add_i32 s3, s4, s3
	s_mul_i32 s4, s29, s2
	s_mul_i32 s2, s28, s2
	s_add_i32 s13, s3, s4
	v_mov_b32_e32 v4, s2
	s_sub_i32 s3, s35, s13
	v_sub_co_u32_e32 v4, vcc, s34, v4
	s_cmp_lg_u64 vcc, 0
	s_subb_u32 s16, s3, s29
	v_subrev_co_u32_e64 v5, s[2:3], s28, v4
	s_cmp_lg_u64 s[2:3], 0
	s_subb_u32 s20, s16, 0
	s_cmp_ge_u32 s20, s29
	s_cselect_b32 s31, -1, 0
	v_cmp_le_u32_e64 s[4:5], s28, v5
	s_cmp_eq_u32 s20, s29
	v_cndmask_b32_e64 v6, 0, -1, s[4:5]
	v_mov_b32_e32 v7, s31
	s_cselect_b64 s[4:5], -1, 0
	s_cmp_lg_u64 s[2:3], 0
	v_cndmask_b32_e64 v6, v7, v6, s[4:5]
	s_subb_u32 s4, s16, s29
	v_subrev_co_u32_e64 v7, s[2:3], s28, v5
	s_cmp_lg_u64 s[2:3], 0
	s_subb_u32 s4, s4, 0
	v_cmp_ne_u32_e64 s[2:3], 0, v6
	v_cndmask_b32_e64 v5, v5, v7, s[2:3]
	v_mov_b32_e32 v6, s20
	v_mov_b32_e32 v7, s4
	s_cmp_lg_u64 vcc, 0
	v_cndmask_b32_e64 v6, v6, v7, s[2:3]
	s_subb_u32 s2, s35, s13
	s_cmp_ge_u32 s2, s29
	s_cselect_b32 s3, -1, 0
	v_cmp_le_u32_e32 vcc, s28, v4
	s_cmp_eq_u32 s2, s29
	v_cndmask_b32_e64 v7, 0, -1, vcc
	v_mov_b32_e32 v8, s3
	s_cselect_b64 vcc, -1, 0
	v_cndmask_b32_e32 v7, v8, v7, vcc
	v_cmp_ne_u32_e32 vcc, 0, v7
	v_mov_b32_e32 v8, s2
	v_cndmask_b32_e32 v4, v4, v5, vcc
	v_cndmask_b32_e32 v6, v8, v6, vcc
	v_xor_b32_e32 v4, s30, v4
	v_xor_b32_e32 v5, s30, v6
	v_mov_b32_e32 v6, s30
	v_subrev_co_u32_e32 v4, vcc, s30, v4
	v_subb_co_u32_e32 v5, vcc, v5, v6, vcc
	s_cbranch_execnz .LBB62_54
.LBB62_53:
	v_cvt_f32_u32_e32 v4, s18
	s_sub_i32 s2, 0, s18
	v_rcp_iflag_f32_e32 v4, v4
	v_mul_f32_e32 v4, 0x4f7ffffe, v4
	v_cvt_u32_f32_e32 v4, v4
	v_mul_lo_u32 v5, s2, v4
	v_mul_hi_u32 v5, v4, v5
	v_add_u32_e32 v4, v4, v5
	v_mul_hi_u32 v4, s24, v4
	v_mul_lo_u32 v4, v4, s18
	v_sub_u32_e32 v4, s24, v4
	v_subrev_u32_e32 v5, s18, v4
	v_cmp_le_u32_e32 vcc, s18, v4
	v_cndmask_b32_e32 v4, v4, v5, vcc
	v_subrev_u32_e32 v5, s18, v4
	v_cmp_le_u32_e32 vcc, s18, v4
	v_cndmask_b32_e32 v4, v4, v5, vcc
	v_mov_b32_e32 v5, 0
.LBB62_54:
	s_mov_b32 s4, 0x42fe0000
	v_div_scale_f32 v6, s[2:3], s4, s4, v1
	v_rcp_f32_e32 v7, v6
	v_div_scale_f32 v8, vcc, v1, s4, v1
	v_fma_f32 v9, -v6, v7, 1.0
	v_fmac_f32_e32 v7, v9, v7
	v_mul_f32_e32 v9, v8, v7
	v_fma_f32 v10, -v6, v9, v8
	v_fmac_f32_e32 v9, v10, v7
	v_fma_f32 v6, -v6, v9, v8
	v_div_fmas_f32 v6, v6, v7, v9
	v_div_fixup_f32 v1, v6, s4, v1
	v_mov_b32_e32 v6, s25
	v_sub_co_u32_e32 v4, vcc, s24, v4
	v_subb_co_u32_e32 v5, vcc, v6, v5, vcc
	v_mul_lo_u32 v5, v5, v2
	v_mul_lo_u32 v6, v4, v3
	v_mad_u64_u32 v[2:3], s[2:3], v4, v2, 0
	s_lshl_b64 s[2:3], s[6:7], 2
	v_add3_u32 v3, v3, v6, v5
	s_add_u32 s2, s2, s10
	v_lshlrev_b64 v[2:3], 2, v[2:3]
	s_addc_u32 s3, s3, s11
	v_mov_b32_e32 v4, s3
	v_add_co_u32_e32 v2, vcc, s2, v2
	v_max_f32_e32 v1, 0x34000000, v1
	v_addc_co_u32_e32 v3, vcc, v4, v3, vcc
	global_store_dword v[2:3], v1, off
.LBB62_55:
	s_or_b64 exec, exec, s[22:23]
	s_barrier
	s_and_saveexec_b64 s[2:3], s[0:1]
	s_cbranch_execz .LBB62_67
; %bb.56:
	s_add_u32 s1, s18, s46
	s_addc_u32 s2, s19, 0
	s_add_u32 s4, s1, -1
	s_addc_u32 s5, s2, -1
	s_or_b64 s[2:3], s[4:5], s[18:19]
	s_mov_b32 s0, 0
	s_mov_b32 s1, s3
	s_cmp_lg_u64 s[0:1], 0
	s_mov_b64 s[22:23], -1
	s_cbranch_scc0 .LBB62_69
; %bb.57:
	s_ashr_i32 s0, s19, 31
	s_add_u32 s2, s18, s0
	s_mov_b32 s1, s0
	s_addc_u32 s3, s19, s0
	s_xor_b64 s[24:25], s[2:3], s[0:1]
	v_cvt_f32_u32_e32 v1, s24
	v_cvt_f32_u32_e32 v2, s25
	s_sub_u32 s0, 0, s24
	s_subb_u32 s1, 0, s25
	v_madmk_f32 v1, v2, 0x4f800000, v1
	v_rcp_f32_e32 v1, v1
	v_mul_f32_e32 v1, 0x5f7ffffc, v1
	v_mul_f32_e32 v2, 0x2f800000, v1
	v_trunc_f32_e32 v2, v2
	v_madmk_f32 v1, v2, 0xcf800000, v1
	v_cvt_u32_f32_e32 v2, v2
	v_cvt_u32_f32_e32 v1, v1
	v_readfirstlane_b32 s2, v2
	v_readfirstlane_b32 s3, v1
	s_mul_i32 s13, s0, s2
	s_mul_hi_u32 s19, s0, s3
	s_mul_i32 s16, s1, s3
	s_add_i32 s13, s19, s13
	s_add_i32 s13, s13, s16
	s_mul_i32 s20, s0, s3
	s_mul_hi_u32 s16, s3, s13
	s_mul_i32 s19, s3, s13
	s_mul_hi_u32 s3, s3, s20
	s_add_u32 s3, s3, s19
	s_addc_u32 s16, 0, s16
	s_mul_hi_u32 s26, s2, s20
	s_mul_i32 s20, s2, s20
	s_add_u32 s3, s3, s20
	s_mul_hi_u32 s19, s2, s13
	s_addc_u32 s3, s16, s26
	s_addc_u32 s16, s19, 0
	s_mul_i32 s13, s2, s13
	s_add_u32 s3, s3, s13
	s_addc_u32 s13, 0, s16
	v_add_co_u32_e32 v1, vcc, s3, v1
	s_cmp_lg_u64 vcc, 0
	s_addc_u32 s2, s2, s13
	v_readfirstlane_b32 s13, v1
	s_mul_i32 s3, s0, s2
	s_mul_hi_u32 s16, s0, s13
	s_add_i32 s3, s16, s3
	s_mul_i32 s1, s1, s13
	s_add_i32 s3, s3, s1
	s_mul_i32 s0, s0, s13
	s_mul_hi_u32 s16, s2, s0
	s_mul_i32 s19, s2, s0
	s_mul_i32 s26, s13, s3
	s_mul_hi_u32 s0, s13, s0
	s_mul_hi_u32 s20, s13, s3
	s_add_u32 s0, s0, s26
	s_addc_u32 s13, 0, s20
	s_add_u32 s0, s0, s19
	s_mul_hi_u32 s1, s2, s3
	s_addc_u32 s0, s13, s16
	s_addc_u32 s1, s1, 0
	s_mul_i32 s3, s2, s3
	s_add_u32 s0, s0, s3
	s_addc_u32 s1, 0, s1
	v_add_co_u32_e32 v1, vcc, s0, v1
	s_cmp_lg_u64 vcc, 0
	s_addc_u32 s2, s2, s1
	s_ashr_i32 s26, s5, 31
	s_add_u32 s0, s4, s26
	s_mov_b32 s27, s26
	s_addc_u32 s1, s5, s26
	s_xor_b64 s[28:29], s[0:1], s[26:27]
	v_readfirstlane_b32 s3, v1
	s_mul_i32 s1, s28, s2
	s_mul_hi_u32 s13, s28, s3
	s_mul_hi_u32 s0, s28, s2
	s_add_u32 s1, s13, s1
	s_addc_u32 s0, 0, s0
	s_mul_hi_u32 s16, s29, s3
	s_mul_i32 s3, s29, s3
	s_add_u32 s1, s1, s3
	s_mul_hi_u32 s13, s29, s2
	s_addc_u32 s0, s0, s16
	s_addc_u32 s1, s13, 0
	s_mul_i32 s2, s29, s2
	s_add_u32 s0, s0, s2
	s_addc_u32 s1, 0, s1
	s_mul_i32 s1, s24, s1
	s_mul_hi_u32 s2, s24, s0
	s_add_i32 s1, s2, s1
	s_mul_i32 s2, s25, s0
	s_mul_i32 s0, s24, s0
	s_add_i32 s13, s1, s2
	v_mov_b32_e32 v1, s0
	s_sub_i32 s1, s29, s13
	v_sub_co_u32_e32 v1, vcc, s28, v1
	s_cmp_lg_u64 vcc, 0
	s_subb_u32 s16, s1, s25
	v_subrev_co_u32_e64 v2, s[0:1], s24, v1
	s_cmp_lg_u64 s[0:1], 0
	s_subb_u32 s19, s16, 0
	s_cmp_ge_u32 s19, s25
	s_cselect_b32 s20, -1, 0
	v_cmp_le_u32_e64 s[2:3], s24, v2
	s_cmp_eq_u32 s19, s25
	v_cndmask_b32_e64 v3, 0, -1, s[2:3]
	v_mov_b32_e32 v4, s20
	s_cselect_b64 s[2:3], -1, 0
	s_cmp_lg_u64 s[0:1], 0
	v_cndmask_b32_e64 v3, v4, v3, s[2:3]
	s_subb_u32 s2, s16, s25
	v_subrev_co_u32_e64 v4, s[0:1], s24, v2
	s_cmp_lg_u64 s[0:1], 0
	s_subb_u32 s2, s2, 0
	v_cmp_ne_u32_e64 s[0:1], 0, v3
	v_cndmask_b32_e64 v2, v2, v4, s[0:1]
	v_mov_b32_e32 v3, s19
	v_mov_b32_e32 v4, s2
	s_cmp_lg_u64 vcc, 0
	v_cndmask_b32_e64 v3, v3, v4, s[0:1]
	s_subb_u32 s0, s29, s13
	s_cmp_ge_u32 s0, s25
	s_cselect_b32 s1, -1, 0
	v_cmp_le_u32_e32 vcc, s24, v1
	s_cmp_eq_u32 s0, s25
	v_cndmask_b32_e64 v4, 0, -1, vcc
	v_mov_b32_e32 v5, s1
	s_cselect_b64 vcc, -1, 0
	v_cndmask_b32_e32 v4, v5, v4, vcc
	v_cmp_ne_u32_e32 vcc, 0, v4
	v_mov_b32_e32 v5, s0
	v_cndmask_b32_e32 v1, v1, v2, vcc
	v_cndmask_b32_e32 v3, v5, v3, vcc
	v_xor_b32_e32 v1, s26, v1
	v_xor_b32_e32 v3, s26, v3
	v_mov_b32_e32 v4, s26
	v_subrev_co_u32_e32 v2, vcc, s26, v1
	v_subb_co_u32_e32 v3, vcc, v3, v4, vcc
	s_cbranch_execnz .LBB62_59
.LBB62_58:
	v_cvt_f32_u32_e32 v1, s18
	s_sub_i32 s0, 0, s18
	v_mov_b32_e32 v3, 0
	v_rcp_iflag_f32_e32 v1, v1
	v_mul_f32_e32 v1, 0x4f7ffffe, v1
	v_cvt_u32_f32_e32 v1, v1
	v_mul_lo_u32 v2, s0, v1
	v_mul_hi_u32 v2, v1, v2
	v_add_u32_e32 v1, v1, v2
	v_mul_hi_u32 v1, s4, v1
	v_mul_lo_u32 v1, v1, s18
	v_sub_u32_e32 v1, s4, v1
	v_subrev_u32_e32 v2, s18, v1
	v_cmp_le_u32_e32 vcc, s18, v1
	v_cndmask_b32_e32 v1, v1, v2, vcc
	v_subrev_u32_e32 v2, s18, v1
	v_cmp_le_u32_e32 vcc, s18, v1
	v_cndmask_b32_e32 v2, v1, v2, vcc
.LBB62_59:
	s_mul_i32 s0, s21, s6
	s_mul_hi_u32 s1, s17, s6
	s_add_i32 s1, s1, s0
	s_mul_i32 s0, s17, s6
	s_add_u32 s13, s8, s0
	s_addc_u32 s18, s9, s1
	s_lshl_b64 s[0:1], s[6:7], 2
	s_add_u32 s19, s10, s0
	s_addc_u32 s20, s11, s1
	v_mov_b32_e32 v1, s5
	v_sub_co_u32_e32 v6, vcc, s4, v2
	v_subb_co_u32_e32 v7, vcc, v1, v3, vcc
	s_mul_i32 s21, s45, 3
	s_lshl_b32 s22, s45, 1
	s_mov_b64 s[2:3], 0
	v_mov_b32_e32 v1, 0
	v_mov_b32_e32 v8, s44
	;; [unrolled: 1-line block ×4, first 2 shown]
	s_mov_b32 s23, 0x42fe0000
	v_mov_b32_e32 v11, 0x42fe0000
	s_mov_b32 s24, 0xc3000000
	v_mov_b32_e32 v12, 0xc3000000
	v_mov_b32_e32 v13, s18
	;; [unrolled: 1-line block ×3, first 2 shown]
                                        ; implicit-def: $sgpr4_sgpr5
	s_branch .LBB62_63
.LBB62_60:                              ;   in Loop: Header=BB62_63 Depth=1
	s_or_b64 exec, exec, s[10:11]
	s_orn2_b64 s[10:11], s[16:17], exec
.LBB62_61:                              ;   in Loop: Header=BB62_63 Depth=1
	s_or_b64 exec, exec, s[8:9]
	s_andn2_b64 s[0:1], s[4:5], exec
	s_and_b64 s[4:5], s[10:11], exec
	s_or_b64 s[4:5], s[0:1], s[4:5]
.LBB62_62:                              ;   in Loop: Header=BB62_63 Depth=1
	s_or_b64 exec, exec, s[6:7]
	s_and_b64 s[0:1], exec, s[4:5]
	s_or_b64 s[2:3], s[0:1], s[2:3]
	s_andn2_b64 exec, exec, s[2:3]
	s_cbranch_execz .LBB62_67
.LBB62_63:                              ; =>This Inner Loop Header: Depth=1
	v_lshlrev_b64 v[2:3], 3, v[0:1]
	v_add_co_u32_e32 v4, vcc, s33, v2
	v_addc_co_u32_e32 v5, vcc, v8, v3, vcc
	v_add_co_u32_e32 v2, vcc, s14, v2
	v_addc_co_u32_e32 v3, vcc, v9, v3, vcc
	v_bfe_u32 v15, v0, 4, 26
	global_load_dwordx2 v[16:17], v[2:3], off
	v_mad_u64_u32 v[2:3], s[0:1], v6, v15, 0
	v_mov_b32_e32 v18, v3
	v_mad_u64_u32 v[18:19], s[0:1], v7, v15, v[18:19]
	v_mov_b32_e32 v3, v18
	v_lshlrev_b64 v[2:3], 2, v[2:3]
	v_add_co_u32_e32 v2, vcc, s19, v2
	global_load_dwordx2 v[4:5], v[4:5], off
	v_addc_co_u32_e32 v3, vcc, v10, v3, vcc
	global_load_dword v3, v[2:3], off
	v_lshlrev_b64 v[18:19], 2, v[0:1]
	v_add_co_u32_e32 v18, vcc, s13, v18
	v_addc_co_u32_e32 v19, vcc, v13, v19, vcc
	v_add_u32_e32 v2, s45, v0
	v_cmp_gt_u32_e64 s[0:1], s12, v2
	s_or_b64 s[4:5], s[4:5], exec
	s_waitcnt vmcnt(1)
	v_fma_mixlo_f16 v15, v36, v4, 0 op_sel_hi:[0,1,0]
	v_fma_mixlo_f16 v4, v36, v4, 0 op_sel:[0,1,0] op_sel_hi:[0,1,0]
	v_fma_mixlo_f16 v20, v36, v5, 0 op_sel_hi:[0,1,0]
	v_fma_mixlo_f16 v5, v36, v5, 0 op_sel:[0,1,0] op_sel_hi:[0,1,0]
	v_mul_f16_e32 v15, v16, v15
	v_mul_f16_sdwa v4, v16, v4 dst_sel:DWORD dst_unused:UNUSED_PAD src0_sel:WORD_1 src1_sel:DWORD
	v_mul_f16_e32 v16, v17, v20
	v_mul_f16_sdwa v5, v17, v5 dst_sel:DWORD dst_unused:UNUSED_PAD src0_sel:WORD_1 src1_sel:DWORD
	s_waitcnt vmcnt(0)
	v_div_scale_f32 v17, s[6:7], v3, v3, 1.0
	v_rcp_f32_e32 v20, v17
	v_div_scale_f32 v21, vcc, 1.0, v3, 1.0
	v_cvt_f32_f16_e32 v15, v15
	v_fma_f32 v22, -v17, v20, 1.0
	v_fmac_f32_e32 v20, v22, v20
	v_mul_f32_e32 v22, v21, v20
	v_fma_f32 v23, -v17, v22, v21
	v_fmac_f32_e32 v22, v23, v20
	v_cvt_f32_f16_e32 v4, v4
	v_cvt_f32_f16_e32 v16, v16
	;; [unrolled: 1-line block ×3, first 2 shown]
	v_fma_f32 v17, -v17, v22, v21
	v_div_fmas_f32 v17, v17, v20, v22
	v_div_fixup_f32 v3, v17, v3, 1.0
	v_mul_f32_e32 v15, v3, v15
	v_mul_f32_e32 v4, v3, v4
	;; [unrolled: 1-line block ×4, first 2 shown]
	v_rndne_f32_e32 v5, v15
	v_rndne_f32_e32 v4, v4
	v_cmp_nlt_f32_e32 vcc, s23, v5
	v_rndne_f32_e32 v15, v16
	v_cndmask_b32_e32 v16, v11, v5, vcc
	v_cmp_nlt_f32_e32 vcc, s23, v4
	v_rndne_f32_e32 v3, v3
	v_cndmask_b32_e32 v17, v11, v4, vcc
	v_cmp_nlt_f32_e32 vcc, s23, v15
	v_cndmask_b32_e32 v20, v11, v15, vcc
	v_cmp_nlt_f32_e32 vcc, s23, v3
	v_cndmask_b32_e32 v21, v11, v3, vcc
	v_cmp_ngt_f32_e32 vcc, s24, v5
	v_cndmask_b32_e32 v5, v12, v16, vcc
	v_cmp_ngt_f32_e32 vcc, s24, v4
	v_cndmask_b32_e32 v4, v12, v17, vcc
	v_cmp_ngt_f32_e32 vcc, s24, v15
	v_cndmask_b32_e32 v15, v12, v20, vcc
	v_cmp_ngt_f32_e32 vcc, s24, v3
	v_cvt_i32_f32_e32 v15, v15
	v_cndmask_b32_e32 v3, v12, v21, vcc
	v_cvt_i32_f32_e32 v4, v4
	v_cvt_i32_f32_e32 v5, v5
	v_cvt_i32_f32_e32 v3, v3
	v_and_b32_e32 v15, 0xff, v15
	v_lshlrev_b32_e32 v15, 16, v15
	v_lshlrev_b32_sdwa v4, v14, v4 dst_sel:DWORD dst_unused:UNUSED_PAD src0_sel:DWORD src1_sel:BYTE_0
	v_and_b32_e32 v5, 0xff, v5
	v_lshl_or_b32 v3, v3, 24, v15
	v_or3_b32 v3, v3, v4, v5
	global_store_dword v[18:19], v3, off
	s_and_saveexec_b64 s[6:7], s[0:1]
	s_cbranch_execz .LBB62_62
; %bb.64:                               ;   in Loop: Header=BB62_63 Depth=1
	v_mov_b32_e32 v3, v1
	v_lshlrev_b64 v[4:5], 3, v[2:3]
	v_add_co_u32_e32 v16, vcc, s33, v4
	v_addc_co_u32_e32 v17, vcc, v8, v5, vcc
	v_add_co_u32_e32 v4, vcc, s14, v4
	v_addc_co_u32_e32 v5, vcc, v9, v5, vcc
	v_bfe_u32 v15, v2, 4, 26
	global_load_dwordx2 v[18:19], v[4:5], off
	v_mad_u64_u32 v[4:5], s[0:1], v6, v15, 0
	v_mov_b32_e32 v20, v5
	v_mad_u64_u32 v[20:21], s[0:1], v7, v15, v[20:21]
	v_mov_b32_e32 v5, v20
	v_lshlrev_b64 v[4:5], 2, v[4:5]
	v_add_co_u32_e32 v4, vcc, s19, v4
	global_load_dwordx2 v[16:17], v[16:17], off
	v_addc_co_u32_e32 v5, vcc, v10, v5, vcc
	global_load_dword v5, v[4:5], off
	v_lshlrev_b64 v[20:21], 2, v[2:3]
	v_add_co_u32_e32 v20, vcc, s13, v20
	v_addc_co_u32_e32 v21, vcc, v13, v21, vcc
	v_add_u32_e32 v4, s22, v0
	v_cmp_gt_u32_e64 s[0:1], s12, v4
	s_mov_b64 s[10:11], -1
	s_waitcnt vmcnt(1)
	v_fma_mixlo_f16 v3, v36, v16, 0 op_sel_hi:[0,1,0]
	v_fma_mixlo_f16 v15, v36, v16, 0 op_sel:[0,1,0] op_sel_hi:[0,1,0]
	v_fma_mixlo_f16 v16, v36, v17, 0 op_sel_hi:[0,1,0]
	v_fma_mixlo_f16 v17, v36, v17, 0 op_sel:[0,1,0] op_sel_hi:[0,1,0]
	v_mul_f16_e32 v3, v18, v3
	v_mul_f16_sdwa v15, v18, v15 dst_sel:DWORD dst_unused:UNUSED_PAD src0_sel:WORD_1 src1_sel:DWORD
	s_waitcnt vmcnt(0)
	v_div_scale_f32 v18, s[8:9], v5, v5, 1.0
	v_mul_f16_e32 v16, v19, v16
	v_mul_f16_sdwa v17, v19, v17 dst_sel:DWORD dst_unused:UNUSED_PAD src0_sel:WORD_1 src1_sel:DWORD
	v_rcp_f32_e32 v19, v18
	v_div_scale_f32 v22, vcc, 1.0, v5, 1.0
	v_cvt_f32_f16_e32 v3, v3
	v_fma_f32 v23, -v18, v19, 1.0
	v_fmac_f32_e32 v19, v23, v19
	v_mul_f32_e32 v23, v22, v19
	v_fma_f32 v24, -v18, v23, v22
	v_fmac_f32_e32 v23, v24, v19
	v_cvt_f32_f16_e32 v15, v15
	v_fma_f32 v18, -v18, v23, v22
	v_cvt_f32_f16_e32 v16, v16
	v_div_fmas_f32 v18, v18, v19, v23
	v_cvt_f32_f16_e32 v17, v17
	v_div_fixup_f32 v5, v18, v5, 1.0
	v_mul_f32_e32 v3, v5, v3
	v_mul_f32_e32 v15, v5, v15
	v_rndne_f32_e32 v3, v3
	v_mul_f32_e32 v16, v5, v16
	v_rndne_f32_e32 v15, v15
	v_cmp_nlt_f32_e32 vcc, s23, v3
	v_mul_f32_e32 v5, v5, v17
	v_rndne_f32_e32 v16, v16
	v_cndmask_b32_e32 v17, v11, v3, vcc
	v_cmp_nlt_f32_e32 vcc, s23, v15
	v_rndne_f32_e32 v5, v5
	v_cndmask_b32_e32 v18, v11, v15, vcc
	v_cmp_nlt_f32_e32 vcc, s23, v16
	v_cndmask_b32_e32 v19, v11, v16, vcc
	v_cmp_nlt_f32_e32 vcc, s23, v5
	v_cndmask_b32_e32 v22, v11, v5, vcc
	v_cmp_ngt_f32_e32 vcc, s24, v3
	v_cndmask_b32_e32 v3, v12, v17, vcc
	v_cmp_ngt_f32_e32 vcc, s24, v15
	;; [unrolled: 2-line block ×4, first 2 shown]
	v_cvt_i32_f32_e32 v16, v16
	v_cndmask_b32_e32 v5, v12, v22, vcc
	v_cvt_i32_f32_e32 v15, v15
	v_cvt_i32_f32_e32 v3, v3
	;; [unrolled: 1-line block ×3, first 2 shown]
	v_and_b32_e32 v16, 0xff, v16
	v_lshlrev_b32_e32 v16, 16, v16
	v_lshlrev_b32_sdwa v15, v14, v15 dst_sel:DWORD dst_unused:UNUSED_PAD src0_sel:DWORD src1_sel:BYTE_0
	v_and_b32_e32 v3, 0xff, v3
	v_lshl_or_b32 v5, v5, 24, v16
	v_or3_b32 v3, v5, v15, v3
	global_store_dword v[20:21], v3, off
	s_and_saveexec_b64 s[8:9], s[0:1]
	s_cbranch_execz .LBB62_61
; %bb.65:                               ;   in Loop: Header=BB62_63 Depth=1
	v_mov_b32_e32 v5, v1
	v_lshlrev_b64 v[16:17], 3, v[4:5]
	v_mov_b32_e32 v3, s44
	v_add_co_u32_e32 v18, vcc, s33, v16
	v_addc_co_u32_e32 v19, vcc, v3, v17, vcc
	v_mov_b32_e32 v3, s15
	v_add_co_u32_e32 v16, vcc, s14, v16
	v_addc_co_u32_e32 v17, vcc, v3, v17, vcc
	v_bfe_u32 v3, v4, 4, 26
	v_mad_u64_u32 v[20:21], s[0:1], v6, v3, 0
	v_mov_b32_e32 v22, v21
	v_mad_u64_u32 v[22:23], s[0:1], v7, v3, v[22:23]
	v_mov_b32_e32 v21, v22
	v_lshlrev_b64 v[20:21], 2, v[20:21]
	v_mov_b32_e32 v3, s20
	v_add_co_u32_e32 v20, vcc, s19, v20
	global_load_dwordx2 v[18:19], v[18:19], off
	v_addc_co_u32_e32 v21, vcc, v3, v21, vcc
	global_load_dwordx2 v[16:17], v[16:17], off
	v_lshlrev_b64 v[4:5], 2, v[4:5]
	global_load_dword v3, v[20:21], off
	v_mov_b32_e32 v15, s18
	v_add_co_u32_e32 v4, vcc, s13, v4
	v_addc_co_u32_e32 v5, vcc, v15, v5, vcc
	v_add_u32_e32 v0, s21, v0
	v_cmp_gt_u32_e64 s[0:1], s12, v0
	s_mov_b64 s[16:17], -1
	s_waitcnt vmcnt(2)
	v_fma_mixlo_f16 v15, v36, v18, 0 op_sel_hi:[0,1,0]
	v_fma_mixlo_f16 v18, v36, v18, 0 op_sel:[0,1,0] op_sel_hi:[0,1,0]
	v_fma_mixlo_f16 v20, v36, v19, 0 op_sel_hi:[0,1,0]
	v_fma_mixlo_f16 v19, v36, v19, 0 op_sel:[0,1,0] op_sel_hi:[0,1,0]
	s_waitcnt vmcnt(1)
	v_mul_f16_e32 v15, v16, v15
	v_mul_f16_sdwa v16, v16, v18 dst_sel:DWORD dst_unused:UNUSED_PAD src0_sel:WORD_1 src1_sel:DWORD
	v_mul_f16_e32 v18, v17, v20
	v_mul_f16_sdwa v17, v17, v19 dst_sel:DWORD dst_unused:UNUSED_PAD src0_sel:WORD_1 src1_sel:DWORD
	s_waitcnt vmcnt(0)
	v_div_scale_f32 v19, s[10:11], v3, v3, 1.0
	v_rcp_f32_e32 v20, v19
	v_div_scale_f32 v21, vcc, 1.0, v3, 1.0
	v_cvt_f32_f16_e32 v15, v15
	v_fma_f32 v22, -v19, v20, 1.0
	v_fmac_f32_e32 v20, v22, v20
	v_mul_f32_e32 v22, v21, v20
	v_fma_f32 v23, -v19, v22, v21
	v_fmac_f32_e32 v22, v23, v20
	v_cvt_f32_f16_e32 v16, v16
	v_fma_f32 v19, -v19, v22, v21
	v_cvt_f32_f16_e32 v18, v18
	v_div_fmas_f32 v19, v19, v20, v22
	v_cvt_f32_f16_e32 v17, v17
	v_div_fixup_f32 v3, v19, v3, 1.0
	v_mul_f32_e32 v15, v3, v15
	v_mul_f32_e32 v16, v3, v16
	v_rndne_f32_e32 v15, v15
	v_mul_f32_e32 v18, v3, v18
	v_rndne_f32_e32 v16, v16
	v_cmp_nlt_f32_e32 vcc, s23, v15
	v_mul_f32_e32 v3, v3, v17
	v_rndne_f32_e32 v17, v18
	v_cndmask_b32_e32 v18, v11, v15, vcc
	v_cmp_nlt_f32_e32 vcc, s23, v16
	v_rndne_f32_e32 v3, v3
	v_cndmask_b32_e32 v19, v11, v16, vcc
	v_cmp_nlt_f32_e32 vcc, s23, v17
	v_cndmask_b32_e32 v20, v11, v17, vcc
	v_cmp_nlt_f32_e32 vcc, s23, v3
	v_cndmask_b32_e32 v21, v11, v3, vcc
	v_cmp_ngt_f32_e32 vcc, s24, v15
	v_cndmask_b32_e32 v15, v12, v18, vcc
	v_cmp_ngt_f32_e32 vcc, s24, v16
	;; [unrolled: 2-line block ×4, first 2 shown]
	v_cvt_i32_f32_e32 v17, v17
	v_cndmask_b32_e32 v3, v12, v21, vcc
	v_cvt_i32_f32_e32 v16, v16
	v_cvt_i32_f32_e32 v15, v15
	;; [unrolled: 1-line block ×3, first 2 shown]
	v_and_b32_e32 v17, 0xff, v17
	v_lshlrev_b32_e32 v17, 16, v17
	v_lshlrev_b32_sdwa v16, v14, v16 dst_sel:DWORD dst_unused:UNUSED_PAD src0_sel:DWORD src1_sel:BYTE_0
	v_and_b32_e32 v15, 0xff, v15
	v_lshl_or_b32 v3, v3, 24, v17
	v_or3_b32 v3, v3, v16, v15
	global_store_dword v[4:5], v3, off
	s_and_saveexec_b64 s[10:11], s[0:1]
	s_cbranch_execz .LBB62_60
; %bb.66:                               ;   in Loop: Header=BB62_63 Depth=1
	v_lshlrev_b64 v[4:5], 3, v[0:1]
	v_mov_b32_e32 v3, s44
	v_add_co_u32_e32 v16, vcc, s33, v4
	v_addc_co_u32_e32 v17, vcc, v3, v5, vcc
	v_mov_b32_e32 v3, s15
	v_add_co_u32_e32 v4, vcc, s14, v4
	v_addc_co_u32_e32 v5, vcc, v3, v5, vcc
	v_bfe_u32 v3, v0, 4, 26
	v_mad_u64_u32 v[18:19], s[0:1], v6, v3, 0
	v_mov_b32_e32 v20, v19
	v_mad_u64_u32 v[20:21], s[0:1], v7, v3, v[20:21]
	v_mov_b32_e32 v19, v20
	v_lshlrev_b64 v[18:19], 2, v[18:19]
	v_mov_b32_e32 v3, s20
	v_add_co_u32_e32 v18, vcc, s19, v18
	global_load_dwordx2 v[16:17], v[16:17], off
	v_addc_co_u32_e32 v19, vcc, v3, v19, vcc
	global_load_dwordx2 v[4:5], v[4:5], off
	s_add_i32 s0, s45, s45
	global_load_dword v3, v[18:19], off
	v_lshlrev_b64 v[18:19], 2, v[0:1]
	v_mov_b32_e32 v0, s18
	v_add_co_u32_e32 v18, vcc, s13, v18
	s_add_i32 s0, s0, s45
	v_addc_co_u32_e32 v19, vcc, v0, v19, vcc
	v_add_u32_e32 v0, s0, v2
	v_cmp_le_u32_e64 s[0:1], s12, v0
	s_waitcnt vmcnt(2)
	v_fma_mixlo_f16 v2, v36, v16, 0 op_sel_hi:[0,1,0]
	v_fma_mixlo_f16 v15, v36, v16, 0 op_sel:[0,1,0] op_sel_hi:[0,1,0]
	v_fma_mixlo_f16 v16, v36, v17, 0 op_sel_hi:[0,1,0]
	v_fma_mixlo_f16 v17, v36, v17, 0 op_sel:[0,1,0] op_sel_hi:[0,1,0]
	s_waitcnt vmcnt(1)
	v_mul_f16_e32 v2, v4, v2
	v_mul_f16_sdwa v4, v4, v15 dst_sel:DWORD dst_unused:UNUSED_PAD src0_sel:WORD_1 src1_sel:DWORD
	v_mul_f16_e32 v15, v5, v16
	s_waitcnt vmcnt(0)
	v_div_scale_f32 v16, s[16:17], v3, v3, 1.0
	v_mul_f16_sdwa v5, v5, v17 dst_sel:DWORD dst_unused:UNUSED_PAD src0_sel:WORD_1 src1_sel:DWORD
	v_rcp_f32_e32 v17, v16
	v_div_scale_f32 v20, vcc, 1.0, v3, 1.0
	v_cvt_f32_f16_e32 v2, v2
	v_fma_f32 v21, -v16, v17, 1.0
	v_fmac_f32_e32 v17, v21, v17
	v_mul_f32_e32 v21, v20, v17
	v_fma_f32 v22, -v16, v21, v20
	v_fmac_f32_e32 v21, v22, v17
	v_cvt_f32_f16_e32 v4, v4
	v_fma_f32 v16, -v16, v21, v20
	v_cvt_f32_f16_e32 v15, v15
	v_div_fmas_f32 v16, v16, v17, v21
	v_cvt_f32_f16_e32 v5, v5
	v_div_fixup_f32 v3, v16, v3, 1.0
	v_mul_f32_e32 v2, v3, v2
	v_mul_f32_e32 v4, v3, v4
	v_rndne_f32_e32 v2, v2
	v_mul_f32_e32 v15, v3, v15
	v_rndne_f32_e32 v4, v4
	v_cmp_nlt_f32_e32 vcc, s23, v2
	v_mul_f32_e32 v3, v3, v5
	v_rndne_f32_e32 v5, v15
	v_cndmask_b32_e32 v15, v11, v2, vcc
	v_cmp_nlt_f32_e32 vcc, s23, v4
	v_rndne_f32_e32 v3, v3
	v_cndmask_b32_e32 v16, v11, v4, vcc
	v_cmp_nlt_f32_e32 vcc, s23, v5
	v_cndmask_b32_e32 v17, v11, v5, vcc
	v_cmp_nlt_f32_e32 vcc, s23, v3
	v_cndmask_b32_e32 v20, v11, v3, vcc
	v_cmp_ngt_f32_e32 vcc, s24, v2
	v_cndmask_b32_e32 v2, v12, v15, vcc
	v_cmp_ngt_f32_e32 vcc, s24, v4
	;; [unrolled: 2-line block ×4, first 2 shown]
	v_cvt_i32_f32_e32 v5, v5
	v_cndmask_b32_e32 v3, v12, v20, vcc
	v_cvt_i32_f32_e32 v4, v4
	v_cvt_i32_f32_e32 v2, v2
	;; [unrolled: 1-line block ×3, first 2 shown]
	v_and_b32_e32 v5, 0xff, v5
	v_lshlrev_b32_e32 v5, 16, v5
	v_lshlrev_b32_sdwa v4, v14, v4 dst_sel:DWORD dst_unused:UNUSED_PAD src0_sel:DWORD src1_sel:BYTE_0
	v_and_b32_e32 v2, 0xff, v2
	v_lshl_or_b32 v3, v3, 24, v5
	v_or3_b32 v2, v3, v4, v2
	s_orn2_b64 s[16:17], s[0:1], exec
	global_store_dword v[18:19], v2, off
	s_branch .LBB62_60
.LBB62_67:
	s_endpgm
.LBB62_68:
                                        ; implicit-def: $vgpr4_vgpr5
	s_andn2_b64 vcc, exec, s[26:27]
	s_cbranch_vccz .LBB62_53
	s_branch .LBB62_54
.LBB62_69:
                                        ; implicit-def: $vgpr2_vgpr3
	s_andn2_b64 vcc, exec, s[22:23]
	s_cbranch_vccz .LBB62_58
	s_branch .LBB62_59
	.section	.rodata,"a",@progbits
	.p2align	6, 0x0
	.amdhsa_kernel _ZN4vllm31rms_norm_per_block_quant_kernelIN3c104HalfEaLb0ELb1ELi64EEEvPT0_PfPKT_S8_PKffiiPS6_l
		.amdhsa_group_segment_fixed_size 4164
		.amdhsa_private_segment_fixed_size 0
		.amdhsa_kernarg_size 328
		.amdhsa_user_sgpr_count 6
		.amdhsa_user_sgpr_private_segment_buffer 1
		.amdhsa_user_sgpr_dispatch_ptr 0
		.amdhsa_user_sgpr_queue_ptr 0
		.amdhsa_user_sgpr_kernarg_segment_ptr 1
		.amdhsa_user_sgpr_dispatch_id 0
		.amdhsa_user_sgpr_flat_scratch_init 0
		.amdhsa_user_sgpr_kernarg_preload_length 0
		.amdhsa_user_sgpr_kernarg_preload_offset 0
		.amdhsa_user_sgpr_private_segment_size 0
		.amdhsa_uses_dynamic_stack 0
		.amdhsa_system_sgpr_private_segment_wavefront_offset 0
		.amdhsa_system_sgpr_workgroup_id_x 1
		.amdhsa_system_sgpr_workgroup_id_y 0
		.amdhsa_system_sgpr_workgroup_id_z 0
		.amdhsa_system_sgpr_workgroup_info 0
		.amdhsa_system_vgpr_workitem_id 0
		.amdhsa_next_free_vgpr 40
		.amdhsa_next_free_sgpr 47
		.amdhsa_accum_offset 40
		.amdhsa_reserve_vcc 1
		.amdhsa_reserve_flat_scratch 0
		.amdhsa_float_round_mode_32 0
		.amdhsa_float_round_mode_16_64 0
		.amdhsa_float_denorm_mode_32 3
		.amdhsa_float_denorm_mode_16_64 3
		.amdhsa_dx10_clamp 1
		.amdhsa_ieee_mode 1
		.amdhsa_fp16_overflow 0
		.amdhsa_tg_split 0
		.amdhsa_exception_fp_ieee_invalid_op 0
		.amdhsa_exception_fp_denorm_src 0
		.amdhsa_exception_fp_ieee_div_zero 0
		.amdhsa_exception_fp_ieee_overflow 0
		.amdhsa_exception_fp_ieee_underflow 0
		.amdhsa_exception_fp_ieee_inexact 0
		.amdhsa_exception_int_div_zero 0
	.end_amdhsa_kernel
	.section	.text._ZN4vllm31rms_norm_per_block_quant_kernelIN3c104HalfEaLb0ELb1ELi64EEEvPT0_PfPKT_S8_PKffiiPS6_l,"axG",@progbits,_ZN4vllm31rms_norm_per_block_quant_kernelIN3c104HalfEaLb0ELb1ELi64EEEvPT0_PfPKT_S8_PKffiiPS6_l,comdat
.Lfunc_end62:
	.size	_ZN4vllm31rms_norm_per_block_quant_kernelIN3c104HalfEaLb0ELb1ELi64EEEvPT0_PfPKT_S8_PKffiiPS6_l, .Lfunc_end62-_ZN4vllm31rms_norm_per_block_quant_kernelIN3c104HalfEaLb0ELb1ELi64EEEvPT0_PfPKT_S8_PKffiiPS6_l
                                        ; -- End function
	.section	.AMDGPU.csdata,"",@progbits
; Kernel info:
; codeLenInByte = 7520
; NumSgprs: 51
; NumVgprs: 40
; NumAgprs: 0
; TotalNumVgprs: 40
; ScratchSize: 0
; MemoryBound: 0
; FloatMode: 240
; IeeeMode: 1
; LDSByteSize: 4164 bytes/workgroup (compile time only)
; SGPRBlocks: 6
; VGPRBlocks: 4
; NumSGPRsForWavesPerEU: 51
; NumVGPRsForWavesPerEU: 40
; AccumOffset: 40
; Occupancy: 8
; WaveLimiterHint : 0
; COMPUTE_PGM_RSRC2:SCRATCH_EN: 0
; COMPUTE_PGM_RSRC2:USER_SGPR: 6
; COMPUTE_PGM_RSRC2:TRAP_HANDLER: 0
; COMPUTE_PGM_RSRC2:TGID_X_EN: 1
; COMPUTE_PGM_RSRC2:TGID_Y_EN: 0
; COMPUTE_PGM_RSRC2:TGID_Z_EN: 0
; COMPUTE_PGM_RSRC2:TIDIG_COMP_CNT: 0
; COMPUTE_PGM_RSRC3_GFX90A:ACCUM_OFFSET: 9
; COMPUTE_PGM_RSRC3_GFX90A:TG_SPLIT: 0
	.section	.text._ZN4vllm31rms_norm_per_block_quant_kernelIN3c104HalfENS1_13Float8_e4m3fnELb0ELb0ELi64EEEvPT0_PfPKT_S9_PKffiiPS7_l,"axG",@progbits,_ZN4vllm31rms_norm_per_block_quant_kernelIN3c104HalfENS1_13Float8_e4m3fnELb0ELb0ELi64EEEvPT0_PfPKT_S9_PKffiiPS7_l,comdat
	.protected	_ZN4vllm31rms_norm_per_block_quant_kernelIN3c104HalfENS1_13Float8_e4m3fnELb0ELb0ELi64EEEvPT0_PfPKT_S9_PKffiiPS7_l ; -- Begin function _ZN4vllm31rms_norm_per_block_quant_kernelIN3c104HalfENS1_13Float8_e4m3fnELb0ELb0ELi64EEEvPT0_PfPKT_S9_PKffiiPS7_l
	.globl	_ZN4vllm31rms_norm_per_block_quant_kernelIN3c104HalfENS1_13Float8_e4m3fnELb0ELb0ELi64EEEvPT0_PfPKT_S9_PKffiiPS7_l
	.p2align	8
	.type	_ZN4vllm31rms_norm_per_block_quant_kernelIN3c104HalfENS1_13Float8_e4m3fnELb0ELb0ELi64EEEvPT0_PfPKT_S9_PKffiiPS7_l,@function
_ZN4vllm31rms_norm_per_block_quant_kernelIN3c104HalfENS1_13Float8_e4m3fnELb0ELb0ELi64EEEvPT0_PfPKT_S9_PKffiiPS7_l: ; @_ZN4vllm31rms_norm_per_block_quant_kernelIN3c104HalfENS1_13Float8_e4m3fnELb0ELb0ELi64EEEvPT0_PfPKT_S9_PKffiiPS7_l
; %bb.0:
	s_load_dwordx4 s[16:19], s[4:5], 0x28
	s_load_dwordx8 s[8:15], s[4:5], 0x0
	v_mov_b32_e32 v1, 0
	s_waitcnt lgkmcnt(0)
	s_ashr_i32 s0, s18, 31
	s_mul_hi_u32 s1, s18, s6
	s_mul_i32 s0, s0, s6
	s_add_i32 s1, s1, s0
	s_mul_i32 s0, s18, s6
	s_lshl_b64 s[0:1], s[0:1], 1
	s_add_u32 s33, s12, s0
	s_addc_u32 s44, s13, s1
	s_ashr_i32 s12, s17, 2
	s_add_u32 s2, s4, 0x48
	s_mov_b32 s20, s17
	v_cmp_gt_u32_e64 s[0:1], s12, v0
	s_addc_u32 s3, s5, 0
	s_and_saveexec_b64 s[18:19], s[0:1]
	s_cbranch_execz .LBB63_10
; %bb.1:
	s_load_dword s7, s[2:3], 0x0
	v_mov_b32_e32 v3, 0
	v_mov_b32_e32 v9, s44
	;; [unrolled: 1-line block ×3, first 2 shown]
                                        ; implicit-def: $sgpr24_sgpr25
	s_waitcnt lgkmcnt(0)
	s_cmp_lt_u32 s6, s7
	s_cselect_b32 s7, 12, 18
	s_add_u32 s22, s2, s7
	s_addc_u32 s23, s3, 0
	global_load_ushort v8, v3, s[22:23]
	s_mov_b64 s[22:23], 0
	s_waitcnt vmcnt(0)
	v_add_u32_e32 v1, v8, v8
	v_mul_lo_u32 v10, v8, 3
	v_lshlrev_b32_e32 v11, 1, v8
	v_add_u32_e32 v12, v1, v8
	v_mov_b32_e32 v1, v3
	s_branch .LBB63_5
.LBB63_2:                               ;   in Loop: Header=BB63_5 Depth=1
	s_or_b64 exec, exec, s[30:31]
	s_orn2_b64 s[30:31], s[34:35], exec
.LBB63_3:                               ;   in Loop: Header=BB63_5 Depth=1
	s_or_b64 exec, exec, s[28:29]
	s_andn2_b64 s[24:25], s[24:25], exec
	s_and_b64 s[28:29], s[30:31], exec
	s_or_b64 s[24:25], s[24:25], s[28:29]
.LBB63_4:                               ;   in Loop: Header=BB63_5 Depth=1
	s_or_b64 exec, exec, s[26:27]
	s_and_b64 s[26:27], exec, s[24:25]
	s_or_b64 s[22:23], s[26:27], s[22:23]
	s_andn2_b64 exec, exec, s[22:23]
	s_cbranch_execz .LBB63_9
.LBB63_5:                               ; =>This Inner Loop Header: Depth=1
	v_lshlrev_b64 v[4:5], 3, v[2:3]
	v_add_co_u32_e32 v4, vcc, s33, v4
	v_addc_co_u32_e32 v5, vcc, v9, v5, vcc
	global_load_dwordx2 v[6:7], v[4:5], off
	v_add_u32_e32 v4, v2, v8
	v_cmp_gt_u32_e32 vcc, s12, v4
	s_or_b64 s[24:25], s[24:25], exec
	s_waitcnt vmcnt(0)
	v_fma_mix_f32 v1, v6, v6, v1 op_sel_hi:[1,1,0]
	v_fma_mix_f32 v1, v6, v6, v1 op_sel:[1,1,0] op_sel_hi:[1,1,0]
	v_fma_mix_f32 v1, v7, v7, v1 op_sel_hi:[1,1,0]
	v_fma_mix_f32 v1, v7, v7, v1 op_sel:[1,1,0] op_sel_hi:[1,1,0]
	s_and_saveexec_b64 s[26:27], vcc
	s_cbranch_execz .LBB63_4
; %bb.6:                                ;   in Loop: Header=BB63_5 Depth=1
	v_mov_b32_e32 v5, v3
	v_lshlrev_b64 v[6:7], 3, v[4:5]
	v_add_co_u32_e32 v6, vcc, s33, v6
	v_addc_co_u32_e32 v7, vcc, v9, v7, vcc
	global_load_dwordx2 v[14:15], v[6:7], off
	v_add_u32_e32 v6, v11, v2
	v_cmp_gt_u32_e32 vcc, s12, v6
	s_mov_b64 s[30:31], -1
	s_waitcnt vmcnt(0)
	v_fma_mix_f32 v1, v14, v14, v1 op_sel_hi:[1,1,0]
	v_fma_mix_f32 v1, v14, v14, v1 op_sel:[1,1,0] op_sel_hi:[1,1,0]
	v_fma_mix_f32 v1, v15, v15, v1 op_sel_hi:[1,1,0]
	v_fma_mix_f32 v1, v15, v15, v1 op_sel:[1,1,0] op_sel_hi:[1,1,0]
	s_and_saveexec_b64 s[28:29], vcc
	s_cbranch_execz .LBB63_3
; %bb.7:                                ;   in Loop: Header=BB63_5 Depth=1
	v_mov_b32_e32 v7, v3
	v_lshlrev_b64 v[6:7], 3, v[6:7]
	v_add_co_u32_e32 v6, vcc, s33, v6
	v_addc_co_u32_e32 v7, vcc, v9, v7, vcc
	global_load_dwordx2 v[6:7], v[6:7], off
	v_add_u32_e32 v2, v10, v2
	v_cmp_gt_u32_e32 vcc, s12, v2
	s_mov_b64 s[34:35], -1
	s_waitcnt vmcnt(0)
	v_fma_mix_f32 v1, v6, v6, v1 op_sel_hi:[1,1,0]
	v_fma_mix_f32 v1, v6, v6, v1 op_sel:[1,1,0] op_sel_hi:[1,1,0]
	v_fma_mix_f32 v1, v7, v7, v1 op_sel_hi:[1,1,0]
	v_fma_mix_f32 v1, v7, v7, v1 op_sel:[1,1,0] op_sel_hi:[1,1,0]
	s_and_saveexec_b64 s[30:31], vcc
	s_xor_b64 s[30:31], exec, s[30:31]
	s_cbranch_execz .LBB63_2
; %bb.8:                                ;   in Loop: Header=BB63_5 Depth=1
	v_lshlrev_b64 v[6:7], 3, v[2:3]
	v_add_co_u32_e32 v6, vcc, s33, v6
	v_addc_co_u32_e32 v7, vcc, v9, v7, vcc
	global_load_dwordx2 v[6:7], v[6:7], off
	v_add_u32_e32 v2, v12, v4
	v_cmp_le_u32_e32 vcc, s12, v2
	s_orn2_b64 s[34:35], vcc, exec
	s_waitcnt vmcnt(0)
	v_fma_mix_f32 v1, v6, v6, v1 op_sel_hi:[1,1,0]
	v_fma_mix_f32 v1, v6, v6, v1 op_sel:[1,1,0] op_sel_hi:[1,1,0]
	v_fma_mix_f32 v1, v7, v7, v1 op_sel_hi:[1,1,0]
	v_fma_mix_f32 v1, v7, v7, v1 op_sel:[1,1,0] op_sel_hi:[1,1,0]
	s_branch .LBB63_2
.LBB63_9:
	s_or_b64 exec, exec, s[22:23]
.LBB63_10:
	s_or_b64 exec, exec, s[18:19]
	v_mbcnt_lo_u32_b32 v2, -1, 0
	v_mbcnt_hi_u32_b32 v2, -1, v2
	v_and_b32_e32 v3, 63, v2
	v_cmp_ne_u32_e32 vcc, 63, v3
	s_load_dword s2, s[2:3], 0xc
	v_addc_co_u32_e32 v4, vcc, 0, v2, vcc
	v_lshlrev_b32_e32 v4, 2, v4
	ds_bpermute_b32 v4, v4, v1
	s_waitcnt lgkmcnt(0)
	s_and_b32 s45, s2, 0xffff
	v_and_b32_e32 v5, 0x3c0, v0
	v_sub_u32_e64 v5, s45, v5 clamp
	v_add_u32_e32 v6, 1, v2
	v_add_f32_e32 v4, v1, v4
	v_cmp_lt_u32_e32 vcc, v6, v5
	v_cndmask_b32_e32 v1, v1, v4, vcc
	v_cmp_gt_u32_e32 vcc, 62, v3
	v_cndmask_b32_e64 v4, 0, 1, vcc
	v_lshlrev_b32_e32 v4, 1, v4
	v_add_lshl_u32 v4, v4, v2, 2
	ds_bpermute_b32 v4, v4, v1
	v_add_u32_e32 v6, 2, v2
	v_cmp_lt_u32_e32 vcc, v6, v5
	v_add_u32_e32 v6, 4, v2
	s_waitcnt lgkmcnt(0)
	v_add_f32_e32 v4, v1, v4
	v_cndmask_b32_e32 v1, v1, v4, vcc
	v_cmp_gt_u32_e32 vcc, 60, v3
	v_cndmask_b32_e64 v4, 0, 1, vcc
	v_lshlrev_b32_e32 v4, 2, v4
	v_add_lshl_u32 v4, v4, v2, 2
	ds_bpermute_b32 v4, v4, v1
	v_cmp_lt_u32_e32 vcc, v6, v5
	v_add_u32_e32 v6, 8, v2
	s_waitcnt lgkmcnt(0)
	v_add_f32_e32 v4, v1, v4
	v_cndmask_b32_e32 v1, v1, v4, vcc
	v_cmp_gt_u32_e32 vcc, 56, v3
	v_cndmask_b32_e64 v4, 0, 1, vcc
	v_lshlrev_b32_e32 v4, 3, v4
	v_add_lshl_u32 v4, v4, v2, 2
	ds_bpermute_b32 v4, v4, v1
	v_cmp_lt_u32_e32 vcc, v6, v5
	v_add_u32_e32 v6, 16, v2
	s_waitcnt lgkmcnt(0)
	v_add_f32_e32 v4, v1, v4
	v_cndmask_b32_e32 v1, v1, v4, vcc
	v_cmp_gt_u32_e32 vcc, 48, v3
	v_cndmask_b32_e64 v4, 0, 1, vcc
	v_lshlrev_b32_e32 v4, 4, v4
	v_add_lshl_u32 v4, v4, v2, 2
	ds_bpermute_b32 v4, v4, v1
	v_cmp_lt_u32_e32 vcc, v6, v5
	s_waitcnt lgkmcnt(0)
	v_add_f32_e32 v4, v1, v4
	v_cndmask_b32_e32 v1, v1, v4, vcc
	v_cmp_gt_u32_e32 vcc, 32, v3
	v_cndmask_b32_e64 v3, 0, 1, vcc
	v_lshlrev_b32_e32 v3, 5, v3
	v_add_lshl_u32 v3, v3, v2, 2
	ds_bpermute_b32 v3, v3, v1
	v_add_u32_e32 v4, 32, v2
	v_cmp_lt_u32_e32 vcc, v4, v5
	s_waitcnt lgkmcnt(0)
	v_add_f32_e32 v3, v1, v3
	v_cndmask_b32_e32 v1, v1, v3, vcc
	v_cmp_eq_u32_e32 vcc, 0, v2
	s_and_saveexec_b64 s[2:3], vcc
	s_cbranch_execz .LBB63_12
; %bb.11:
	v_lshrrev_b32_e32 v3, 4, v0
	v_and_b32_e32 v3, 60, v3
	ds_write_b32 v3, v1 offset:4096
.LBB63_12:
	s_or_b64 exec, exec, s[2:3]
	v_cmp_gt_u32_e32 vcc, 16, v0
	s_waitcnt lgkmcnt(0)
	s_barrier
	s_and_saveexec_b64 s[18:19], vcc
	s_cbranch_execz .LBB63_14
; %bb.13:
	v_lshlrev_b32_e32 v1, 2, v2
	ds_read_b32 v1, v1 offset:4096
	v_and_b32_e32 v3, 15, v2
	v_cmp_ne_u32_e32 vcc, 15, v3
	v_addc_co_u32_e32 v4, vcc, 0, v2, vcc
	v_lshlrev_b32_e32 v4, 2, v4
	s_waitcnt lgkmcnt(0)
	ds_bpermute_b32 v4, v4, v1
	s_add_i32 s2, s45, 63
	s_lshr_b32 s7, s2, 6
	v_add_u32_e32 v5, 1, v3
	v_cmp_gt_u32_e64 s[2:3], 14, v3
	v_cmp_gt_u32_e32 vcc, s7, v5
	v_cndmask_b32_e64 v5, 0, 1, s[2:3]
	s_waitcnt lgkmcnt(0)
	v_add_f32_e32 v4, v1, v4
	v_lshlrev_b32_e32 v5, 1, v5
	v_cndmask_b32_e32 v4, v1, v4, vcc
	v_add_lshl_u32 v5, v5, v2, 2
	ds_bpermute_b32 v5, v5, v4
	v_add_u32_e32 v6, 2, v3
	v_cmp_gt_u32_e64 s[2:3], s7, v6
	v_add_u32_e32 v6, 4, v3
	s_waitcnt lgkmcnt(0)
	v_add_f32_e32 v5, v4, v5
	v_cndmask_b32_e64 v4, v4, v5, s[2:3]
	v_cmp_gt_u32_e64 s[2:3], 12, v3
	v_cndmask_b32_e64 v5, 0, 1, s[2:3]
	v_lshlrev_b32_e32 v5, 2, v5
	v_add_lshl_u32 v5, v5, v2, 2
	ds_bpermute_b32 v5, v5, v4
	v_cmp_gt_u32_e64 s[2:3], s7, v6
	s_waitcnt lgkmcnt(0)
	v_add_f32_e32 v5, v4, v5
	v_cndmask_b32_e64 v4, v4, v5, s[2:3]
	v_cmp_gt_u32_e64 s[2:3], 8, v3
	v_cndmask_b32_e64 v5, 0, 1, s[2:3]
	v_lshlrev_b32_e32 v5, 3, v5
	v_add_lshl_u32 v2, v5, v2, 2
	ds_bpermute_b32 v2, v2, v4
	v_add_u32_e32 v3, 8, v3
	v_cmp_gt_u32_e64 s[2:3], s7, v3
	s_waitcnt lgkmcnt(0)
	v_add_f32_e32 v2, v4, v2
	v_cndmask_b32_e64 v2, v4, v2, s[2:3]
	v_cndmask_b32_e32 v1, v1, v2, vcc
.LBB63_14:
	s_or_b64 exec, exec, s[18:19]
	v_cmp_eq_u32_e32 vcc, 0, v0
	s_and_saveexec_b64 s[2:3], vcc
	s_cbranch_execz .LBB63_16
; %bb.15:
	v_cvt_f32_i32_e32 v2, s17
	s_mov_b32 s7, 0x800000
	v_div_scale_f32 v3, s[18:19], v2, v2, v1
	v_rcp_f32_e32 v4, v3
	v_div_scale_f32 v5, vcc, v1, v2, v1
	v_fma_f32 v6, -v3, v4, 1.0
	v_fmac_f32_e32 v4, v6, v4
	v_mul_f32_e32 v6, v5, v4
	v_fma_f32 v7, -v3, v6, v5
	v_fmac_f32_e32 v6, v7, v4
	v_fma_f32 v3, -v3, v6, v5
	v_div_fmas_f32 v3, v3, v4, v6
	v_div_fixup_f32 v1, v3, v2, v1
	v_add_f32_e32 v1, s16, v1
	v_mul_f32_e32 v2, 0x4b800000, v1
	v_cmp_gt_f32_e32 vcc, s7, v1
	v_cndmask_b32_e32 v1, v1, v2, vcc
	v_rsq_f32_e32 v1, v1
	v_mul_f32_e32 v2, 0x45800000, v1
	v_cndmask_b32_e32 v1, v1, v2, vcc
	v_mov_b32_e32 v2, 0
	ds_write_b32 v2, v1 offset:4160
.LBB63_16:
	s_or_b64 exec, exec, s[2:3]
	s_ashr_i32 s21, s17, 31
	s_lshr_b32 s2, s21, 26
	s_add_i32 s2, s17, s2
	s_ashr_i32 s18, s2, 6
	s_abs_i32 s3, s18
	v_cvt_f32_u32_e32 v1, s3
	s_sub_i32 s7, 0, s3
	s_ashr_i32 s2, s2, 31
	v_mov_b32_e32 v5, 0
	v_rcp_iflag_f32_e32 v1, v1
	s_waitcnt lgkmcnt(0)
	s_barrier
	v_mul_f32_e32 v1, 0x4f7ffffe, v1
	v_cvt_u32_f32_e32 v1, v1
	ds_read_b32 v36, v5 offset:4160
	v_readfirstlane_b32 s13, v1
	s_mul_i32 s7, s7, s13
	s_mul_hi_u32 s7, s13, s7
	s_add_i32 s13, s13, s7
	s_mul_hi_u32 s7, s45, s13
	s_mul_i32 s13, s7, s3
	s_sub_i32 s13, s45, s13
	s_add_i32 s16, s7, 1
	s_sub_i32 s19, s13, s3
	s_cmp_ge_u32 s13, s3
	s_cselect_b32 s7, s16, s7
	s_cselect_b32 s13, s19, s13
	s_add_i32 s16, s7, 1
	s_cmp_ge_u32 s13, s3
	s_cselect_b32 s3, s16, s7
	s_xor_b32 s3, s3, s2
	s_sub_i32 s2, s3, s2
	s_abs_i32 s7, s2
	v_cvt_f32_u32_e32 v1, s7
	s_sub_i32 s13, 0, s7
	s_ashr_i32 s3, s2, 31
	v_rcp_iflag_f32_e32 v1, v1
	v_mul_f32_e32 v1, 0x4f7ffffe, v1
	v_cvt_u32_f32_e32 v1, v1
	v_mul_lo_u32 v2, s13, v1
	v_mul_hi_u32 v2, v1, v2
	v_add_u32_e32 v1, v1, v2
	v_mul_hi_u32 v1, v0, v1
	v_mul_lo_u32 v2, v1, s7
	v_sub_u32_e32 v2, v0, v2
	v_add_u32_e32 v3, 1, v1
	v_cmp_le_u32_e32 vcc, s7, v2
	v_cndmask_b32_e32 v1, v1, v3, vcc
	v_subrev_u32_e32 v3, s7, v2
	v_cndmask_b32_e32 v2, v2, v3, vcc
	v_add_u32_e32 v3, 1, v1
	v_cmp_le_u32_e32 vcc, s7, v2
	v_cndmask_b32_e32 v1, v1, v3, vcc
	v_xor_b32_e32 v1, s3, v1
	v_subrev_u32_e32 v2, s3, v1
	v_mul_lo_u32 v1, v2, s2
	v_ashrrev_i32_e32 v3, 31, v2
	v_sub_u32_e32 v4, v0, v1
	v_lshlrev_b64 v[8:9], 4, v[2:3]
	v_add_co_u32_e32 v6, vcc, v8, v4
	v_addc_co_u32_e32 v7, vcc, 0, v9, vcc
	v_add_co_u32_e32 v8, vcc, 16, v8
	v_addc_co_u32_e32 v9, vcc, 0, v9, vcc
	s_ashr_i32 s13, s12, 31
	v_mov_b32_e32 v1, s13
	v_cmp_gt_i64_e32 vcc, s[12:13], v[8:9]
	v_cndmask_b32_e32 v9, v1, v9, vcc
	v_mov_b32_e32 v1, s12
	v_cndmask_b32_e32 v8, v1, v8, vcc
	v_ashrrev_i32_e32 v11, 31, v8
	v_mov_b32_e32 v10, v8
	v_cmp_lt_i64_e32 vcc, v[6:7], v[10:11]
	s_and_saveexec_b64 s[22:23], vcc
	s_cbranch_execz .LBB63_26
; %bb.17:
	v_lshlrev_b64 v[12:13], 7, v[2:3]
	v_lshlrev_b64 v[14:15], 3, v[4:5]
	v_add_co_u32_e32 v12, vcc, v12, v14
	v_addc_co_u32_e32 v1, vcc, v13, v15, vcc
	s_lshl_b64 s[24:25], s[2:3], 5
	s_mul_hi_i32 s7, s2, 3
	s_mul_i32 s13, s2, 3
	s_lshl_b64 s[26:27], s[2:3], 1
	s_lshl_b64 s[30:31], s[2:3], 3
	s_mov_b64 s[28:29], 0
	v_mov_b32_e32 v5, 0
	v_mov_b32_e32 v13, s44
	;; [unrolled: 1-line block ×4, first 2 shown]
	v_pk_mov_b32 v[14:15], v[6:7], v[6:7] op_sel:[0,1]
                                        ; implicit-def: $sgpr34_sgpr35
	s_branch .LBB63_21
.LBB63_18:                              ;   in Loop: Header=BB63_21 Depth=1
	s_or_b64 exec, exec, s[40:41]
	s_orn2_b64 s[40:41], s[42:43], exec
.LBB63_19:                              ;   in Loop: Header=BB63_21 Depth=1
	s_or_b64 exec, exec, s[38:39]
	s_andn2_b64 s[34:35], s[34:35], exec
	s_and_b64 s[38:39], s[40:41], exec
	s_or_b64 s[34:35], s[34:35], s[38:39]
.LBB63_20:                              ;   in Loop: Header=BB63_21 Depth=1
	s_or_b64 exec, exec, s[36:37]
	s_and_b64 s[36:37], exec, s[34:35]
	s_or_b64 s[28:29], s[36:37], s[28:29]
	s_andn2_b64 exec, exec, s[28:29]
	s_cbranch_execz .LBB63_25
.LBB63_21:                              ; =>This Inner Loop Header: Depth=1
	v_add_co_u32_e32 v18, vcc, s33, v12
	v_addc_co_u32_e32 v19, vcc, v13, v1, vcc
	v_add_co_u32_e32 v20, vcc, s14, v12
	global_load_dwordx2 v[16:17], v[18:19], off
	v_addc_co_u32_e32 v21, vcc, v22, v1, vcc
	global_load_dwordx2 v[24:25], v[20:21], off
	s_or_b64 s[34:35], s[34:35], exec
	s_waitcnt vmcnt(1) lgkmcnt(0)
	v_fma_mixlo_f16 v26, v36, v16, 0 op_sel_hi:[0,1,0]
	v_fma_mixlo_f16 v16, v36, v16, 0 op_sel:[0,1,0] op_sel_hi:[0,1,0]
	v_fma_mixlo_f16 v27, v36, v17, 0 op_sel_hi:[0,1,0]
	v_fma_mixlo_f16 v17, v36, v17, 0 op_sel:[0,1,0] op_sel_hi:[0,1,0]
	s_waitcnt vmcnt(0)
	v_mul_f16_e32 v26, v24, v26
	v_mul_f16_sdwa v16, v24, v16 dst_sel:DWORD dst_unused:UNUSED_PAD src0_sel:WORD_1 src1_sel:DWORD
	v_mul_f16_e32 v24, v25, v27
	v_mul_f16_sdwa v17, v25, v17 dst_sel:DWORD dst_unused:UNUSED_PAD src0_sel:WORD_1 src1_sel:DWORD
	v_cvt_f32_f16_e64 v25, |v26|
	v_cvt_f32_f16_e64 v26, |v16|
	;; [unrolled: 1-line block ×4, first 2 shown]
	v_add_co_u32_e32 v16, vcc, s2, v14
	v_addc_co_u32_e32 v17, vcc, v15, v23, vcc
	v_max3_f32 v5, v5, v25, v26
	v_cmp_lt_i64_e32 vcc, v[16:17], v[10:11]
	v_max3_f32 v5, v5, v24, v27
	s_and_saveexec_b64 s[36:37], vcc
	s_cbranch_execz .LBB63_20
; %bb.22:                               ;   in Loop: Header=BB63_21 Depth=1
	v_mov_b32_e32 v26, s31
	v_add_co_u32_e32 v18, vcc, s30, v18
	v_addc_co_u32_e32 v19, vcc, v19, v26, vcc
	v_add_co_u32_e32 v20, vcc, s30, v20
	global_load_dwordx2 v[24:25], v[18:19], off
	v_addc_co_u32_e32 v21, vcc, v21, v26, vcc
	global_load_dwordx2 v[26:27], v[20:21], off
	v_mov_b32_e32 v28, s27
	s_mov_b64 s[40:41], -1
	s_waitcnt vmcnt(1)
	v_fma_mixlo_f16 v29, v36, v24, 0 op_sel_hi:[0,1,0]
	v_fma_mixlo_f16 v24, v36, v24, 0 op_sel:[0,1,0] op_sel_hi:[0,1,0]
	v_fma_mixlo_f16 v30, v36, v25, 0 op_sel_hi:[0,1,0]
	v_fma_mixlo_f16 v25, v36, v25, 0 op_sel:[0,1,0] op_sel_hi:[0,1,0]
	s_waitcnt vmcnt(0)
	v_mul_f16_e32 v29, v26, v29
	v_mul_f16_sdwa v24, v26, v24 dst_sel:DWORD dst_unused:UNUSED_PAD src0_sel:WORD_1 src1_sel:DWORD
	v_mul_f16_e32 v26, v27, v30
	v_mul_f16_sdwa v25, v27, v25 dst_sel:DWORD dst_unused:UNUSED_PAD src0_sel:WORD_1 src1_sel:DWORD
	v_cvt_f32_f16_e64 v27, |v29|
	v_cvt_f32_f16_e64 v29, |v24|
	;; [unrolled: 1-line block ×4, first 2 shown]
	v_add_co_u32_e32 v24, vcc, s26, v14
	v_addc_co_u32_e32 v25, vcc, v28, v15, vcc
	v_max3_f32 v5, v5, v27, v29
	v_cmp_lt_i64_e32 vcc, v[24:25], v[10:11]
	v_max3_f32 v5, v5, v26, v30
	s_and_saveexec_b64 s[38:39], vcc
	s_cbranch_execz .LBB63_19
; %bb.23:                               ;   in Loop: Header=BB63_21 Depth=1
	v_mov_b32_e32 v26, s31
	v_add_co_u32_e32 v18, vcc, s30, v18
	v_addc_co_u32_e32 v19, vcc, v19, v26, vcc
	v_add_co_u32_e32 v20, vcc, s30, v20
	global_load_dwordx2 v[24:25], v[18:19], off
	v_addc_co_u32_e32 v21, vcc, v21, v26, vcc
	global_load_dwordx2 v[26:27], v[20:21], off
	v_mov_b32_e32 v28, s7
	v_add_co_u32_e32 v14, vcc, s13, v14
	v_addc_co_u32_e32 v15, vcc, v28, v15, vcc
	v_cmp_lt_i64_e32 vcc, v[14:15], v[10:11]
	s_mov_b64 s[42:43], -1
                                        ; implicit-def: $vgpr14_vgpr15
	s_waitcnt vmcnt(1)
	v_fma_mixlo_f16 v29, v36, v24, 0 op_sel_hi:[0,1,0]
	v_fma_mixlo_f16 v24, v36, v24, 0 op_sel:[0,1,0] op_sel_hi:[0,1,0]
	v_fma_mixlo_f16 v30, v36, v25, 0 op_sel_hi:[0,1,0]
	v_fma_mixlo_f16 v25, v36, v25, 0 op_sel:[0,1,0] op_sel_hi:[0,1,0]
	s_waitcnt vmcnt(0)
	v_mul_f16_e32 v29, v26, v29
	v_mul_f16_sdwa v24, v26, v24 dst_sel:DWORD dst_unused:UNUSED_PAD src0_sel:WORD_1 src1_sel:DWORD
	v_mul_f16_e32 v26, v27, v30
	v_mul_f16_sdwa v25, v27, v25 dst_sel:DWORD dst_unused:UNUSED_PAD src0_sel:WORD_1 src1_sel:DWORD
	v_cvt_f32_f16_e64 v27, |v29|
	v_cvt_f32_f16_e64 v24, |v24|
	;; [unrolled: 1-line block ×4, first 2 shown]
	v_max3_f32 v5, v5, v27, v24
	v_max3_f32 v5, v5, v26, v25
	s_and_saveexec_b64 s[40:41], vcc
	s_xor_b64 s[40:41], exec, s[40:41]
	s_cbranch_execz .LBB63_18
; %bb.24:                               ;   in Loop: Header=BB63_21 Depth=1
	v_mov_b32_e32 v24, s31
	v_add_co_u32_e32 v14, vcc, s30, v18
	v_addc_co_u32_e32 v15, vcc, v19, v24, vcc
	v_add_co_u32_e32 v18, vcc, s30, v20
	global_load_dwordx2 v[14:15], v[14:15], off
	v_addc_co_u32_e32 v19, vcc, v21, v24, vcc
	global_load_dwordx2 v[18:19], v[18:19], off
	s_add_u32 s16, s2, s2
	s_addc_u32 s19, s3, s3
	v_mov_b32_e32 v20, s25
	v_add_co_u32_e32 v12, vcc, s24, v12
	s_add_u32 s16, s16, s2
	v_addc_co_u32_e32 v1, vcc, v1, v20, vcc
	s_addc_u32 s19, s19, s3
	v_mov_b32_e32 v20, s19
	s_waitcnt vmcnt(1)
	v_fma_mixlo_f16 v21, v36, v14, 0 op_sel_hi:[0,1,0]
	v_fma_mixlo_f16 v14, v36, v14, 0 op_sel:[0,1,0] op_sel_hi:[0,1,0]
	v_fma_mixlo_f16 v24, v36, v15, 0 op_sel_hi:[0,1,0]
	v_fma_mixlo_f16 v15, v36, v15, 0 op_sel:[0,1,0] op_sel_hi:[0,1,0]
	s_waitcnt vmcnt(0)
	v_mul_f16_e32 v21, v18, v21
	v_mul_f16_sdwa v14, v18, v14 dst_sel:DWORD dst_unused:UNUSED_PAD src0_sel:WORD_1 src1_sel:DWORD
	v_mul_f16_e32 v18, v19, v24
	v_mul_f16_sdwa v15, v19, v15 dst_sel:DWORD dst_unused:UNUSED_PAD src0_sel:WORD_1 src1_sel:DWORD
	v_cvt_f32_f16_e64 v19, |v21|
	v_cvt_f32_f16_e64 v21, |v14|
	;; [unrolled: 1-line block ×4, first 2 shown]
	v_add_co_u32_e32 v14, vcc, s16, v16
	v_addc_co_u32_e32 v15, vcc, v20, v17, vcc
	v_cmp_ge_i64_e32 vcc, v[14:15], v[10:11]
	v_max3_f32 v5, v5, v19, v21
	v_max3_f32 v5, v5, v18, v24
	s_orn2_b64 s[42:43], vcc, exec
	s_branch .LBB63_18
.LBB63_25:
	s_or_b64 exec, exec, s[28:29]
.LBB63_26:
	s_or_b64 exec, exec, s[22:23]
	s_lshr_b32 s7, s45, 6
	v_cvt_f32_u32_e32 v10, s7
	v_lshlrev_b32_e32 v1, 2, v0
	ds_write_b32 v1, v5
	s_sub_i32 s22, 0, s7
	v_rcp_iflag_f32_e32 v5, v10
	s_add_i32 s13, s18, s7
	s_add_i32 s13, s13, -1
	s_ashr_i32 s16, s13, 31
	v_mul_f32_e32 v5, 0x4f7ffffe, v5
	v_cvt_u32_f32_e32 v5, v5
	s_abs_i32 s13, s13
	s_ashr_i32 s19, s18, 31
	s_waitcnt lgkmcnt(0)
	v_readfirstlane_b32 s23, v5
	s_mul_i32 s22, s22, s23
	s_mul_hi_u32 s22, s23, s22
	s_add_i32 s23, s23, s22
	s_mul_hi_u32 s22, s13, s23
	s_mul_i32 s23, s22, s7
	s_sub_i32 s13, s13, s23
	s_add_i32 s23, s22, 1
	s_sub_i32 s24, s13, s7
	s_cmp_ge_u32 s13, s7
	s_cselect_b32 s22, s23, s22
	s_cselect_b32 s13, s24, s13
	s_add_i32 s23, s22, 1
	s_cmp_ge_u32 s13, s7
	s_cselect_b32 s13, s23, s22
	s_xor_b32 s13, s13, s16
	s_sub_i32 s22, s13, s16
	s_ashr_i32 s23, s22, 31
	v_cmp_lt_i64_e64 s[24:25], s[22:23], 1
	s_and_b64 vcc, exec, s[24:25]
	s_barrier
	s_cbranch_vccnz .LBB63_48
; %bb.27:
	v_and_b32_e32 v12, 63, v0
	v_add_co_u32_e32 v14, vcc, 32, v12
	v_addc_co_u32_e64 v15, s[24:25], 0, 0, vcc
	v_add_co_u32_e32 v16, vcc, 16, v12
	v_addc_co_u32_e64 v17, s[24:25], 0, 0, vcc
	v_add_co_u32_e32 v18, vcc, 8, v12
	v_lshrrev_b32_e32 v10, 6, v0
	v_addc_co_u32_e64 v19, s[24:25], 0, 0, vcc
	v_add_co_u32_e32 v20, vcc, 4, v12
	v_addc_co_u32_e64 v21, s[24:25], 0, 0, vcc
	v_add_co_u32_e32 v22, vcc, 2, v12
	v_mul_lo_u32 v5, s2, v10
	v_addc_co_u32_e64 v23, s[24:25], 0, 0, vcc
	v_add_co_u32_e32 v24, vcc, 1, v12
	v_lshlrev_b32_e32 v5, 2, v5
	v_lshlrev_b32_e32 v26, 2, v12
	s_movk_i32 s13, 0x100
	v_mov_b32_e32 v11, 0
	v_addc_co_u32_e64 v25, s[24:25], 0, 0, vcc
	v_add3_u32 v5, v5, v26, s13
	s_mul_i32 s13, s2, s7
	v_mov_b32_e32 v13, v11
	s_lshl_b32 s13, s13, 2
	s_mov_b64 s[24:25], 0
	v_mov_b32_e32 v37, s7
	s_mov_b64 s[26:27], src_shared_base
	s_branch .LBB63_30
.LBB63_28:                              ;   in Loop: Header=BB63_30 Depth=1
	s_or_b64 exec, exec, s[30:31]
	v_mov_b32_e32 v27, s27
	flat_load_dword v26, v[26:27] glc
	s_waitcnt vmcnt(0)
.LBB63_29:                              ;   in Loop: Header=BB63_30 Depth=1
	s_or_b64 exec, exec, s[28:29]
	s_add_u32 s24, s24, 1
	s_addc_u32 s25, s25, 0
	s_cmp_eq_u64 s[24:25], s[22:23]
	v_add_u32_e32 v5, s13, v5
	s_cbranch_scc1 .LBB63_48
.LBB63_30:                              ; =>This Loop Header: Depth=1
                                        ;     Child Loop BB63_33 Depth 2
	v_mad_u64_u32 v[30:31], s[28:29], s24, v37, v[10:11]
	s_mul_i32 s16, s25, s7
	v_add_u32_e32 v31, s16, v31
	v_cmp_gt_i64_e32 vcc, s[18:19], v[30:31]
	s_and_saveexec_b64 s[28:29], vcc
	s_cbranch_execz .LBB63_29
; %bb.31:                               ;   in Loop: Header=BB63_30 Depth=1
	v_pk_mov_b32 v[32:33], s[2:3], s[2:3] op_sel:[0,1]
	v_mul_lo_u32 v29, v31, s2
	v_mul_lo_u32 v38, v30, s3
	v_mad_u64_u32 v[32:33], s[30:31], v30, s2, v[32:33]
	v_add3_u32 v33, v29, v33, v38
	v_mov_b32_e32 v28, s21
	v_cmp_gt_i64_e32 vcc, s[20:21], v[32:33]
	s_waitcnt lgkmcnt(0)
	v_mad_u64_u32 v[26:27], s[30:31], v30, s2, v[12:13]
	v_cndmask_b32_e32 v33, v28, v33, vcc
	v_mov_b32_e32 v28, s17
	v_add3_u32 v27, v29, v27, v38
	v_cndmask_b32_e32 v32, v28, v32, vcc
	v_add_co_u32_e32 v34, vcc, 64, v26
	v_addc_co_u32_e32 v35, vcc, 0, v27, vcc
	v_cmp_lt_i64_e32 vcc, v[34:35], v[32:33]
	v_lshlrev_b32_e32 v28, 2, v26
	s_and_saveexec_b64 s[30:31], vcc
	s_cbranch_execz .LBB63_34
; %bb.32:                               ;   in Loop: Header=BB63_30 Depth=1
	ds_read_b32 v31, v28
	s_mov_b64 s[34:35], 0
	v_mov_b32_e32 v27, v5
.LBB63_33:                              ;   Parent Loop BB63_30 Depth=1
                                        ; =>  This Inner Loop Header: Depth=2
	ds_read_b32 v39, v27
	v_add_co_u32_e32 v34, vcc, 64, v34
	v_addc_co_u32_e32 v35, vcc, 0, v35, vcc
	s_waitcnt lgkmcnt(1)
	v_max_f32_e32 v31, v31, v31
	v_cmp_ge_i64_e32 vcc, v[34:35], v[32:33]
	s_waitcnt lgkmcnt(0)
	v_max_f32_e32 v39, v39, v39
	v_add_u32_e32 v27, 0x100, v27
	s_or_b64 s[34:35], vcc, s[34:35]
	v_max_f32_e32 v31, v31, v39
	ds_write_b32 v28, v31
	s_andn2_b64 exec, exec, s[34:35]
	s_cbranch_execnz .LBB63_33
.LBB63_34:                              ;   in Loop: Header=BB63_30 Depth=1
	s_or_b64 exec, exec, s[30:31]
	v_mad_u64_u32 v[30:31], s[30:31], v30, s2, 0
	v_add3_u32 v27, v31, v38, v29
	v_sub_co_u32_e32 v30, vcc, v32, v30
	v_subb_co_u32_e32 v31, vcc, v33, v27, vcc
	v_cmp_gt_i64_e32 vcc, 64, v[30:31]
	v_cndmask_b32_e32 v31, 0, v31, vcc
	v_cndmask_b32_e32 v30, 64, v30, vcc
	v_cmp_lt_i64_e32 vcc, v[14:15], v[30:31]
	s_and_saveexec_b64 s[30:31], vcc
	s_cbranch_execnz .LBB63_46
; %bb.35:                               ;   in Loop: Header=BB63_30 Depth=1
	s_or_b64 exec, exec, s[30:31]
	v_cmp_lt_i64_e32 vcc, v[16:17], v[30:31]
	s_and_saveexec_b64 s[30:31], vcc
	s_cbranch_execnz .LBB63_47
.LBB63_36:                              ;   in Loop: Header=BB63_30 Depth=1
	s_or_b64 exec, exec, s[30:31]
	v_cmp_lt_i64_e32 vcc, v[18:19], v[30:31]
	s_and_saveexec_b64 s[30:31], vcc
	s_cbranch_execz .LBB63_38
.LBB63_37:                              ;   in Loop: Header=BB63_30 Depth=1
	v_mov_b32_e32 v29, s27
	v_add_u32_e32 v32, 32, v28
	v_mov_b32_e32 v33, s27
	flat_load_dword v27, v[28:29] glc
	s_waitcnt vmcnt(0)
	flat_load_dword v34, v[32:33] glc
	s_waitcnt vmcnt(0) lgkmcnt(0)
	v_max_f32_e32 v27, v27, v27
	v_max_f32_e32 v32, v34, v34
	;; [unrolled: 1-line block ×3, first 2 shown]
	flat_store_dword v[28:29], v27
	s_waitcnt vmcnt(0)
.LBB63_38:                              ;   in Loop: Header=BB63_30 Depth=1
	s_or_b64 exec, exec, s[30:31]
	v_cmp_ge_i64_e32 vcc, v[20:21], v[30:31]
	s_and_saveexec_b64 s[30:31], vcc
	s_xor_b64 s[30:31], exec, s[30:31]
; %bb.39:                               ;   in Loop: Header=BB63_30 Depth=1
                                        ; implicit-def: $vgpr28
; %bb.40:                               ;   in Loop: Header=BB63_30 Depth=1
	s_andn2_saveexec_b64 s[30:31], s[30:31]
	s_cbranch_execz .LBB63_42
; %bb.41:                               ;   in Loop: Header=BB63_30 Depth=1
	v_mov_b32_e32 v29, s27
	v_add_u32_e32 v32, 16, v28
	v_mov_b32_e32 v33, s27
	flat_load_dword v27, v[28:29] glc
	s_waitcnt vmcnt(0)
	flat_load_dword v34, v[32:33] glc
	s_waitcnt vmcnt(0) lgkmcnt(0)
	v_max_f32_e32 v27, v27, v27
	v_max_f32_e32 v32, v34, v34
	;; [unrolled: 1-line block ×3, first 2 shown]
	flat_store_dword v[28:29], v27
	s_waitcnt vmcnt(0)
.LBB63_42:                              ;   in Loop: Header=BB63_30 Depth=1
	s_or_b64 exec, exec, s[30:31]
	v_cmp_lt_i64_e32 vcc, v[22:23], v[30:31]
	v_lshlrev_b32_e32 v26, 2, v26
	s_and_saveexec_b64 s[30:31], vcc
	s_cbranch_execz .LBB63_44
; %bb.43:                               ;   in Loop: Header=BB63_30 Depth=1
	v_mov_b32_e32 v27, s27
	v_add_u32_e32 v28, 8, v26
	v_mov_b32_e32 v29, s27
	flat_load_dword v32, v[26:27] glc
	s_waitcnt vmcnt(0)
	flat_load_dword v33, v[28:29] glc
	s_waitcnt vmcnt(0) lgkmcnt(0)
	v_max_f32_e32 v28, v32, v32
	v_max_f32_e32 v29, v33, v33
	;; [unrolled: 1-line block ×3, first 2 shown]
	flat_store_dword v[26:27], v28
	s_waitcnt vmcnt(0)
.LBB63_44:                              ;   in Loop: Header=BB63_30 Depth=1
	s_or_b64 exec, exec, s[30:31]
	v_cmp_lt_i64_e32 vcc, v[24:25], v[30:31]
	s_and_saveexec_b64 s[30:31], vcc
	s_cbranch_execz .LBB63_28
; %bb.45:                               ;   in Loop: Header=BB63_30 Depth=1
	v_mov_b32_e32 v27, s27
	v_add_u32_e32 v28, 4, v26
	v_mov_b32_e32 v29, s27
	flat_load_dword v30, v[26:27] glc
	s_waitcnt vmcnt(0)
	flat_load_dword v31, v[28:29] glc
	s_waitcnt vmcnt(0) lgkmcnt(0)
	v_max_f32_e32 v28, v30, v30
	v_max_f32_e32 v29, v31, v31
	;; [unrolled: 1-line block ×3, first 2 shown]
	flat_store_dword v[26:27], v28
	s_waitcnt vmcnt(0)
	s_branch .LBB63_28
.LBB63_46:                              ;   in Loop: Header=BB63_30 Depth=1
	v_mov_b32_e32 v29, s27
	v_add_u32_e32 v32, 0x80, v28
	v_mov_b32_e32 v33, s27
	flat_load_dword v27, v[28:29] glc
	s_waitcnt vmcnt(0)
	flat_load_dword v34, v[32:33] glc
	s_waitcnt vmcnt(0) lgkmcnt(0)
	v_max_f32_e32 v27, v27, v27
	v_max_f32_e32 v32, v34, v34
	;; [unrolled: 1-line block ×3, first 2 shown]
	flat_store_dword v[28:29], v27
	s_waitcnt vmcnt(0)
	s_or_b64 exec, exec, s[30:31]
	v_cmp_lt_i64_e32 vcc, v[16:17], v[30:31]
	s_and_saveexec_b64 s[30:31], vcc
	s_cbranch_execz .LBB63_36
.LBB63_47:                              ;   in Loop: Header=BB63_30 Depth=1
	v_mov_b32_e32 v29, s27
	v_add_u32_e32 v32, 64, v28
	v_mov_b32_e32 v33, s27
	flat_load_dword v27, v[28:29] glc
	s_waitcnt vmcnt(0)
	flat_load_dword v34, v[32:33] glc
	s_waitcnt vmcnt(0) lgkmcnt(0)
	v_max_f32_e32 v27, v27, v27
	v_max_f32_e32 v32, v34, v34
	;; [unrolled: 1-line block ×3, first 2 shown]
	flat_store_dword v[28:29], v27
	s_waitcnt vmcnt(0)
	s_or_b64 exec, exec, s[30:31]
	v_cmp_lt_i64_e32 vcc, v[18:19], v[30:31]
	s_and_saveexec_b64 s[30:31], vcc
	s_cbranch_execnz .LBB63_37
	s_branch .LBB63_38
.LBB63_48:
	v_cmp_eq_u32_e32 vcc, 0, v4
	v_cmp_lt_i64_e64 s[2:3], v[6:7], v[8:9]
	s_and_b64 s[22:23], vcc, s[2:3]
	s_mul_i32 s7, s19, s6
	s_mul_hi_u32 s16, s18, s6
	s_mul_i32 s2, s18, s6
	s_waitcnt lgkmcnt(0)
	s_barrier
	s_and_saveexec_b64 s[18:19], s[22:23]
	s_cbranch_execz .LBB63_52
; %bb.49:
	s_load_dwordx2 s[4:5], s[4:5], 0x20
	ds_read_b32 v1, v1
	s_waitcnt lgkmcnt(0)
	s_cmp_eq_u64 s[4:5], 0
	s_cbranch_scc1 .LBB63_51
; %bb.50:
	s_load_dword s3, s[4:5], 0x0
	v_max_f32_e32 v1, v1, v1
	s_waitcnt lgkmcnt(0)
	v_max_f32_e64 v4, s3, s3
	v_min_f32_e32 v1, v1, v4
.LBB63_51:
	s_mov_b32 s3, 0x43e00000
	v_div_scale_f32 v4, s[4:5], s3, s3, v1
	v_rcp_f32_e32 v5, v4
	v_div_scale_f32 v6, vcc, v1, s3, v1
	v_lshlrev_b64 v[2:3], 2, v[2:3]
	v_fma_f32 v7, -v4, v5, 1.0
	v_fmac_f32_e32 v5, v7, v5
	v_mul_f32_e32 v7, v6, v5
	v_fma_f32 v8, -v4, v7, v6
	v_fmac_f32_e32 v7, v8, v5
	v_fma_f32 v4, -v4, v7, v6
	v_div_fmas_f32 v4, v4, v5, v7
	v_div_fixup_f32 v1, v4, s3, v1
	s_add_i32 s3, s16, s7
	s_lshl_b64 s[4:5], s[2:3], 2
	s_add_u32 s3, s10, s4
	s_addc_u32 s4, s11, s5
	v_mov_b32_e32 v4, s4
	v_add_co_u32_e32 v2, vcc, s3, v2
	v_max_f32_e32 v1, 0x36924925, v1
	v_addc_co_u32_e32 v3, vcc, v4, v3, vcc
	global_store_dword v[2:3], v1, off
.LBB63_52:
	s_or_b64 exec, exec, s[18:19]
	s_barrier
	s_and_saveexec_b64 s[4:5], s[0:1]
	s_cbranch_execz .LBB63_157
; %bb.53:
	s_mul_i32 s0, s21, s6
	s_mul_hi_u32 s1, s17, s6
	s_add_i32 s1, s1, s0
	s_mul_i32 s0, s17, s6
	s_add_u32 s13, s8, s0
	s_addc_u32 s18, s9, s1
	s_add_i32 s3, s16, s7
	s_lshl_b64 s[0:1], s[2:3], 2
	s_add_u32 s0, s10, s0
	s_addc_u32 s1, s11, s1
	s_mul_i32 s19, s45, 3
	s_lshl_b32 s20, s45, 1
	s_mov_b64 s[2:3], 0
	v_mov_b32_e32 v1, 0
	v_mov_b32_e32 v10, s44
	;; [unrolled: 1-line block ×3, first 2 shown]
	s_mov_b32 s21, 0x43f00000
	s_mov_b32 s22, 0x3c7fffff
	;; [unrolled: 1-line block ×4, first 2 shown]
	s_movk_i32 s25, 0x80
	s_movk_i32 s26, 0xff
	s_branch .LBB63_59
.LBB63_54:                              ;   in Loop: Header=BB63_59 Depth=1
	s_or_b64 exec, exec, s[16:17]
.LBB63_55:                              ;   in Loop: Header=BB63_59 Depth=1
	s_or_b64 exec, exec, s[10:11]
	v_and_b32_sdwa v7, v14, s25 dst_sel:DWORD dst_unused:UNUSED_PAD src0_sel:BYTE_3 src1_sel:DWORD
	v_lshlrev_b64 v[14:15], 2, v[0:1]
	v_mov_b32_e32 v0, s18
	v_add_co_u32_e32 v14, vcc, s13, v14
	v_and_b32_sdwa v4, v4, s25 dst_sel:DWORD dst_unused:UNUSED_PAD src0_sel:BYTE_3 src1_sel:DWORD
	v_addc_co_u32_e32 v15, vcc, v0, v15, vcc
	v_lshlrev_b32_e32 v0, 24, v6
	v_and_or_b32 v6, v13, s26, v7
	v_lshrrev_b32_e32 v9, 24, v9
	v_and_b32_e32 v5, 0x80000000, v5
	v_lshlrev_b32_e32 v6, 16, v6
	v_and_or_b32 v3, v3, s26, v4
	v_and_b32_e32 v4, 0xff, v8
	v_or3_b32 v0, v5, v0, v6
	v_lshlrev_b32_e32 v3, 8, v3
	v_and_or_b32 v4, v9, s25, v4
	s_add_i32 s10, s45, s45
	v_or3_b32 v0, v0, v3, v4
	s_add_i32 s10, s10, s45
	global_store_dword v[14:15], v0, off
	v_add_u32_e32 v0, s10, v2
	v_cmp_le_u32_e32 vcc, s12, v0
	s_orn2_b64 s[10:11], vcc, exec
.LBB63_56:                              ;   in Loop: Header=BB63_59 Depth=1
	s_or_b64 exec, exec, s[8:9]
	s_orn2_b64 s[8:9], s[10:11], exec
.LBB63_57:                              ;   in Loop: Header=BB63_59 Depth=1
	s_or_b64 exec, exec, s[6:7]
	s_orn2_b64 s[6:7], s[8:9], exec
.LBB63_58:                              ;   in Loop: Header=BB63_59 Depth=1
	s_or_b64 exec, exec, s[4:5]
	s_and_b64 s[4:5], exec, s[6:7]
	s_or_b64 s[2:3], s[4:5], s[2:3]
	s_andn2_b64 exec, exec, s[2:3]
	s_cbranch_execz .LBB63_157
.LBB63_59:                              ; =>This Inner Loop Header: Depth=1
	v_lshlrev_b64 v[4:5], 3, v[0:1]
	v_add_co_u32_e32 v2, vcc, s33, v4
	v_addc_co_u32_e32 v3, vcc, v10, v5, vcc
	v_add_co_u32_e32 v4, vcc, s14, v4
	global_load_dwordx2 v[2:3], v[2:3], off
	v_addc_co_u32_e32 v5, vcc, v11, v5, vcc
	global_load_dwordx2 v[4:5], v[4:5], off
	v_lshrrev_b32_e32 v6, 2, v0
	v_and_b32_e32 v6, 0xffffffc, v6
	global_load_dword v9, v6, s[0:1]
	s_waitcnt vmcnt(2)
	v_fma_mixlo_f16 v6, v36, v2, 0 op_sel_hi:[0,1,0]
	s_waitcnt vmcnt(1)
	v_mul_f16_e32 v6, v4, v6
	v_cvt_f32_f16_e32 v7, v6
	v_mov_b32_e32 v6, 0x7f
	s_waitcnt vmcnt(0)
	v_div_scale_f32 v8, s[4:5], v9, v9, v7
	v_rcp_f32_e32 v12, v8
	v_div_scale_f32 v13, vcc, v7, v9, v7
	v_fma_f32 v14, -v8, v12, 1.0
	v_fmac_f32_e32 v12, v14, v12
	v_mul_f32_e32 v14, v13, v12
	v_fma_f32 v15, -v8, v14, v13
	v_fmac_f32_e32 v14, v15, v12
	v_fma_f32 v8, -v8, v14, v13
	v_div_fmas_f32 v8, v8, v12, v14
	v_div_fixup_f32 v7, v8, v9, v7
	v_min_f32_e32 v7, 0x43e00000, v7
	v_max_f32_e32 v8, 0xc3e00000, v7
	v_and_b32_e32 v12, 0x7fffffff, v8
	v_cmp_gt_u32_e32 vcc, s21, v12
	v_mov_b32_e32 v7, 0x7f
	s_and_saveexec_b64 s[4:5], vcc
	s_cbranch_execz .LBB63_65
; %bb.60:                               ;   in Loop: Header=BB63_59 Depth=1
	v_cmp_lt_u32_e32 vcc, s22, v12
                                        ; implicit-def: $vgpr7
	s_and_saveexec_b64 s[6:7], vcc
	s_xor_b64 s[6:7], exec, s[6:7]
; %bb.61:                               ;   in Loop: Header=BB63_59 Depth=1
	v_bfe_u32 v7, v8, 20, 1
	v_add3_u32 v7, v8, v7, s23
	v_lshrrev_b32_e32 v7, 20, v7
; %bb.62:                               ;   in Loop: Header=BB63_59 Depth=1
	s_andn2_saveexec_b64 s[6:7], s[6:7]
; %bb.63:                               ;   in Loop: Header=BB63_59 Depth=1
	v_add_f32_e64 v7, |v8|, s24
; %bb.64:                               ;   in Loop: Header=BB63_59 Depth=1
	s_or_b64 exec, exec, s[6:7]
.LBB63_65:                              ;   in Loop: Header=BB63_59 Depth=1
	s_or_b64 exec, exec, s[4:5]
	v_fma_mixlo_f16 v2, v36, v2, 0 op_sel:[0,1,0] op_sel_hi:[0,1,0]
	v_mul_f16_sdwa v2, v4, v2 dst_sel:DWORD dst_unused:UNUSED_PAD src0_sel:WORD_1 src1_sel:DWORD
	v_cvt_f32_f16_e32 v2, v2
	v_div_scale_f32 v4, s[4:5], v9, v9, v2
	v_rcp_f32_e32 v12, v4
	v_div_scale_f32 v13, vcc, v2, v9, v2
	v_fma_f32 v14, -v4, v12, 1.0
	v_fmac_f32_e32 v12, v14, v12
	v_mul_f32_e32 v14, v13, v12
	v_fma_f32 v15, -v4, v14, v13
	v_fmac_f32_e32 v14, v15, v12
	v_fma_f32 v4, -v4, v14, v13
	v_div_fmas_f32 v4, v4, v12, v14
	v_div_fixup_f32 v2, v4, v9, v2
	v_min_f32_e32 v2, 0x43e00000, v2
	v_max_f32_e32 v2, 0xc3e00000, v2
	v_and_b32_e32 v4, 0x7fffffff, v2
	v_cmp_gt_u32_e32 vcc, s21, v4
	s_and_saveexec_b64 s[4:5], vcc
	s_cbranch_execz .LBB63_71
; %bb.66:                               ;   in Loop: Header=BB63_59 Depth=1
	v_cmp_lt_u32_e32 vcc, s22, v4
                                        ; implicit-def: $vgpr6
	s_and_saveexec_b64 s[6:7], vcc
	s_xor_b64 s[6:7], exec, s[6:7]
; %bb.67:                               ;   in Loop: Header=BB63_59 Depth=1
	v_bfe_u32 v4, v2, 20, 1
	v_add3_u32 v4, v2, v4, s23
	v_lshrrev_b32_e32 v6, 20, v4
; %bb.68:                               ;   in Loop: Header=BB63_59 Depth=1
	s_andn2_saveexec_b64 s[6:7], s[6:7]
; %bb.69:                               ;   in Loop: Header=BB63_59 Depth=1
	v_add_f32_e64 v6, |v2|, s24
; %bb.70:                               ;   in Loop: Header=BB63_59 Depth=1
	s_or_b64 exec, exec, s[6:7]
.LBB63_71:                              ;   in Loop: Header=BB63_59 Depth=1
	s_or_b64 exec, exec, s[4:5]
	v_fma_mixlo_f16 v4, v36, v3, 0 op_sel_hi:[0,1,0]
	v_mul_f16_e32 v4, v5, v4
	v_cvt_f32_f16_e32 v12, v4
	v_mov_b32_e32 v4, 0x7f
	v_div_scale_f32 v13, s[4:5], v9, v9, v12
	v_rcp_f32_e32 v14, v13
	v_div_scale_f32 v15, vcc, v12, v9, v12
	v_fma_f32 v16, -v13, v14, 1.0
	v_fmac_f32_e32 v14, v16, v14
	v_mul_f32_e32 v16, v15, v14
	v_fma_f32 v17, -v13, v16, v15
	v_fmac_f32_e32 v16, v17, v14
	v_fma_f32 v13, -v13, v16, v15
	v_div_fmas_f32 v13, v13, v14, v16
	v_div_fixup_f32 v12, v13, v9, v12
	v_min_f32_e32 v12, 0x43e00000, v12
	v_max_f32_e32 v13, 0xc3e00000, v12
	v_and_b32_e32 v14, 0x7fffffff, v13
	v_cmp_gt_u32_e32 vcc, s21, v14
	v_mov_b32_e32 v12, 0x7f
	s_and_saveexec_b64 s[4:5], vcc
	s_cbranch_execz .LBB63_77
; %bb.72:                               ;   in Loop: Header=BB63_59 Depth=1
	v_cmp_lt_u32_e32 vcc, s22, v14
                                        ; implicit-def: $vgpr12
	s_and_saveexec_b64 s[6:7], vcc
	s_xor_b64 s[6:7], exec, s[6:7]
; %bb.73:                               ;   in Loop: Header=BB63_59 Depth=1
	v_bfe_u32 v12, v13, 20, 1
	v_add3_u32 v12, v13, v12, s23
	v_lshrrev_b32_e32 v12, 20, v12
; %bb.74:                               ;   in Loop: Header=BB63_59 Depth=1
	s_andn2_saveexec_b64 s[6:7], s[6:7]
; %bb.75:                               ;   in Loop: Header=BB63_59 Depth=1
	v_add_f32_e64 v12, |v13|, s24
; %bb.76:                               ;   in Loop: Header=BB63_59 Depth=1
	s_or_b64 exec, exec, s[6:7]
.LBB63_77:                              ;   in Loop: Header=BB63_59 Depth=1
	s_or_b64 exec, exec, s[4:5]
	v_fma_mixlo_f16 v3, v36, v3, 0 op_sel:[0,1,0] op_sel_hi:[0,1,0]
	v_mul_f16_sdwa v3, v5, v3 dst_sel:DWORD dst_unused:UNUSED_PAD src0_sel:WORD_1 src1_sel:DWORD
	v_cvt_f32_f16_e32 v3, v3
	v_div_scale_f32 v5, s[4:5], v9, v9, v3
	v_rcp_f32_e32 v14, v5
	v_div_scale_f32 v15, vcc, v3, v9, v3
	v_fma_f32 v16, -v5, v14, 1.0
	v_fmac_f32_e32 v14, v16, v14
	v_mul_f32_e32 v16, v15, v14
	v_fma_f32 v17, -v5, v16, v15
	v_fmac_f32_e32 v16, v17, v14
	v_fma_f32 v5, -v5, v16, v15
	v_div_fmas_f32 v5, v5, v14, v16
	v_div_fixup_f32 v3, v5, v9, v3
	v_min_f32_e32 v3, 0x43e00000, v3
	v_max_f32_e32 v3, 0xc3e00000, v3
	v_and_b32_e32 v5, 0x7fffffff, v3
	v_cmp_gt_u32_e32 vcc, s21, v5
	s_and_saveexec_b64 s[4:5], vcc
	s_cbranch_execz .LBB63_83
; %bb.78:                               ;   in Loop: Header=BB63_59 Depth=1
	v_cmp_lt_u32_e32 vcc, s22, v5
                                        ; implicit-def: $vgpr4
	s_and_saveexec_b64 s[6:7], vcc
	s_xor_b64 s[6:7], exec, s[6:7]
; %bb.79:                               ;   in Loop: Header=BB63_59 Depth=1
	v_bfe_u32 v4, v3, 20, 1
	v_add3_u32 v4, v3, v4, s23
	v_lshrrev_b32_e32 v4, 20, v4
; %bb.80:                               ;   in Loop: Header=BB63_59 Depth=1
	s_andn2_saveexec_b64 s[6:7], s[6:7]
; %bb.81:                               ;   in Loop: Header=BB63_59 Depth=1
	v_add_f32_e64 v4, |v3|, s24
; %bb.82:                               ;   in Loop: Header=BB63_59 Depth=1
	s_or_b64 exec, exec, s[6:7]
.LBB63_83:                              ;   in Loop: Header=BB63_59 Depth=1
	s_or_b64 exec, exec, s[4:5]
	v_and_b32_sdwa v5, v13, s25 dst_sel:DWORD dst_unused:UNUSED_PAD src0_sel:BYTE_3 src1_sel:DWORD
	v_and_or_b32 v5, v12, s26, v5
	v_and_b32_sdwa v2, v2, s25 dst_sel:DWORD dst_unused:UNUSED_PAD src0_sel:BYTE_3 src1_sel:DWORD
	v_lshlrev_b32_e32 v4, 24, v4
	v_and_b32_e32 v3, 0x80000000, v3
	v_lshlrev_b32_e32 v5, 16, v5
	v_lshrrev_b32_e32 v13, 24, v8
	v_lshlrev_b64 v[8:9], 2, v[0:1]
	v_or3_b32 v3, v3, v4, v5
	v_and_or_b32 v2, v6, s26, v2
	v_and_b32_e32 v4, 0xff, v7
	v_mov_b32_e32 v14, s18
	v_add_co_u32_e32 v8, vcc, s13, v8
	v_lshlrev_b32_e32 v2, 8, v2
	v_and_or_b32 v4, v13, s25, v4
	v_addc_co_u32_e32 v9, vcc, v14, v9, vcc
	v_or3_b32 v2, v3, v2, v4
	global_store_dword v[8:9], v2, off
	v_add_u32_e32 v2, s45, v0
	v_cmp_gt_u32_e32 vcc, s12, v2
	s_mov_b64 s[6:7], -1
	s_and_saveexec_b64 s[4:5], vcc
	s_cbranch_execz .LBB63_58
; %bb.84:                               ;   in Loop: Header=BB63_59 Depth=1
	v_mov_b32_e32 v3, v1
	v_lshlrev_b64 v[6:7], 3, v[2:3]
	v_mov_b32_e32 v5, s44
	v_add_co_u32_e32 v4, vcc, s33, v6
	v_addc_co_u32_e32 v5, vcc, v5, v7, vcc
	v_mov_b32_e32 v8, s15
	v_add_co_u32_e32 v6, vcc, s14, v6
	global_load_dwordx2 v[4:5], v[4:5], off
	v_addc_co_u32_e32 v7, vcc, v8, v7, vcc
	global_load_dwordx2 v[6:7], v[6:7], off
	v_lshrrev_b32_e32 v8, 2, v2
	v_and_b32_e32 v8, 0xffffffc, v8
	global_load_dword v13, v8, s[0:1]
	s_waitcnt vmcnt(2)
	v_fma_mixlo_f16 v8, v36, v4, 0 op_sel_hi:[0,1,0]
	s_waitcnt vmcnt(1)
	v_mul_f16_e32 v8, v6, v8
	v_cvt_f32_f16_e32 v9, v8
	v_mov_b32_e32 v8, 0x7f
	s_waitcnt vmcnt(0)
	v_div_scale_f32 v12, s[6:7], v13, v13, v9
	v_rcp_f32_e32 v14, v12
	v_div_scale_f32 v15, vcc, v9, v13, v9
	v_fma_f32 v16, -v12, v14, 1.0
	v_fmac_f32_e32 v14, v16, v14
	v_mul_f32_e32 v16, v15, v14
	v_fma_f32 v17, -v12, v16, v15
	v_fmac_f32_e32 v16, v17, v14
	v_fma_f32 v12, -v12, v16, v15
	v_div_fmas_f32 v12, v12, v14, v16
	v_div_fixup_f32 v9, v12, v13, v9
	v_min_f32_e32 v9, 0x43e00000, v9
	v_max_f32_e32 v12, 0xc3e00000, v9
	v_and_b32_e32 v14, 0x7fffffff, v12
	v_cmp_gt_u32_e32 vcc, s21, v14
	v_mov_b32_e32 v9, 0x7f
	s_and_saveexec_b64 s[6:7], vcc
	s_cbranch_execz .LBB63_90
; %bb.85:                               ;   in Loop: Header=BB63_59 Depth=1
	v_cmp_lt_u32_e32 vcc, s22, v14
                                        ; implicit-def: $vgpr9
	s_and_saveexec_b64 s[8:9], vcc
	s_xor_b64 s[8:9], exec, s[8:9]
; %bb.86:                               ;   in Loop: Header=BB63_59 Depth=1
	v_bfe_u32 v9, v12, 20, 1
	v_add3_u32 v9, v12, v9, s23
	v_lshrrev_b32_e32 v9, 20, v9
; %bb.87:                               ;   in Loop: Header=BB63_59 Depth=1
	s_andn2_saveexec_b64 s[8:9], s[8:9]
; %bb.88:                               ;   in Loop: Header=BB63_59 Depth=1
	v_add_f32_e64 v9, |v12|, s24
; %bb.89:                               ;   in Loop: Header=BB63_59 Depth=1
	s_or_b64 exec, exec, s[8:9]
.LBB63_90:                              ;   in Loop: Header=BB63_59 Depth=1
	s_or_b64 exec, exec, s[6:7]
	v_fma_mixlo_f16 v4, v36, v4, 0 op_sel:[0,1,0] op_sel_hi:[0,1,0]
	v_mul_f16_sdwa v4, v6, v4 dst_sel:DWORD dst_unused:UNUSED_PAD src0_sel:WORD_1 src1_sel:DWORD
	v_cvt_f32_f16_e32 v4, v4
	v_div_scale_f32 v6, s[6:7], v13, v13, v4
	v_rcp_f32_e32 v14, v6
	v_div_scale_f32 v15, vcc, v4, v13, v4
	v_fma_f32 v16, -v6, v14, 1.0
	v_fmac_f32_e32 v14, v16, v14
	v_mul_f32_e32 v16, v15, v14
	v_fma_f32 v17, -v6, v16, v15
	v_fmac_f32_e32 v16, v17, v14
	v_fma_f32 v6, -v6, v16, v15
	v_div_fmas_f32 v6, v6, v14, v16
	v_div_fixup_f32 v4, v6, v13, v4
	v_min_f32_e32 v4, 0x43e00000, v4
	v_max_f32_e32 v4, 0xc3e00000, v4
	v_and_b32_e32 v6, 0x7fffffff, v4
	v_cmp_gt_u32_e32 vcc, s21, v6
	s_and_saveexec_b64 s[6:7], vcc
	s_cbranch_execz .LBB63_96
; %bb.91:                               ;   in Loop: Header=BB63_59 Depth=1
	v_cmp_lt_u32_e32 vcc, s22, v6
                                        ; implicit-def: $vgpr8
	s_and_saveexec_b64 s[8:9], vcc
	s_xor_b64 s[8:9], exec, s[8:9]
; %bb.92:                               ;   in Loop: Header=BB63_59 Depth=1
	v_bfe_u32 v6, v4, 20, 1
	v_add3_u32 v6, v4, v6, s23
	v_lshrrev_b32_e32 v8, 20, v6
; %bb.93:                               ;   in Loop: Header=BB63_59 Depth=1
	s_andn2_saveexec_b64 s[8:9], s[8:9]
; %bb.94:                               ;   in Loop: Header=BB63_59 Depth=1
	v_add_f32_e64 v8, |v4|, s24
; %bb.95:                               ;   in Loop: Header=BB63_59 Depth=1
	s_or_b64 exec, exec, s[8:9]
.LBB63_96:                              ;   in Loop: Header=BB63_59 Depth=1
	s_or_b64 exec, exec, s[6:7]
	v_fma_mixlo_f16 v6, v36, v5, 0 op_sel_hi:[0,1,0]
	v_mul_f16_e32 v6, v7, v6
	v_cvt_f32_f16_e32 v14, v6
	v_mov_b32_e32 v6, 0x7f
	v_div_scale_f32 v15, s[6:7], v13, v13, v14
	v_rcp_f32_e32 v16, v15
	v_div_scale_f32 v17, vcc, v14, v13, v14
	v_fma_f32 v18, -v15, v16, 1.0
	v_fmac_f32_e32 v16, v18, v16
	v_mul_f32_e32 v18, v17, v16
	v_fma_f32 v19, -v15, v18, v17
	v_fmac_f32_e32 v18, v19, v16
	v_fma_f32 v15, -v15, v18, v17
	v_div_fmas_f32 v15, v15, v16, v18
	v_div_fixup_f32 v14, v15, v13, v14
	v_min_f32_e32 v14, 0x43e00000, v14
	v_max_f32_e32 v15, 0xc3e00000, v14
	v_and_b32_e32 v16, 0x7fffffff, v15
	v_cmp_gt_u32_e32 vcc, s21, v16
	v_mov_b32_e32 v14, 0x7f
	s_and_saveexec_b64 s[6:7], vcc
	s_cbranch_execz .LBB63_102
; %bb.97:                               ;   in Loop: Header=BB63_59 Depth=1
	v_cmp_lt_u32_e32 vcc, s22, v16
                                        ; implicit-def: $vgpr14
	s_and_saveexec_b64 s[8:9], vcc
	s_xor_b64 s[8:9], exec, s[8:9]
; %bb.98:                               ;   in Loop: Header=BB63_59 Depth=1
	v_bfe_u32 v14, v15, 20, 1
	v_add3_u32 v14, v15, v14, s23
	v_lshrrev_b32_e32 v14, 20, v14
; %bb.99:                               ;   in Loop: Header=BB63_59 Depth=1
	s_andn2_saveexec_b64 s[8:9], s[8:9]
; %bb.100:                              ;   in Loop: Header=BB63_59 Depth=1
	v_add_f32_e64 v14, |v15|, s24
; %bb.101:                              ;   in Loop: Header=BB63_59 Depth=1
	s_or_b64 exec, exec, s[8:9]
.LBB63_102:                             ;   in Loop: Header=BB63_59 Depth=1
	s_or_b64 exec, exec, s[6:7]
	v_fma_mixlo_f16 v5, v36, v5, 0 op_sel:[0,1,0] op_sel_hi:[0,1,0]
	v_mul_f16_sdwa v5, v7, v5 dst_sel:DWORD dst_unused:UNUSED_PAD src0_sel:WORD_1 src1_sel:DWORD
	v_cvt_f32_f16_e32 v5, v5
	v_div_scale_f32 v7, s[6:7], v13, v13, v5
	v_rcp_f32_e32 v16, v7
	v_div_scale_f32 v17, vcc, v5, v13, v5
	v_fma_f32 v18, -v7, v16, 1.0
	v_fmac_f32_e32 v16, v18, v16
	v_mul_f32_e32 v18, v17, v16
	v_fma_f32 v19, -v7, v18, v17
	v_fmac_f32_e32 v18, v19, v16
	v_fma_f32 v7, -v7, v18, v17
	v_div_fmas_f32 v7, v7, v16, v18
	v_div_fixup_f32 v5, v7, v13, v5
	v_min_f32_e32 v5, 0x43e00000, v5
	v_max_f32_e32 v5, 0xc3e00000, v5
	v_and_b32_e32 v7, 0x7fffffff, v5
	v_cmp_gt_u32_e32 vcc, s21, v7
	s_and_saveexec_b64 s[6:7], vcc
	s_cbranch_execz .LBB63_108
; %bb.103:                              ;   in Loop: Header=BB63_59 Depth=1
	v_cmp_lt_u32_e32 vcc, s22, v7
                                        ; implicit-def: $vgpr6
	s_and_saveexec_b64 s[8:9], vcc
	s_xor_b64 s[8:9], exec, s[8:9]
; %bb.104:                              ;   in Loop: Header=BB63_59 Depth=1
	v_bfe_u32 v6, v5, 20, 1
	v_add3_u32 v6, v5, v6, s23
	v_lshrrev_b32_e32 v6, 20, v6
; %bb.105:                              ;   in Loop: Header=BB63_59 Depth=1
	s_andn2_saveexec_b64 s[8:9], s[8:9]
; %bb.106:                              ;   in Loop: Header=BB63_59 Depth=1
	v_add_f32_e64 v6, |v5|, s24
; %bb.107:                              ;   in Loop: Header=BB63_59 Depth=1
	s_or_b64 exec, exec, s[8:9]
.LBB63_108:                             ;   in Loop: Header=BB63_59 Depth=1
	s_or_b64 exec, exec, s[6:7]
	v_and_b32_sdwa v7, v15, s25 dst_sel:DWORD dst_unused:UNUSED_PAD src0_sel:BYTE_3 src1_sel:DWORD
	v_lshrrev_b32_e32 v15, 24, v12
	v_lshlrev_b64 v[12:13], 2, v[2:3]
	v_mov_b32_e32 v3, s18
	v_add_co_u32_e32 v12, vcc, s13, v12
	v_addc_co_u32_e32 v13, vcc, v3, v13, vcc
	v_lshlrev_b32_e32 v3, 24, v6
	v_and_or_b32 v6, v14, s26, v7
	v_and_b32_sdwa v4, v4, s25 dst_sel:DWORD dst_unused:UNUSED_PAD src0_sel:BYTE_3 src1_sel:DWORD
	v_and_b32_e32 v5, 0x80000000, v5
	v_lshlrev_b32_e32 v6, 16, v6
	v_or3_b32 v3, v5, v3, v6
	v_and_or_b32 v4, v8, s26, v4
	v_and_b32_e32 v5, 0xff, v9
	v_lshlrev_b32_e32 v4, 8, v4
	v_and_or_b32 v5, v15, s25, v5
	v_or3_b32 v3, v3, v4, v5
	v_add_u32_e32 v4, s20, v0
	v_cmp_gt_u32_e32 vcc, s12, v4
	s_mov_b64 s[8:9], -1
	global_store_dword v[12:13], v3, off
	s_and_saveexec_b64 s[6:7], vcc
	s_cbranch_execz .LBB63_57
; %bb.109:                              ;   in Loop: Header=BB63_59 Depth=1
	v_mov_b32_e32 v5, v1
	v_lshlrev_b64 v[8:9], 3, v[4:5]
	v_mov_b32_e32 v3, s44
	v_add_co_u32_e32 v6, vcc, s33, v8
	v_addc_co_u32_e32 v7, vcc, v3, v9, vcc
	v_mov_b32_e32 v3, s15
	v_add_co_u32_e32 v8, vcc, s14, v8
	global_load_dwordx2 v[6:7], v[6:7], off
	v_addc_co_u32_e32 v9, vcc, v3, v9, vcc
	global_load_dwordx2 v[8:9], v[8:9], off
	v_lshrrev_b32_e32 v3, 2, v4
	v_and_b32_e32 v3, 0xffffffc, v3
	global_load_dword v14, v3, s[0:1]
	s_waitcnt vmcnt(2)
	v_fma_mixlo_f16 v3, v36, v6, 0 op_sel_hi:[0,1,0]
	s_waitcnt vmcnt(1)
	v_mul_f16_e32 v3, v8, v3
	v_cvt_f32_f16_e32 v12, v3
	v_mov_b32_e32 v3, 0x7f
	s_waitcnt vmcnt(0)
	v_div_scale_f32 v13, s[8:9], v14, v14, v12
	v_rcp_f32_e32 v15, v13
	v_div_scale_f32 v16, vcc, v12, v14, v12
	v_fma_f32 v17, -v13, v15, 1.0
	v_fmac_f32_e32 v15, v17, v15
	v_mul_f32_e32 v17, v16, v15
	v_fma_f32 v18, -v13, v17, v16
	v_fmac_f32_e32 v17, v18, v15
	v_fma_f32 v13, -v13, v17, v16
	v_div_fmas_f32 v13, v13, v15, v17
	v_div_fixup_f32 v12, v13, v14, v12
	v_min_f32_e32 v12, 0x43e00000, v12
	v_max_f32_e32 v13, 0xc3e00000, v12
	v_and_b32_e32 v15, 0x7fffffff, v13
	v_cmp_gt_u32_e32 vcc, s21, v15
	v_mov_b32_e32 v12, 0x7f
	s_and_saveexec_b64 s[8:9], vcc
	s_cbranch_execz .LBB63_115
; %bb.110:                              ;   in Loop: Header=BB63_59 Depth=1
	v_cmp_lt_u32_e32 vcc, s22, v15
                                        ; implicit-def: $vgpr12
	s_and_saveexec_b64 s[10:11], vcc
	s_xor_b64 s[10:11], exec, s[10:11]
; %bb.111:                              ;   in Loop: Header=BB63_59 Depth=1
	v_bfe_u32 v12, v13, 20, 1
	v_add3_u32 v12, v13, v12, s23
	v_lshrrev_b32_e32 v12, 20, v12
; %bb.112:                              ;   in Loop: Header=BB63_59 Depth=1
	s_andn2_saveexec_b64 s[10:11], s[10:11]
; %bb.113:                              ;   in Loop: Header=BB63_59 Depth=1
	v_add_f32_e64 v12, |v13|, s24
; %bb.114:                              ;   in Loop: Header=BB63_59 Depth=1
	s_or_b64 exec, exec, s[10:11]
.LBB63_115:                             ;   in Loop: Header=BB63_59 Depth=1
	s_or_b64 exec, exec, s[8:9]
	v_fma_mixlo_f16 v6, v36, v6, 0 op_sel:[0,1,0] op_sel_hi:[0,1,0]
	v_mul_f16_sdwa v6, v8, v6 dst_sel:DWORD dst_unused:UNUSED_PAD src0_sel:WORD_1 src1_sel:DWORD
	v_cvt_f32_f16_e32 v6, v6
	v_div_scale_f32 v8, s[8:9], v14, v14, v6
	v_rcp_f32_e32 v15, v8
	v_div_scale_f32 v16, vcc, v6, v14, v6
	v_fma_f32 v17, -v8, v15, 1.0
	v_fmac_f32_e32 v15, v17, v15
	v_mul_f32_e32 v17, v16, v15
	v_fma_f32 v18, -v8, v17, v16
	v_fmac_f32_e32 v17, v18, v15
	v_fma_f32 v8, -v8, v17, v16
	v_div_fmas_f32 v8, v8, v15, v17
	v_div_fixup_f32 v6, v8, v14, v6
	v_min_f32_e32 v6, 0x43e00000, v6
	v_max_f32_e32 v6, 0xc3e00000, v6
	v_and_b32_e32 v8, 0x7fffffff, v6
	v_cmp_gt_u32_e32 vcc, s21, v8
	s_and_saveexec_b64 s[8:9], vcc
	s_cbranch_execz .LBB63_121
; %bb.116:                              ;   in Loop: Header=BB63_59 Depth=1
	v_cmp_lt_u32_e32 vcc, s22, v8
                                        ; implicit-def: $vgpr3
	s_and_saveexec_b64 s[10:11], vcc
	s_xor_b64 s[10:11], exec, s[10:11]
; %bb.117:                              ;   in Loop: Header=BB63_59 Depth=1
	v_bfe_u32 v3, v6, 20, 1
	v_add3_u32 v3, v6, v3, s23
	v_lshrrev_b32_e32 v3, 20, v3
; %bb.118:                              ;   in Loop: Header=BB63_59 Depth=1
	s_andn2_saveexec_b64 s[10:11], s[10:11]
; %bb.119:                              ;   in Loop: Header=BB63_59 Depth=1
	v_add_f32_e64 v3, |v6|, s24
; %bb.120:                              ;   in Loop: Header=BB63_59 Depth=1
	s_or_b64 exec, exec, s[10:11]
.LBB63_121:                             ;   in Loop: Header=BB63_59 Depth=1
	s_or_b64 exec, exec, s[8:9]
	v_fma_mixlo_f16 v8, v36, v7, 0 op_sel_hi:[0,1,0]
	v_mul_f16_e32 v8, v9, v8
	v_cvt_f32_f16_e32 v15, v8
	v_mov_b32_e32 v8, 0x7f
	v_div_scale_f32 v16, s[8:9], v14, v14, v15
	v_rcp_f32_e32 v17, v16
	v_div_scale_f32 v18, vcc, v15, v14, v15
	v_fma_f32 v19, -v16, v17, 1.0
	v_fmac_f32_e32 v17, v19, v17
	v_mul_f32_e32 v19, v18, v17
	v_fma_f32 v20, -v16, v19, v18
	v_fmac_f32_e32 v19, v20, v17
	v_fma_f32 v16, -v16, v19, v18
	v_div_fmas_f32 v16, v16, v17, v19
	v_div_fixup_f32 v15, v16, v14, v15
	v_min_f32_e32 v15, 0x43e00000, v15
	v_max_f32_e32 v16, 0xc3e00000, v15
	v_and_b32_e32 v17, 0x7fffffff, v16
	v_cmp_gt_u32_e32 vcc, s21, v17
	v_mov_b32_e32 v15, 0x7f
	s_and_saveexec_b64 s[8:9], vcc
	s_cbranch_execz .LBB63_127
; %bb.122:                              ;   in Loop: Header=BB63_59 Depth=1
	v_cmp_lt_u32_e32 vcc, s22, v17
                                        ; implicit-def: $vgpr15
	s_and_saveexec_b64 s[10:11], vcc
	s_xor_b64 s[10:11], exec, s[10:11]
; %bb.123:                              ;   in Loop: Header=BB63_59 Depth=1
	v_bfe_u32 v15, v16, 20, 1
	v_add3_u32 v15, v16, v15, s23
	v_lshrrev_b32_e32 v15, 20, v15
; %bb.124:                              ;   in Loop: Header=BB63_59 Depth=1
	s_andn2_saveexec_b64 s[10:11], s[10:11]
; %bb.125:                              ;   in Loop: Header=BB63_59 Depth=1
	v_add_f32_e64 v15, |v16|, s24
; %bb.126:                              ;   in Loop: Header=BB63_59 Depth=1
	s_or_b64 exec, exec, s[10:11]
.LBB63_127:                             ;   in Loop: Header=BB63_59 Depth=1
	s_or_b64 exec, exec, s[8:9]
	v_fma_mixlo_f16 v7, v36, v7, 0 op_sel:[0,1,0] op_sel_hi:[0,1,0]
	v_mul_f16_sdwa v7, v9, v7 dst_sel:DWORD dst_unused:UNUSED_PAD src0_sel:WORD_1 src1_sel:DWORD
	v_cvt_f32_f16_e32 v7, v7
	v_div_scale_f32 v9, s[8:9], v14, v14, v7
	v_rcp_f32_e32 v17, v9
	v_div_scale_f32 v18, vcc, v7, v14, v7
	v_fma_f32 v19, -v9, v17, 1.0
	v_fmac_f32_e32 v17, v19, v17
	v_mul_f32_e32 v19, v18, v17
	v_fma_f32 v20, -v9, v19, v18
	v_fmac_f32_e32 v19, v20, v17
	v_fma_f32 v9, -v9, v19, v18
	v_div_fmas_f32 v9, v9, v17, v19
	v_div_fixup_f32 v7, v9, v14, v7
	v_min_f32_e32 v7, 0x43e00000, v7
	v_max_f32_e32 v7, 0xc3e00000, v7
	v_and_b32_e32 v9, 0x7fffffff, v7
	v_cmp_gt_u32_e32 vcc, s21, v9
	s_and_saveexec_b64 s[8:9], vcc
	s_cbranch_execz .LBB63_133
; %bb.128:                              ;   in Loop: Header=BB63_59 Depth=1
	v_cmp_lt_u32_e32 vcc, s22, v9
                                        ; implicit-def: $vgpr8
	s_and_saveexec_b64 s[10:11], vcc
	s_xor_b64 s[10:11], exec, s[10:11]
; %bb.129:                              ;   in Loop: Header=BB63_59 Depth=1
	v_bfe_u32 v8, v7, 20, 1
	v_add3_u32 v8, v7, v8, s23
	v_lshrrev_b32_e32 v8, 20, v8
; %bb.130:                              ;   in Loop: Header=BB63_59 Depth=1
	s_andn2_saveexec_b64 s[10:11], s[10:11]
; %bb.131:                              ;   in Loop: Header=BB63_59 Depth=1
	v_add_f32_e64 v8, |v7|, s24
; %bb.132:                              ;   in Loop: Header=BB63_59 Depth=1
	s_or_b64 exec, exec, s[10:11]
.LBB63_133:                             ;   in Loop: Header=BB63_59 Depth=1
	s_or_b64 exec, exec, s[8:9]
	v_and_b32_sdwa v9, v16, s25 dst_sel:DWORD dst_unused:UNUSED_PAD src0_sel:BYTE_3 src1_sel:DWORD
	v_and_b32_sdwa v6, v6, s25 dst_sel:DWORD dst_unused:UNUSED_PAD src0_sel:BYTE_3 src1_sel:DWORD
	v_lshlrev_b64 v[4:5], 2, v[4:5]
	v_and_or_b32 v9, v15, s26, v9
	v_lshrrev_b32_e32 v13, 24, v13
	v_mov_b32_e32 v14, s18
	v_add_co_u32_e32 v4, vcc, s13, v4
	v_lshlrev_b32_e32 v8, 24, v8
	v_and_b32_e32 v7, 0x80000000, v7
	v_lshlrev_b32_e32 v9, 16, v9
	v_and_or_b32 v3, v3, s26, v6
	v_and_b32_e32 v6, 0xff, v12
	v_addc_co_u32_e32 v5, vcc, v14, v5, vcc
	v_or3_b32 v7, v7, v8, v9
	v_lshlrev_b32_e32 v3, 8, v3
	v_and_or_b32 v6, v13, s25, v6
	v_add_u32_e32 v0, s19, v0
	v_or3_b32 v3, v7, v3, v6
	v_cmp_gt_u32_e32 vcc, s12, v0
	s_mov_b64 s[10:11], -1
	global_store_dword v[4:5], v3, off
	s_and_saveexec_b64 s[8:9], vcc
	s_cbranch_execz .LBB63_56
; %bb.134:                              ;   in Loop: Header=BB63_59 Depth=1
	v_lshlrev_b64 v[6:7], 3, v[0:1]
	v_mov_b32_e32 v3, s44
	v_add_co_u32_e32 v4, vcc, s33, v6
	v_addc_co_u32_e32 v5, vcc, v3, v7, vcc
	v_mov_b32_e32 v3, s15
	v_add_co_u32_e32 v6, vcc, s14, v6
	global_load_dwordx2 v[4:5], v[4:5], off
	v_addc_co_u32_e32 v7, vcc, v3, v7, vcc
	global_load_dwordx2 v[6:7], v[6:7], off
	v_lshrrev_b32_e32 v3, 2, v0
	v_and_b32_e32 v3, 0xffffffc, v3
	global_load_dword v12, v3, s[0:1]
	s_waitcnt vmcnt(2)
	v_fma_mixlo_f16 v3, v36, v4, 0 op_sel_hi:[0,1,0]
	s_waitcnt vmcnt(1)
	v_mul_f16_e32 v3, v6, v3
	v_cvt_f32_f16_e32 v8, v3
	v_mov_b32_e32 v3, 0x7f
	s_waitcnt vmcnt(0)
	v_div_scale_f32 v9, s[10:11], v12, v12, v8
	v_rcp_f32_e32 v13, v9
	v_div_scale_f32 v14, vcc, v8, v12, v8
	v_fma_f32 v15, -v9, v13, 1.0
	v_fmac_f32_e32 v13, v15, v13
	v_mul_f32_e32 v15, v14, v13
	v_fma_f32 v16, -v9, v15, v14
	v_fmac_f32_e32 v15, v16, v13
	v_fma_f32 v9, -v9, v15, v14
	v_div_fmas_f32 v9, v9, v13, v15
	v_div_fixup_f32 v8, v9, v12, v8
	v_min_f32_e32 v8, 0x43e00000, v8
	v_max_f32_e32 v9, 0xc3e00000, v8
	v_and_b32_e32 v13, 0x7fffffff, v9
	v_cmp_gt_u32_e32 vcc, s21, v13
	v_mov_b32_e32 v8, 0x7f
	s_and_saveexec_b64 s[10:11], vcc
	s_cbranch_execz .LBB63_140
; %bb.135:                              ;   in Loop: Header=BB63_59 Depth=1
	v_cmp_lt_u32_e32 vcc, s22, v13
                                        ; implicit-def: $vgpr8
	s_and_saveexec_b64 s[16:17], vcc
	s_xor_b64 s[16:17], exec, s[16:17]
; %bb.136:                              ;   in Loop: Header=BB63_59 Depth=1
	v_bfe_u32 v8, v9, 20, 1
	v_add3_u32 v8, v9, v8, s23
	v_lshrrev_b32_e32 v8, 20, v8
; %bb.137:                              ;   in Loop: Header=BB63_59 Depth=1
	s_andn2_saveexec_b64 s[16:17], s[16:17]
; %bb.138:                              ;   in Loop: Header=BB63_59 Depth=1
	v_add_f32_e64 v8, |v9|, s24
; %bb.139:                              ;   in Loop: Header=BB63_59 Depth=1
	s_or_b64 exec, exec, s[16:17]
.LBB63_140:                             ;   in Loop: Header=BB63_59 Depth=1
	s_or_b64 exec, exec, s[10:11]
	v_fma_mixlo_f16 v4, v36, v4, 0 op_sel:[0,1,0] op_sel_hi:[0,1,0]
	v_mul_f16_sdwa v4, v6, v4 dst_sel:DWORD dst_unused:UNUSED_PAD src0_sel:WORD_1 src1_sel:DWORD
	v_cvt_f32_f16_e32 v4, v4
	v_div_scale_f32 v6, s[10:11], v12, v12, v4
	v_rcp_f32_e32 v13, v6
	v_div_scale_f32 v14, vcc, v4, v12, v4
	v_fma_f32 v15, -v6, v13, 1.0
	v_fmac_f32_e32 v13, v15, v13
	v_mul_f32_e32 v15, v14, v13
	v_fma_f32 v16, -v6, v15, v14
	v_fmac_f32_e32 v15, v16, v13
	v_fma_f32 v6, -v6, v15, v14
	v_div_fmas_f32 v6, v6, v13, v15
	v_div_fixup_f32 v4, v6, v12, v4
	v_min_f32_e32 v4, 0x43e00000, v4
	v_max_f32_e32 v4, 0xc3e00000, v4
	v_and_b32_e32 v6, 0x7fffffff, v4
	v_cmp_gt_u32_e32 vcc, s21, v6
	s_and_saveexec_b64 s[10:11], vcc
	s_cbranch_execz .LBB63_146
; %bb.141:                              ;   in Loop: Header=BB63_59 Depth=1
	v_cmp_lt_u32_e32 vcc, s22, v6
                                        ; implicit-def: $vgpr3
	s_and_saveexec_b64 s[16:17], vcc
	s_xor_b64 s[16:17], exec, s[16:17]
; %bb.142:                              ;   in Loop: Header=BB63_59 Depth=1
	v_bfe_u32 v3, v4, 20, 1
	v_add3_u32 v3, v4, v3, s23
	v_lshrrev_b32_e32 v3, 20, v3
; %bb.143:                              ;   in Loop: Header=BB63_59 Depth=1
	s_andn2_saveexec_b64 s[16:17], s[16:17]
; %bb.144:                              ;   in Loop: Header=BB63_59 Depth=1
	v_add_f32_e64 v3, |v4|, s24
; %bb.145:                              ;   in Loop: Header=BB63_59 Depth=1
	s_or_b64 exec, exec, s[16:17]
.LBB63_146:                             ;   in Loop: Header=BB63_59 Depth=1
	s_or_b64 exec, exec, s[10:11]
	v_fma_mixlo_f16 v6, v36, v5, 0 op_sel_hi:[0,1,0]
	v_mul_f16_e32 v6, v7, v6
	v_cvt_f32_f16_e32 v13, v6
	v_mov_b32_e32 v6, 0x7f
	v_div_scale_f32 v14, s[10:11], v12, v12, v13
	v_rcp_f32_e32 v15, v14
	v_div_scale_f32 v16, vcc, v13, v12, v13
	v_fma_f32 v17, -v14, v15, 1.0
	v_fmac_f32_e32 v15, v17, v15
	v_mul_f32_e32 v17, v16, v15
	v_fma_f32 v18, -v14, v17, v16
	v_fmac_f32_e32 v17, v18, v15
	v_fma_f32 v14, -v14, v17, v16
	v_div_fmas_f32 v14, v14, v15, v17
	v_div_fixup_f32 v13, v14, v12, v13
	v_min_f32_e32 v13, 0x43e00000, v13
	v_max_f32_e32 v14, 0xc3e00000, v13
	v_and_b32_e32 v15, 0x7fffffff, v14
	v_cmp_gt_u32_e32 vcc, s21, v15
	v_mov_b32_e32 v13, 0x7f
	s_and_saveexec_b64 s[10:11], vcc
	s_cbranch_execz .LBB63_152
; %bb.147:                              ;   in Loop: Header=BB63_59 Depth=1
	v_cmp_lt_u32_e32 vcc, s22, v15
                                        ; implicit-def: $vgpr13
	s_and_saveexec_b64 s[16:17], vcc
	s_xor_b64 s[16:17], exec, s[16:17]
; %bb.148:                              ;   in Loop: Header=BB63_59 Depth=1
	v_bfe_u32 v13, v14, 20, 1
	v_add3_u32 v13, v14, v13, s23
	v_lshrrev_b32_e32 v13, 20, v13
; %bb.149:                              ;   in Loop: Header=BB63_59 Depth=1
	s_andn2_saveexec_b64 s[16:17], s[16:17]
; %bb.150:                              ;   in Loop: Header=BB63_59 Depth=1
	v_add_f32_e64 v13, |v14|, s24
; %bb.151:                              ;   in Loop: Header=BB63_59 Depth=1
	s_or_b64 exec, exec, s[16:17]
.LBB63_152:                             ;   in Loop: Header=BB63_59 Depth=1
	s_or_b64 exec, exec, s[10:11]
	v_fma_mixlo_f16 v5, v36, v5, 0 op_sel:[0,1,0] op_sel_hi:[0,1,0]
	v_mul_f16_sdwa v5, v7, v5 dst_sel:DWORD dst_unused:UNUSED_PAD src0_sel:WORD_1 src1_sel:DWORD
	v_cvt_f32_f16_e32 v5, v5
	v_div_scale_f32 v7, s[10:11], v12, v12, v5
	v_rcp_f32_e32 v15, v7
	v_div_scale_f32 v16, vcc, v5, v12, v5
	v_fma_f32 v17, -v7, v15, 1.0
	v_fmac_f32_e32 v15, v17, v15
	v_mul_f32_e32 v17, v16, v15
	v_fma_f32 v18, -v7, v17, v16
	v_fmac_f32_e32 v17, v18, v15
	v_fma_f32 v7, -v7, v17, v16
	v_div_fmas_f32 v7, v7, v15, v17
	v_div_fixup_f32 v5, v7, v12, v5
	v_min_f32_e32 v5, 0x43e00000, v5
	v_max_f32_e32 v5, 0xc3e00000, v5
	v_and_b32_e32 v7, 0x7fffffff, v5
	v_cmp_gt_u32_e32 vcc, s21, v7
	s_and_saveexec_b64 s[10:11], vcc
	s_cbranch_execz .LBB63_55
; %bb.153:                              ;   in Loop: Header=BB63_59 Depth=1
	v_cmp_lt_u32_e32 vcc, s22, v7
                                        ; implicit-def: $vgpr6
	s_and_saveexec_b64 s[16:17], vcc
	s_xor_b64 s[16:17], exec, s[16:17]
; %bb.154:                              ;   in Loop: Header=BB63_59 Depth=1
	v_bfe_u32 v6, v5, 20, 1
	v_add3_u32 v6, v5, v6, s23
	v_lshrrev_b32_e32 v6, 20, v6
; %bb.155:                              ;   in Loop: Header=BB63_59 Depth=1
	s_andn2_saveexec_b64 s[16:17], s[16:17]
	s_cbranch_execz .LBB63_54
; %bb.156:                              ;   in Loop: Header=BB63_59 Depth=1
	v_add_f32_e64 v6, |v5|, s24
	s_branch .LBB63_54
.LBB63_157:
	s_endpgm
	.section	.rodata,"a",@progbits
	.p2align	6, 0x0
	.amdhsa_kernel _ZN4vllm31rms_norm_per_block_quant_kernelIN3c104HalfENS1_13Float8_e4m3fnELb0ELb0ELi64EEEvPT0_PfPKT_S9_PKffiiPS7_l
		.amdhsa_group_segment_fixed_size 4164
		.amdhsa_private_segment_fixed_size 0
		.amdhsa_kernarg_size 328
		.amdhsa_user_sgpr_count 6
		.amdhsa_user_sgpr_private_segment_buffer 1
		.amdhsa_user_sgpr_dispatch_ptr 0
		.amdhsa_user_sgpr_queue_ptr 0
		.amdhsa_user_sgpr_kernarg_segment_ptr 1
		.amdhsa_user_sgpr_dispatch_id 0
		.amdhsa_user_sgpr_flat_scratch_init 0
		.amdhsa_user_sgpr_kernarg_preload_length 0
		.amdhsa_user_sgpr_kernarg_preload_offset 0
		.amdhsa_user_sgpr_private_segment_size 0
		.amdhsa_uses_dynamic_stack 0
		.amdhsa_system_sgpr_private_segment_wavefront_offset 0
		.amdhsa_system_sgpr_workgroup_id_x 1
		.amdhsa_system_sgpr_workgroup_id_y 0
		.amdhsa_system_sgpr_workgroup_id_z 0
		.amdhsa_system_sgpr_workgroup_info 0
		.amdhsa_system_vgpr_workitem_id 0
		.amdhsa_next_free_vgpr 40
		.amdhsa_next_free_sgpr 46
		.amdhsa_accum_offset 40
		.amdhsa_reserve_vcc 1
		.amdhsa_reserve_flat_scratch 0
		.amdhsa_float_round_mode_32 0
		.amdhsa_float_round_mode_16_64 0
		.amdhsa_float_denorm_mode_32 3
		.amdhsa_float_denorm_mode_16_64 3
		.amdhsa_dx10_clamp 1
		.amdhsa_ieee_mode 1
		.amdhsa_fp16_overflow 0
		.amdhsa_tg_split 0
		.amdhsa_exception_fp_ieee_invalid_op 0
		.amdhsa_exception_fp_denorm_src 0
		.amdhsa_exception_fp_ieee_div_zero 0
		.amdhsa_exception_fp_ieee_overflow 0
		.amdhsa_exception_fp_ieee_underflow 0
		.amdhsa_exception_fp_ieee_inexact 0
		.amdhsa_exception_int_div_zero 0
	.end_amdhsa_kernel
	.section	.text._ZN4vllm31rms_norm_per_block_quant_kernelIN3c104HalfENS1_13Float8_e4m3fnELb0ELb0ELi64EEEvPT0_PfPKT_S9_PKffiiPS7_l,"axG",@progbits,_ZN4vllm31rms_norm_per_block_quant_kernelIN3c104HalfENS1_13Float8_e4m3fnELb0ELb0ELi64EEEvPT0_PfPKT_S9_PKffiiPS7_l,comdat
.Lfunc_end63:
	.size	_ZN4vllm31rms_norm_per_block_quant_kernelIN3c104HalfENS1_13Float8_e4m3fnELb0ELb0ELi64EEEvPT0_PfPKT_S9_PKffiiPS7_l, .Lfunc_end63-_ZN4vllm31rms_norm_per_block_quant_kernelIN3c104HalfENS1_13Float8_e4m3fnELb0ELb0ELi64EEEvPT0_PfPKT_S9_PKffiiPS7_l
                                        ; -- End function
	.section	.AMDGPU.csdata,"",@progbits
; Kernel info:
; codeLenInByte = 7908
; NumSgprs: 50
; NumVgprs: 40
; NumAgprs: 0
; TotalNumVgprs: 40
; ScratchSize: 0
; MemoryBound: 0
; FloatMode: 240
; IeeeMode: 1
; LDSByteSize: 4164 bytes/workgroup (compile time only)
; SGPRBlocks: 6
; VGPRBlocks: 4
; NumSGPRsForWavesPerEU: 50
; NumVGPRsForWavesPerEU: 40
; AccumOffset: 40
; Occupancy: 8
; WaveLimiterHint : 0
; COMPUTE_PGM_RSRC2:SCRATCH_EN: 0
; COMPUTE_PGM_RSRC2:USER_SGPR: 6
; COMPUTE_PGM_RSRC2:TRAP_HANDLER: 0
; COMPUTE_PGM_RSRC2:TGID_X_EN: 1
; COMPUTE_PGM_RSRC2:TGID_Y_EN: 0
; COMPUTE_PGM_RSRC2:TGID_Z_EN: 0
; COMPUTE_PGM_RSRC2:TIDIG_COMP_CNT: 0
; COMPUTE_PGM_RSRC3_GFX90A:ACCUM_OFFSET: 9
; COMPUTE_PGM_RSRC3_GFX90A:TG_SPLIT: 0
	.section	.text._ZN4vllm31rms_norm_per_block_quant_kernelIN3c104HalfENS1_15Float8_e4m3fnuzELb0ELb0ELi64EEEvPT0_PfPKT_S9_PKffiiPS7_l,"axG",@progbits,_ZN4vllm31rms_norm_per_block_quant_kernelIN3c104HalfENS1_15Float8_e4m3fnuzELb0ELb0ELi64EEEvPT0_PfPKT_S9_PKffiiPS7_l,comdat
	.protected	_ZN4vllm31rms_norm_per_block_quant_kernelIN3c104HalfENS1_15Float8_e4m3fnuzELb0ELb0ELi64EEEvPT0_PfPKT_S9_PKffiiPS7_l ; -- Begin function _ZN4vllm31rms_norm_per_block_quant_kernelIN3c104HalfENS1_15Float8_e4m3fnuzELb0ELb0ELi64EEEvPT0_PfPKT_S9_PKffiiPS7_l
	.globl	_ZN4vllm31rms_norm_per_block_quant_kernelIN3c104HalfENS1_15Float8_e4m3fnuzELb0ELb0ELi64EEEvPT0_PfPKT_S9_PKffiiPS7_l
	.p2align	8
	.type	_ZN4vllm31rms_norm_per_block_quant_kernelIN3c104HalfENS1_15Float8_e4m3fnuzELb0ELb0ELi64EEEvPT0_PfPKT_S9_PKffiiPS7_l,@function
_ZN4vllm31rms_norm_per_block_quant_kernelIN3c104HalfENS1_15Float8_e4m3fnuzELb0ELb0ELi64EEEvPT0_PfPKT_S9_PKffiiPS7_l: ; @_ZN4vllm31rms_norm_per_block_quant_kernelIN3c104HalfENS1_15Float8_e4m3fnuzELb0ELb0ELi64EEEvPT0_PfPKT_S9_PKffiiPS7_l
; %bb.0:
	s_load_dwordx4 s[16:19], s[4:5], 0x28
	s_load_dwordx8 s[8:15], s[4:5], 0x0
	v_mov_b32_e32 v1, 0
	s_waitcnt lgkmcnt(0)
	s_ashr_i32 s0, s18, 31
	s_mul_hi_u32 s1, s18, s6
	s_mul_i32 s0, s0, s6
	s_add_i32 s1, s1, s0
	s_mul_i32 s0, s18, s6
	s_lshl_b64 s[0:1], s[0:1], 1
	s_add_u32 s33, s12, s0
	s_addc_u32 s44, s13, s1
	s_ashr_i32 s12, s17, 2
	s_add_u32 s2, s4, 0x48
	s_mov_b32 s20, s17
	v_cmp_gt_u32_e64 s[0:1], s12, v0
	s_addc_u32 s3, s5, 0
	s_and_saveexec_b64 s[18:19], s[0:1]
	s_cbranch_execz .LBB64_10
; %bb.1:
	s_load_dword s7, s[2:3], 0x0
	v_mov_b32_e32 v3, 0
	v_mov_b32_e32 v9, s44
	;; [unrolled: 1-line block ×3, first 2 shown]
                                        ; implicit-def: $sgpr24_sgpr25
	s_waitcnt lgkmcnt(0)
	s_cmp_lt_u32 s6, s7
	s_cselect_b32 s7, 12, 18
	s_add_u32 s22, s2, s7
	s_addc_u32 s23, s3, 0
	global_load_ushort v8, v3, s[22:23]
	s_mov_b64 s[22:23], 0
	s_waitcnt vmcnt(0)
	v_add_u32_e32 v1, v8, v8
	v_mul_lo_u32 v10, v8, 3
	v_lshlrev_b32_e32 v11, 1, v8
	v_add_u32_e32 v12, v1, v8
	v_mov_b32_e32 v1, v3
	s_branch .LBB64_5
.LBB64_2:                               ;   in Loop: Header=BB64_5 Depth=1
	s_or_b64 exec, exec, s[30:31]
	s_orn2_b64 s[30:31], s[34:35], exec
.LBB64_3:                               ;   in Loop: Header=BB64_5 Depth=1
	s_or_b64 exec, exec, s[28:29]
	s_andn2_b64 s[24:25], s[24:25], exec
	s_and_b64 s[28:29], s[30:31], exec
	s_or_b64 s[24:25], s[24:25], s[28:29]
.LBB64_4:                               ;   in Loop: Header=BB64_5 Depth=1
	s_or_b64 exec, exec, s[26:27]
	s_and_b64 s[26:27], exec, s[24:25]
	s_or_b64 s[22:23], s[26:27], s[22:23]
	s_andn2_b64 exec, exec, s[22:23]
	s_cbranch_execz .LBB64_9
.LBB64_5:                               ; =>This Inner Loop Header: Depth=1
	v_lshlrev_b64 v[4:5], 3, v[2:3]
	v_add_co_u32_e32 v4, vcc, s33, v4
	v_addc_co_u32_e32 v5, vcc, v9, v5, vcc
	global_load_dwordx2 v[6:7], v[4:5], off
	v_add_u32_e32 v4, v2, v8
	v_cmp_gt_u32_e32 vcc, s12, v4
	s_or_b64 s[24:25], s[24:25], exec
	s_waitcnt vmcnt(0)
	v_fma_mix_f32 v1, v6, v6, v1 op_sel_hi:[1,1,0]
	v_fma_mix_f32 v1, v6, v6, v1 op_sel:[1,1,0] op_sel_hi:[1,1,0]
	v_fma_mix_f32 v1, v7, v7, v1 op_sel_hi:[1,1,0]
	v_fma_mix_f32 v1, v7, v7, v1 op_sel:[1,1,0] op_sel_hi:[1,1,0]
	s_and_saveexec_b64 s[26:27], vcc
	s_cbranch_execz .LBB64_4
; %bb.6:                                ;   in Loop: Header=BB64_5 Depth=1
	v_mov_b32_e32 v5, v3
	v_lshlrev_b64 v[6:7], 3, v[4:5]
	v_add_co_u32_e32 v6, vcc, s33, v6
	v_addc_co_u32_e32 v7, vcc, v9, v7, vcc
	global_load_dwordx2 v[14:15], v[6:7], off
	v_add_u32_e32 v6, v11, v2
	v_cmp_gt_u32_e32 vcc, s12, v6
	s_mov_b64 s[30:31], -1
	s_waitcnt vmcnt(0)
	v_fma_mix_f32 v1, v14, v14, v1 op_sel_hi:[1,1,0]
	v_fma_mix_f32 v1, v14, v14, v1 op_sel:[1,1,0] op_sel_hi:[1,1,0]
	v_fma_mix_f32 v1, v15, v15, v1 op_sel_hi:[1,1,0]
	v_fma_mix_f32 v1, v15, v15, v1 op_sel:[1,1,0] op_sel_hi:[1,1,0]
	s_and_saveexec_b64 s[28:29], vcc
	s_cbranch_execz .LBB64_3
; %bb.7:                                ;   in Loop: Header=BB64_5 Depth=1
	v_mov_b32_e32 v7, v3
	v_lshlrev_b64 v[6:7], 3, v[6:7]
	v_add_co_u32_e32 v6, vcc, s33, v6
	v_addc_co_u32_e32 v7, vcc, v9, v7, vcc
	global_load_dwordx2 v[6:7], v[6:7], off
	v_add_u32_e32 v2, v10, v2
	v_cmp_gt_u32_e32 vcc, s12, v2
	s_mov_b64 s[34:35], -1
	s_waitcnt vmcnt(0)
	v_fma_mix_f32 v1, v6, v6, v1 op_sel_hi:[1,1,0]
	v_fma_mix_f32 v1, v6, v6, v1 op_sel:[1,1,0] op_sel_hi:[1,1,0]
	v_fma_mix_f32 v1, v7, v7, v1 op_sel_hi:[1,1,0]
	v_fma_mix_f32 v1, v7, v7, v1 op_sel:[1,1,0] op_sel_hi:[1,1,0]
	s_and_saveexec_b64 s[30:31], vcc
	s_xor_b64 s[30:31], exec, s[30:31]
	s_cbranch_execz .LBB64_2
; %bb.8:                                ;   in Loop: Header=BB64_5 Depth=1
	v_lshlrev_b64 v[6:7], 3, v[2:3]
	v_add_co_u32_e32 v6, vcc, s33, v6
	v_addc_co_u32_e32 v7, vcc, v9, v7, vcc
	global_load_dwordx2 v[6:7], v[6:7], off
	v_add_u32_e32 v2, v12, v4
	v_cmp_le_u32_e32 vcc, s12, v2
	s_orn2_b64 s[34:35], vcc, exec
	s_waitcnt vmcnt(0)
	v_fma_mix_f32 v1, v6, v6, v1 op_sel_hi:[1,1,0]
	v_fma_mix_f32 v1, v6, v6, v1 op_sel:[1,1,0] op_sel_hi:[1,1,0]
	v_fma_mix_f32 v1, v7, v7, v1 op_sel_hi:[1,1,0]
	v_fma_mix_f32 v1, v7, v7, v1 op_sel:[1,1,0] op_sel_hi:[1,1,0]
	s_branch .LBB64_2
.LBB64_9:
	s_or_b64 exec, exec, s[22:23]
.LBB64_10:
	s_or_b64 exec, exec, s[18:19]
	v_mbcnt_lo_u32_b32 v2, -1, 0
	v_mbcnt_hi_u32_b32 v2, -1, v2
	v_and_b32_e32 v3, 63, v2
	v_cmp_ne_u32_e32 vcc, 63, v3
	s_load_dword s2, s[2:3], 0xc
	v_addc_co_u32_e32 v4, vcc, 0, v2, vcc
	v_lshlrev_b32_e32 v4, 2, v4
	ds_bpermute_b32 v4, v4, v1
	s_waitcnt lgkmcnt(0)
	s_and_b32 s45, s2, 0xffff
	v_and_b32_e32 v5, 0x3c0, v0
	v_sub_u32_e64 v5, s45, v5 clamp
	v_add_u32_e32 v6, 1, v2
	v_add_f32_e32 v4, v1, v4
	v_cmp_lt_u32_e32 vcc, v6, v5
	v_cndmask_b32_e32 v1, v1, v4, vcc
	v_cmp_gt_u32_e32 vcc, 62, v3
	v_cndmask_b32_e64 v4, 0, 1, vcc
	v_lshlrev_b32_e32 v4, 1, v4
	v_add_lshl_u32 v4, v4, v2, 2
	ds_bpermute_b32 v4, v4, v1
	v_add_u32_e32 v6, 2, v2
	v_cmp_lt_u32_e32 vcc, v6, v5
	v_add_u32_e32 v6, 4, v2
	s_waitcnt lgkmcnt(0)
	v_add_f32_e32 v4, v1, v4
	v_cndmask_b32_e32 v1, v1, v4, vcc
	v_cmp_gt_u32_e32 vcc, 60, v3
	v_cndmask_b32_e64 v4, 0, 1, vcc
	v_lshlrev_b32_e32 v4, 2, v4
	v_add_lshl_u32 v4, v4, v2, 2
	ds_bpermute_b32 v4, v4, v1
	v_cmp_lt_u32_e32 vcc, v6, v5
	v_add_u32_e32 v6, 8, v2
	s_waitcnt lgkmcnt(0)
	v_add_f32_e32 v4, v1, v4
	v_cndmask_b32_e32 v1, v1, v4, vcc
	v_cmp_gt_u32_e32 vcc, 56, v3
	v_cndmask_b32_e64 v4, 0, 1, vcc
	v_lshlrev_b32_e32 v4, 3, v4
	v_add_lshl_u32 v4, v4, v2, 2
	ds_bpermute_b32 v4, v4, v1
	;; [unrolled: 10-line block ×3, first 2 shown]
	v_cmp_lt_u32_e32 vcc, v6, v5
	s_waitcnt lgkmcnt(0)
	v_add_f32_e32 v4, v1, v4
	v_cndmask_b32_e32 v1, v1, v4, vcc
	v_cmp_gt_u32_e32 vcc, 32, v3
	v_cndmask_b32_e64 v3, 0, 1, vcc
	v_lshlrev_b32_e32 v3, 5, v3
	v_add_lshl_u32 v3, v3, v2, 2
	ds_bpermute_b32 v3, v3, v1
	v_add_u32_e32 v4, 32, v2
	v_cmp_lt_u32_e32 vcc, v4, v5
	s_waitcnt lgkmcnt(0)
	v_add_f32_e32 v3, v1, v3
	v_cndmask_b32_e32 v1, v1, v3, vcc
	v_cmp_eq_u32_e32 vcc, 0, v2
	s_and_saveexec_b64 s[2:3], vcc
	s_cbranch_execz .LBB64_12
; %bb.11:
	v_lshrrev_b32_e32 v3, 4, v0
	v_and_b32_e32 v3, 60, v3
	ds_write_b32 v3, v1 offset:4096
.LBB64_12:
	s_or_b64 exec, exec, s[2:3]
	v_cmp_gt_u32_e32 vcc, 16, v0
	s_waitcnt lgkmcnt(0)
	s_barrier
	s_and_saveexec_b64 s[18:19], vcc
	s_cbranch_execz .LBB64_14
; %bb.13:
	v_lshlrev_b32_e32 v1, 2, v2
	ds_read_b32 v1, v1 offset:4096
	v_and_b32_e32 v3, 15, v2
	v_cmp_ne_u32_e32 vcc, 15, v3
	v_addc_co_u32_e32 v4, vcc, 0, v2, vcc
	v_lshlrev_b32_e32 v4, 2, v4
	s_waitcnt lgkmcnt(0)
	ds_bpermute_b32 v4, v4, v1
	s_add_i32 s2, s45, 63
	s_lshr_b32 s7, s2, 6
	v_add_u32_e32 v5, 1, v3
	v_cmp_gt_u32_e64 s[2:3], 14, v3
	v_cmp_gt_u32_e32 vcc, s7, v5
	v_cndmask_b32_e64 v5, 0, 1, s[2:3]
	s_waitcnt lgkmcnt(0)
	v_add_f32_e32 v4, v1, v4
	v_lshlrev_b32_e32 v5, 1, v5
	v_cndmask_b32_e32 v4, v1, v4, vcc
	v_add_lshl_u32 v5, v5, v2, 2
	ds_bpermute_b32 v5, v5, v4
	v_add_u32_e32 v6, 2, v3
	v_cmp_gt_u32_e64 s[2:3], s7, v6
	v_add_u32_e32 v6, 4, v3
	s_waitcnt lgkmcnt(0)
	v_add_f32_e32 v5, v4, v5
	v_cndmask_b32_e64 v4, v4, v5, s[2:3]
	v_cmp_gt_u32_e64 s[2:3], 12, v3
	v_cndmask_b32_e64 v5, 0, 1, s[2:3]
	v_lshlrev_b32_e32 v5, 2, v5
	v_add_lshl_u32 v5, v5, v2, 2
	ds_bpermute_b32 v5, v5, v4
	v_cmp_gt_u32_e64 s[2:3], s7, v6
	s_waitcnt lgkmcnt(0)
	v_add_f32_e32 v5, v4, v5
	v_cndmask_b32_e64 v4, v4, v5, s[2:3]
	v_cmp_gt_u32_e64 s[2:3], 8, v3
	v_cndmask_b32_e64 v5, 0, 1, s[2:3]
	v_lshlrev_b32_e32 v5, 3, v5
	v_add_lshl_u32 v2, v5, v2, 2
	ds_bpermute_b32 v2, v2, v4
	v_add_u32_e32 v3, 8, v3
	v_cmp_gt_u32_e64 s[2:3], s7, v3
	s_waitcnt lgkmcnt(0)
	v_add_f32_e32 v2, v4, v2
	v_cndmask_b32_e64 v2, v4, v2, s[2:3]
	v_cndmask_b32_e32 v1, v1, v2, vcc
.LBB64_14:
	s_or_b64 exec, exec, s[18:19]
	v_cmp_eq_u32_e32 vcc, 0, v0
	s_and_saveexec_b64 s[2:3], vcc
	s_cbranch_execz .LBB64_16
; %bb.15:
	v_cvt_f32_i32_e32 v2, s17
	s_mov_b32 s7, 0x800000
	v_div_scale_f32 v3, s[18:19], v2, v2, v1
	v_rcp_f32_e32 v4, v3
	v_div_scale_f32 v5, vcc, v1, v2, v1
	v_fma_f32 v6, -v3, v4, 1.0
	v_fmac_f32_e32 v4, v6, v4
	v_mul_f32_e32 v6, v5, v4
	v_fma_f32 v7, -v3, v6, v5
	v_fmac_f32_e32 v6, v7, v4
	v_fma_f32 v3, -v3, v6, v5
	v_div_fmas_f32 v3, v3, v4, v6
	v_div_fixup_f32 v1, v3, v2, v1
	v_add_f32_e32 v1, s16, v1
	v_mul_f32_e32 v2, 0x4b800000, v1
	v_cmp_gt_f32_e32 vcc, s7, v1
	v_cndmask_b32_e32 v1, v1, v2, vcc
	v_rsq_f32_e32 v1, v1
	v_mul_f32_e32 v2, 0x45800000, v1
	v_cndmask_b32_e32 v1, v1, v2, vcc
	v_mov_b32_e32 v2, 0
	ds_write_b32 v2, v1 offset:4160
.LBB64_16:
	s_or_b64 exec, exec, s[2:3]
	s_ashr_i32 s21, s17, 31
	s_lshr_b32 s2, s21, 26
	s_add_i32 s2, s17, s2
	s_ashr_i32 s18, s2, 6
	s_abs_i32 s3, s18
	v_cvt_f32_u32_e32 v1, s3
	s_sub_i32 s7, 0, s3
	s_ashr_i32 s2, s2, 31
	v_mov_b32_e32 v5, 0
	v_rcp_iflag_f32_e32 v1, v1
	s_waitcnt lgkmcnt(0)
	s_barrier
	v_mul_f32_e32 v1, 0x4f7ffffe, v1
	v_cvt_u32_f32_e32 v1, v1
	ds_read_b32 v36, v5 offset:4160
	v_readfirstlane_b32 s13, v1
	s_mul_i32 s7, s7, s13
	s_mul_hi_u32 s7, s13, s7
	s_add_i32 s13, s13, s7
	s_mul_hi_u32 s7, s45, s13
	s_mul_i32 s13, s7, s3
	s_sub_i32 s13, s45, s13
	s_add_i32 s16, s7, 1
	s_sub_i32 s19, s13, s3
	s_cmp_ge_u32 s13, s3
	s_cselect_b32 s7, s16, s7
	s_cselect_b32 s13, s19, s13
	s_add_i32 s16, s7, 1
	s_cmp_ge_u32 s13, s3
	s_cselect_b32 s3, s16, s7
	s_xor_b32 s3, s3, s2
	s_sub_i32 s2, s3, s2
	s_abs_i32 s7, s2
	v_cvt_f32_u32_e32 v1, s7
	s_sub_i32 s13, 0, s7
	s_ashr_i32 s3, s2, 31
	v_rcp_iflag_f32_e32 v1, v1
	v_mul_f32_e32 v1, 0x4f7ffffe, v1
	v_cvt_u32_f32_e32 v1, v1
	v_mul_lo_u32 v2, s13, v1
	v_mul_hi_u32 v2, v1, v2
	v_add_u32_e32 v1, v1, v2
	v_mul_hi_u32 v1, v0, v1
	v_mul_lo_u32 v2, v1, s7
	v_sub_u32_e32 v2, v0, v2
	v_add_u32_e32 v3, 1, v1
	v_cmp_le_u32_e32 vcc, s7, v2
	v_cndmask_b32_e32 v1, v1, v3, vcc
	v_subrev_u32_e32 v3, s7, v2
	v_cndmask_b32_e32 v2, v2, v3, vcc
	v_add_u32_e32 v3, 1, v1
	v_cmp_le_u32_e32 vcc, s7, v2
	v_cndmask_b32_e32 v1, v1, v3, vcc
	v_xor_b32_e32 v1, s3, v1
	v_subrev_u32_e32 v2, s3, v1
	v_mul_lo_u32 v1, v2, s2
	v_ashrrev_i32_e32 v3, 31, v2
	v_sub_u32_e32 v4, v0, v1
	v_lshlrev_b64 v[8:9], 4, v[2:3]
	v_add_co_u32_e32 v6, vcc, v8, v4
	v_addc_co_u32_e32 v7, vcc, 0, v9, vcc
	v_add_co_u32_e32 v8, vcc, 16, v8
	v_addc_co_u32_e32 v9, vcc, 0, v9, vcc
	s_ashr_i32 s13, s12, 31
	v_mov_b32_e32 v1, s13
	v_cmp_gt_i64_e32 vcc, s[12:13], v[8:9]
	v_cndmask_b32_e32 v9, v1, v9, vcc
	v_mov_b32_e32 v1, s12
	v_cndmask_b32_e32 v8, v1, v8, vcc
	v_ashrrev_i32_e32 v11, 31, v8
	v_mov_b32_e32 v10, v8
	v_cmp_lt_i64_e32 vcc, v[6:7], v[10:11]
	s_and_saveexec_b64 s[22:23], vcc
	s_cbranch_execz .LBB64_26
; %bb.17:
	v_lshlrev_b64 v[12:13], 7, v[2:3]
	v_lshlrev_b64 v[14:15], 3, v[4:5]
	v_add_co_u32_e32 v12, vcc, v12, v14
	v_addc_co_u32_e32 v1, vcc, v13, v15, vcc
	s_lshl_b64 s[24:25], s[2:3], 5
	s_mul_hi_i32 s7, s2, 3
	s_mul_i32 s13, s2, 3
	s_lshl_b64 s[26:27], s[2:3], 1
	s_lshl_b64 s[30:31], s[2:3], 3
	s_mov_b64 s[28:29], 0
	v_mov_b32_e32 v5, 0
	v_mov_b32_e32 v13, s44
	;; [unrolled: 1-line block ×4, first 2 shown]
	v_pk_mov_b32 v[14:15], v[6:7], v[6:7] op_sel:[0,1]
                                        ; implicit-def: $sgpr34_sgpr35
	s_branch .LBB64_21
.LBB64_18:                              ;   in Loop: Header=BB64_21 Depth=1
	s_or_b64 exec, exec, s[40:41]
	s_orn2_b64 s[40:41], s[42:43], exec
.LBB64_19:                              ;   in Loop: Header=BB64_21 Depth=1
	s_or_b64 exec, exec, s[38:39]
	s_andn2_b64 s[34:35], s[34:35], exec
	s_and_b64 s[38:39], s[40:41], exec
	s_or_b64 s[34:35], s[34:35], s[38:39]
.LBB64_20:                              ;   in Loop: Header=BB64_21 Depth=1
	s_or_b64 exec, exec, s[36:37]
	s_and_b64 s[36:37], exec, s[34:35]
	s_or_b64 s[28:29], s[36:37], s[28:29]
	s_andn2_b64 exec, exec, s[28:29]
	s_cbranch_execz .LBB64_25
.LBB64_21:                              ; =>This Inner Loop Header: Depth=1
	v_add_co_u32_e32 v18, vcc, s33, v12
	v_addc_co_u32_e32 v19, vcc, v13, v1, vcc
	v_add_co_u32_e32 v20, vcc, s14, v12
	global_load_dwordx2 v[16:17], v[18:19], off
	v_addc_co_u32_e32 v21, vcc, v22, v1, vcc
	global_load_dwordx2 v[24:25], v[20:21], off
	s_or_b64 s[34:35], s[34:35], exec
	s_waitcnt vmcnt(1) lgkmcnt(0)
	v_fma_mixlo_f16 v26, v36, v16, 0 op_sel_hi:[0,1,0]
	v_fma_mixlo_f16 v16, v36, v16, 0 op_sel:[0,1,0] op_sel_hi:[0,1,0]
	v_fma_mixlo_f16 v27, v36, v17, 0 op_sel_hi:[0,1,0]
	v_fma_mixlo_f16 v17, v36, v17, 0 op_sel:[0,1,0] op_sel_hi:[0,1,0]
	s_waitcnt vmcnt(0)
	v_mul_f16_e32 v26, v24, v26
	v_mul_f16_sdwa v16, v24, v16 dst_sel:DWORD dst_unused:UNUSED_PAD src0_sel:WORD_1 src1_sel:DWORD
	v_mul_f16_e32 v24, v25, v27
	v_mul_f16_sdwa v17, v25, v17 dst_sel:DWORD dst_unused:UNUSED_PAD src0_sel:WORD_1 src1_sel:DWORD
	v_cvt_f32_f16_e64 v25, |v26|
	v_cvt_f32_f16_e64 v26, |v16|
	;; [unrolled: 1-line block ×4, first 2 shown]
	v_add_co_u32_e32 v16, vcc, s2, v14
	v_addc_co_u32_e32 v17, vcc, v15, v23, vcc
	v_max3_f32 v5, v5, v25, v26
	v_cmp_lt_i64_e32 vcc, v[16:17], v[10:11]
	v_max3_f32 v5, v5, v24, v27
	s_and_saveexec_b64 s[36:37], vcc
	s_cbranch_execz .LBB64_20
; %bb.22:                               ;   in Loop: Header=BB64_21 Depth=1
	v_mov_b32_e32 v26, s31
	v_add_co_u32_e32 v18, vcc, s30, v18
	v_addc_co_u32_e32 v19, vcc, v19, v26, vcc
	v_add_co_u32_e32 v20, vcc, s30, v20
	global_load_dwordx2 v[24:25], v[18:19], off
	v_addc_co_u32_e32 v21, vcc, v21, v26, vcc
	global_load_dwordx2 v[26:27], v[20:21], off
	v_mov_b32_e32 v28, s27
	s_mov_b64 s[40:41], -1
	s_waitcnt vmcnt(1)
	v_fma_mixlo_f16 v29, v36, v24, 0 op_sel_hi:[0,1,0]
	v_fma_mixlo_f16 v24, v36, v24, 0 op_sel:[0,1,0] op_sel_hi:[0,1,0]
	v_fma_mixlo_f16 v30, v36, v25, 0 op_sel_hi:[0,1,0]
	v_fma_mixlo_f16 v25, v36, v25, 0 op_sel:[0,1,0] op_sel_hi:[0,1,0]
	s_waitcnt vmcnt(0)
	v_mul_f16_e32 v29, v26, v29
	v_mul_f16_sdwa v24, v26, v24 dst_sel:DWORD dst_unused:UNUSED_PAD src0_sel:WORD_1 src1_sel:DWORD
	v_mul_f16_e32 v26, v27, v30
	v_mul_f16_sdwa v25, v27, v25 dst_sel:DWORD dst_unused:UNUSED_PAD src0_sel:WORD_1 src1_sel:DWORD
	v_cvt_f32_f16_e64 v27, |v29|
	v_cvt_f32_f16_e64 v29, |v24|
	v_cvt_f32_f16_e64 v26, |v26|
	v_cvt_f32_f16_e64 v30, |v25|
	v_add_co_u32_e32 v24, vcc, s26, v14
	v_addc_co_u32_e32 v25, vcc, v28, v15, vcc
	v_max3_f32 v5, v5, v27, v29
	v_cmp_lt_i64_e32 vcc, v[24:25], v[10:11]
	v_max3_f32 v5, v5, v26, v30
	s_and_saveexec_b64 s[38:39], vcc
	s_cbranch_execz .LBB64_19
; %bb.23:                               ;   in Loop: Header=BB64_21 Depth=1
	v_mov_b32_e32 v26, s31
	v_add_co_u32_e32 v18, vcc, s30, v18
	v_addc_co_u32_e32 v19, vcc, v19, v26, vcc
	v_add_co_u32_e32 v20, vcc, s30, v20
	global_load_dwordx2 v[24:25], v[18:19], off
	v_addc_co_u32_e32 v21, vcc, v21, v26, vcc
	global_load_dwordx2 v[26:27], v[20:21], off
	v_mov_b32_e32 v28, s7
	v_add_co_u32_e32 v14, vcc, s13, v14
	v_addc_co_u32_e32 v15, vcc, v28, v15, vcc
	v_cmp_lt_i64_e32 vcc, v[14:15], v[10:11]
	s_mov_b64 s[42:43], -1
                                        ; implicit-def: $vgpr14_vgpr15
	s_waitcnt vmcnt(1)
	v_fma_mixlo_f16 v29, v36, v24, 0 op_sel_hi:[0,1,0]
	v_fma_mixlo_f16 v24, v36, v24, 0 op_sel:[0,1,0] op_sel_hi:[0,1,0]
	v_fma_mixlo_f16 v30, v36, v25, 0 op_sel_hi:[0,1,0]
	v_fma_mixlo_f16 v25, v36, v25, 0 op_sel:[0,1,0] op_sel_hi:[0,1,0]
	s_waitcnt vmcnt(0)
	v_mul_f16_e32 v29, v26, v29
	v_mul_f16_sdwa v24, v26, v24 dst_sel:DWORD dst_unused:UNUSED_PAD src0_sel:WORD_1 src1_sel:DWORD
	v_mul_f16_e32 v26, v27, v30
	v_mul_f16_sdwa v25, v27, v25 dst_sel:DWORD dst_unused:UNUSED_PAD src0_sel:WORD_1 src1_sel:DWORD
	v_cvt_f32_f16_e64 v27, |v29|
	v_cvt_f32_f16_e64 v24, |v24|
	;; [unrolled: 1-line block ×4, first 2 shown]
	v_max3_f32 v5, v5, v27, v24
	v_max3_f32 v5, v5, v26, v25
	s_and_saveexec_b64 s[40:41], vcc
	s_xor_b64 s[40:41], exec, s[40:41]
	s_cbranch_execz .LBB64_18
; %bb.24:                               ;   in Loop: Header=BB64_21 Depth=1
	v_mov_b32_e32 v24, s31
	v_add_co_u32_e32 v14, vcc, s30, v18
	v_addc_co_u32_e32 v15, vcc, v19, v24, vcc
	v_add_co_u32_e32 v18, vcc, s30, v20
	global_load_dwordx2 v[14:15], v[14:15], off
	v_addc_co_u32_e32 v19, vcc, v21, v24, vcc
	global_load_dwordx2 v[18:19], v[18:19], off
	s_add_u32 s16, s2, s2
	s_addc_u32 s19, s3, s3
	v_mov_b32_e32 v20, s25
	v_add_co_u32_e32 v12, vcc, s24, v12
	s_add_u32 s16, s16, s2
	v_addc_co_u32_e32 v1, vcc, v1, v20, vcc
	s_addc_u32 s19, s19, s3
	v_mov_b32_e32 v20, s19
	s_waitcnt vmcnt(1)
	v_fma_mixlo_f16 v21, v36, v14, 0 op_sel_hi:[0,1,0]
	v_fma_mixlo_f16 v14, v36, v14, 0 op_sel:[0,1,0] op_sel_hi:[0,1,0]
	v_fma_mixlo_f16 v24, v36, v15, 0 op_sel_hi:[0,1,0]
	v_fma_mixlo_f16 v15, v36, v15, 0 op_sel:[0,1,0] op_sel_hi:[0,1,0]
	s_waitcnt vmcnt(0)
	v_mul_f16_e32 v21, v18, v21
	v_mul_f16_sdwa v14, v18, v14 dst_sel:DWORD dst_unused:UNUSED_PAD src0_sel:WORD_1 src1_sel:DWORD
	v_mul_f16_e32 v18, v19, v24
	v_mul_f16_sdwa v15, v19, v15 dst_sel:DWORD dst_unused:UNUSED_PAD src0_sel:WORD_1 src1_sel:DWORD
	v_cvt_f32_f16_e64 v19, |v21|
	v_cvt_f32_f16_e64 v21, |v14|
	;; [unrolled: 1-line block ×4, first 2 shown]
	v_add_co_u32_e32 v14, vcc, s16, v16
	v_addc_co_u32_e32 v15, vcc, v20, v17, vcc
	v_cmp_ge_i64_e32 vcc, v[14:15], v[10:11]
	v_max3_f32 v5, v5, v19, v21
	v_max3_f32 v5, v5, v18, v24
	s_orn2_b64 s[42:43], vcc, exec
	s_branch .LBB64_18
.LBB64_25:
	s_or_b64 exec, exec, s[28:29]
.LBB64_26:
	s_or_b64 exec, exec, s[22:23]
	s_lshr_b32 s7, s45, 6
	v_cvt_f32_u32_e32 v10, s7
	v_lshlrev_b32_e32 v1, 2, v0
	ds_write_b32 v1, v5
	s_sub_i32 s22, 0, s7
	v_rcp_iflag_f32_e32 v5, v10
	s_add_i32 s13, s18, s7
	s_add_i32 s13, s13, -1
	s_ashr_i32 s16, s13, 31
	v_mul_f32_e32 v5, 0x4f7ffffe, v5
	v_cvt_u32_f32_e32 v5, v5
	s_abs_i32 s13, s13
	s_ashr_i32 s19, s18, 31
	s_waitcnt lgkmcnt(0)
	v_readfirstlane_b32 s23, v5
	s_mul_i32 s22, s22, s23
	s_mul_hi_u32 s22, s23, s22
	s_add_i32 s23, s23, s22
	s_mul_hi_u32 s22, s13, s23
	s_mul_i32 s23, s22, s7
	s_sub_i32 s13, s13, s23
	s_add_i32 s23, s22, 1
	s_sub_i32 s24, s13, s7
	s_cmp_ge_u32 s13, s7
	s_cselect_b32 s22, s23, s22
	s_cselect_b32 s13, s24, s13
	s_add_i32 s23, s22, 1
	s_cmp_ge_u32 s13, s7
	s_cselect_b32 s13, s23, s22
	s_xor_b32 s13, s13, s16
	s_sub_i32 s22, s13, s16
	s_ashr_i32 s23, s22, 31
	v_cmp_lt_i64_e64 s[24:25], s[22:23], 1
	s_and_b64 vcc, exec, s[24:25]
	s_barrier
	s_cbranch_vccnz .LBB64_48
; %bb.27:
	v_and_b32_e32 v12, 63, v0
	v_add_co_u32_e32 v14, vcc, 32, v12
	v_addc_co_u32_e64 v15, s[24:25], 0, 0, vcc
	v_add_co_u32_e32 v16, vcc, 16, v12
	v_addc_co_u32_e64 v17, s[24:25], 0, 0, vcc
	v_add_co_u32_e32 v18, vcc, 8, v12
	v_lshrrev_b32_e32 v10, 6, v0
	v_addc_co_u32_e64 v19, s[24:25], 0, 0, vcc
	v_add_co_u32_e32 v20, vcc, 4, v12
	v_addc_co_u32_e64 v21, s[24:25], 0, 0, vcc
	v_add_co_u32_e32 v22, vcc, 2, v12
	v_mul_lo_u32 v5, s2, v10
	v_addc_co_u32_e64 v23, s[24:25], 0, 0, vcc
	v_add_co_u32_e32 v24, vcc, 1, v12
	v_lshlrev_b32_e32 v5, 2, v5
	v_lshlrev_b32_e32 v26, 2, v12
	s_movk_i32 s13, 0x100
	v_mov_b32_e32 v11, 0
	v_addc_co_u32_e64 v25, s[24:25], 0, 0, vcc
	v_add3_u32 v5, v5, v26, s13
	s_mul_i32 s13, s2, s7
	v_mov_b32_e32 v13, v11
	s_lshl_b32 s13, s13, 2
	s_mov_b64 s[24:25], 0
	v_mov_b32_e32 v37, s7
	s_mov_b64 s[26:27], src_shared_base
	s_branch .LBB64_30
.LBB64_28:                              ;   in Loop: Header=BB64_30 Depth=1
	s_or_b64 exec, exec, s[30:31]
	v_mov_b32_e32 v27, s27
	flat_load_dword v26, v[26:27] glc
	s_waitcnt vmcnt(0)
.LBB64_29:                              ;   in Loop: Header=BB64_30 Depth=1
	s_or_b64 exec, exec, s[28:29]
	s_add_u32 s24, s24, 1
	s_addc_u32 s25, s25, 0
	s_cmp_eq_u64 s[24:25], s[22:23]
	v_add_u32_e32 v5, s13, v5
	s_cbranch_scc1 .LBB64_48
.LBB64_30:                              ; =>This Loop Header: Depth=1
                                        ;     Child Loop BB64_33 Depth 2
	v_mad_u64_u32 v[30:31], s[28:29], s24, v37, v[10:11]
	s_mul_i32 s16, s25, s7
	v_add_u32_e32 v31, s16, v31
	v_cmp_gt_i64_e32 vcc, s[18:19], v[30:31]
	s_and_saveexec_b64 s[28:29], vcc
	s_cbranch_execz .LBB64_29
; %bb.31:                               ;   in Loop: Header=BB64_30 Depth=1
	v_pk_mov_b32 v[32:33], s[2:3], s[2:3] op_sel:[0,1]
	v_mul_lo_u32 v29, v31, s2
	v_mul_lo_u32 v38, v30, s3
	v_mad_u64_u32 v[32:33], s[30:31], v30, s2, v[32:33]
	v_add3_u32 v33, v29, v33, v38
	v_mov_b32_e32 v28, s21
	v_cmp_gt_i64_e32 vcc, s[20:21], v[32:33]
	s_waitcnt lgkmcnt(0)
	v_mad_u64_u32 v[26:27], s[30:31], v30, s2, v[12:13]
	v_cndmask_b32_e32 v33, v28, v33, vcc
	v_mov_b32_e32 v28, s17
	v_add3_u32 v27, v29, v27, v38
	v_cndmask_b32_e32 v32, v28, v32, vcc
	v_add_co_u32_e32 v34, vcc, 64, v26
	v_addc_co_u32_e32 v35, vcc, 0, v27, vcc
	v_cmp_lt_i64_e32 vcc, v[34:35], v[32:33]
	v_lshlrev_b32_e32 v28, 2, v26
	s_and_saveexec_b64 s[30:31], vcc
	s_cbranch_execz .LBB64_34
; %bb.32:                               ;   in Loop: Header=BB64_30 Depth=1
	ds_read_b32 v31, v28
	s_mov_b64 s[34:35], 0
	v_mov_b32_e32 v27, v5
.LBB64_33:                              ;   Parent Loop BB64_30 Depth=1
                                        ; =>  This Inner Loop Header: Depth=2
	ds_read_b32 v39, v27
	v_add_co_u32_e32 v34, vcc, 64, v34
	v_addc_co_u32_e32 v35, vcc, 0, v35, vcc
	s_waitcnt lgkmcnt(1)
	v_max_f32_e32 v31, v31, v31
	v_cmp_ge_i64_e32 vcc, v[34:35], v[32:33]
	s_waitcnt lgkmcnt(0)
	v_max_f32_e32 v39, v39, v39
	v_add_u32_e32 v27, 0x100, v27
	s_or_b64 s[34:35], vcc, s[34:35]
	v_max_f32_e32 v31, v31, v39
	ds_write_b32 v28, v31
	s_andn2_b64 exec, exec, s[34:35]
	s_cbranch_execnz .LBB64_33
.LBB64_34:                              ;   in Loop: Header=BB64_30 Depth=1
	s_or_b64 exec, exec, s[30:31]
	v_mad_u64_u32 v[30:31], s[30:31], v30, s2, 0
	v_add3_u32 v27, v31, v38, v29
	v_sub_co_u32_e32 v30, vcc, v32, v30
	v_subb_co_u32_e32 v31, vcc, v33, v27, vcc
	v_cmp_gt_i64_e32 vcc, 64, v[30:31]
	v_cndmask_b32_e32 v31, 0, v31, vcc
	v_cndmask_b32_e32 v30, 64, v30, vcc
	v_cmp_lt_i64_e32 vcc, v[14:15], v[30:31]
	s_and_saveexec_b64 s[30:31], vcc
	s_cbranch_execnz .LBB64_46
; %bb.35:                               ;   in Loop: Header=BB64_30 Depth=1
	s_or_b64 exec, exec, s[30:31]
	v_cmp_lt_i64_e32 vcc, v[16:17], v[30:31]
	s_and_saveexec_b64 s[30:31], vcc
	s_cbranch_execnz .LBB64_47
.LBB64_36:                              ;   in Loop: Header=BB64_30 Depth=1
	s_or_b64 exec, exec, s[30:31]
	v_cmp_lt_i64_e32 vcc, v[18:19], v[30:31]
	s_and_saveexec_b64 s[30:31], vcc
	s_cbranch_execz .LBB64_38
.LBB64_37:                              ;   in Loop: Header=BB64_30 Depth=1
	v_mov_b32_e32 v29, s27
	v_add_u32_e32 v32, 32, v28
	v_mov_b32_e32 v33, s27
	flat_load_dword v27, v[28:29] glc
	s_waitcnt vmcnt(0)
	flat_load_dword v34, v[32:33] glc
	s_waitcnt vmcnt(0) lgkmcnt(0)
	v_max_f32_e32 v27, v27, v27
	v_max_f32_e32 v32, v34, v34
	;; [unrolled: 1-line block ×3, first 2 shown]
	flat_store_dword v[28:29], v27
	s_waitcnt vmcnt(0)
.LBB64_38:                              ;   in Loop: Header=BB64_30 Depth=1
	s_or_b64 exec, exec, s[30:31]
	v_cmp_ge_i64_e32 vcc, v[20:21], v[30:31]
	s_and_saveexec_b64 s[30:31], vcc
	s_xor_b64 s[30:31], exec, s[30:31]
; %bb.39:                               ;   in Loop: Header=BB64_30 Depth=1
                                        ; implicit-def: $vgpr28
; %bb.40:                               ;   in Loop: Header=BB64_30 Depth=1
	s_andn2_saveexec_b64 s[30:31], s[30:31]
	s_cbranch_execz .LBB64_42
; %bb.41:                               ;   in Loop: Header=BB64_30 Depth=1
	v_mov_b32_e32 v29, s27
	v_add_u32_e32 v32, 16, v28
	v_mov_b32_e32 v33, s27
	flat_load_dword v27, v[28:29] glc
	s_waitcnt vmcnt(0)
	flat_load_dword v34, v[32:33] glc
	s_waitcnt vmcnt(0) lgkmcnt(0)
	v_max_f32_e32 v27, v27, v27
	v_max_f32_e32 v32, v34, v34
	v_max_f32_e32 v27, v27, v32
	flat_store_dword v[28:29], v27
	s_waitcnt vmcnt(0)
.LBB64_42:                              ;   in Loop: Header=BB64_30 Depth=1
	s_or_b64 exec, exec, s[30:31]
	v_cmp_lt_i64_e32 vcc, v[22:23], v[30:31]
	v_lshlrev_b32_e32 v26, 2, v26
	s_and_saveexec_b64 s[30:31], vcc
	s_cbranch_execz .LBB64_44
; %bb.43:                               ;   in Loop: Header=BB64_30 Depth=1
	v_mov_b32_e32 v27, s27
	v_add_u32_e32 v28, 8, v26
	v_mov_b32_e32 v29, s27
	flat_load_dword v32, v[26:27] glc
	s_waitcnt vmcnt(0)
	flat_load_dword v33, v[28:29] glc
	s_waitcnt vmcnt(0) lgkmcnt(0)
	v_max_f32_e32 v28, v32, v32
	v_max_f32_e32 v29, v33, v33
	v_max_f32_e32 v28, v28, v29
	flat_store_dword v[26:27], v28
	s_waitcnt vmcnt(0)
.LBB64_44:                              ;   in Loop: Header=BB64_30 Depth=1
	s_or_b64 exec, exec, s[30:31]
	v_cmp_lt_i64_e32 vcc, v[24:25], v[30:31]
	s_and_saveexec_b64 s[30:31], vcc
	s_cbranch_execz .LBB64_28
; %bb.45:                               ;   in Loop: Header=BB64_30 Depth=1
	v_mov_b32_e32 v27, s27
	v_add_u32_e32 v28, 4, v26
	v_mov_b32_e32 v29, s27
	flat_load_dword v30, v[26:27] glc
	s_waitcnt vmcnt(0)
	flat_load_dword v31, v[28:29] glc
	s_waitcnt vmcnt(0) lgkmcnt(0)
	v_max_f32_e32 v28, v30, v30
	v_max_f32_e32 v29, v31, v31
	;; [unrolled: 1-line block ×3, first 2 shown]
	flat_store_dword v[26:27], v28
	s_waitcnt vmcnt(0)
	s_branch .LBB64_28
.LBB64_46:                              ;   in Loop: Header=BB64_30 Depth=1
	v_mov_b32_e32 v29, s27
	v_add_u32_e32 v32, 0x80, v28
	v_mov_b32_e32 v33, s27
	flat_load_dword v27, v[28:29] glc
	s_waitcnt vmcnt(0)
	flat_load_dword v34, v[32:33] glc
	s_waitcnt vmcnt(0) lgkmcnt(0)
	v_max_f32_e32 v27, v27, v27
	v_max_f32_e32 v32, v34, v34
	;; [unrolled: 1-line block ×3, first 2 shown]
	flat_store_dword v[28:29], v27
	s_waitcnt vmcnt(0)
	s_or_b64 exec, exec, s[30:31]
	v_cmp_lt_i64_e32 vcc, v[16:17], v[30:31]
	s_and_saveexec_b64 s[30:31], vcc
	s_cbranch_execz .LBB64_36
.LBB64_47:                              ;   in Loop: Header=BB64_30 Depth=1
	v_mov_b32_e32 v29, s27
	v_add_u32_e32 v32, 64, v28
	v_mov_b32_e32 v33, s27
	flat_load_dword v27, v[28:29] glc
	s_waitcnt vmcnt(0)
	flat_load_dword v34, v[32:33] glc
	s_waitcnt vmcnt(0) lgkmcnt(0)
	v_max_f32_e32 v27, v27, v27
	v_max_f32_e32 v32, v34, v34
	;; [unrolled: 1-line block ×3, first 2 shown]
	flat_store_dword v[28:29], v27
	s_waitcnt vmcnt(0)
	s_or_b64 exec, exec, s[30:31]
	v_cmp_lt_i64_e32 vcc, v[18:19], v[30:31]
	s_and_saveexec_b64 s[30:31], vcc
	s_cbranch_execnz .LBB64_37
	s_branch .LBB64_38
.LBB64_48:
	v_cmp_eq_u32_e32 vcc, 0, v4
	v_cmp_lt_i64_e64 s[2:3], v[6:7], v[8:9]
	s_and_b64 s[22:23], vcc, s[2:3]
	s_mul_i32 s7, s19, s6
	s_mul_hi_u32 s16, s18, s6
	s_mul_i32 s2, s18, s6
	s_waitcnt lgkmcnt(0)
	s_barrier
	s_and_saveexec_b64 s[18:19], s[22:23]
	s_cbranch_execz .LBB64_52
; %bb.49:
	s_load_dwordx2 s[4:5], s[4:5], 0x20
	ds_read_b32 v1, v1
	s_waitcnt lgkmcnt(0)
	s_cmp_eq_u64 s[4:5], 0
	s_cbranch_scc1 .LBB64_51
; %bb.50:
	s_load_dword s3, s[4:5], 0x0
	v_max_f32_e32 v1, v1, v1
	s_waitcnt lgkmcnt(0)
	v_max_f32_e64 v4, s3, s3
	v_min_f32_e32 v1, v1, v4
.LBB64_51:
	s_mov_b32 s3, 0x43600000
	v_div_scale_f32 v4, s[4:5], s3, s3, v1
	v_rcp_f32_e32 v5, v4
	v_div_scale_f32 v6, vcc, v1, s3, v1
	v_lshlrev_b64 v[2:3], 2, v[2:3]
	v_fma_f32 v7, -v4, v5, 1.0
	v_fmac_f32_e32 v5, v7, v5
	v_mul_f32_e32 v7, v6, v5
	v_fma_f32 v8, -v4, v7, v6
	v_fmac_f32_e32 v7, v8, v5
	v_fma_f32 v4, -v4, v7, v6
	v_div_fmas_f32 v4, v4, v5, v7
	v_div_fixup_f32 v1, v4, s3, v1
	s_add_i32 s3, s16, s7
	s_lshl_b64 s[4:5], s[2:3], 2
	s_add_u32 s3, s10, s4
	s_addc_u32 s4, s11, s5
	v_mov_b32_e32 v4, s4
	v_add_co_u32_e32 v2, vcc, s3, v2
	v_max_f32_e32 v1, 0x37124925, v1
	v_addc_co_u32_e32 v3, vcc, v4, v3, vcc
	global_store_dword v[2:3], v1, off
.LBB64_52:
	s_or_b64 exec, exec, s[18:19]
	s_barrier
	s_and_saveexec_b64 s[4:5], s[0:1]
	s_cbranch_execz .LBB64_189
; %bb.53:
	s_mul_i32 s0, s21, s6
	s_mul_hi_u32 s1, s17, s6
	s_add_i32 s1, s1, s0
	s_mul_i32 s0, s17, s6
	s_add_u32 s13, s8, s0
	s_addc_u32 s20, s9, s1
	s_add_i32 s3, s16, s7
	s_lshl_b64 s[0:1], s[2:3], 2
	s_add_u32 s0, s10, s0
	s_addc_u32 s1, s11, s1
	s_mul_i32 s21, s45, 3
	s_lshl_b32 s22, s45, 1
	s_mov_b64 s[2:3], 0
	v_mov_b32_e32 v1, 0
	v_mov_b32_e32 v10, s44
	;; [unrolled: 1-line block ×3, first 2 shown]
	s_mov_b32 s23, 0x43800000
	s_mov_b32 s24, 0x3bffffff
	;; [unrolled: 1-line block ×4, first 2 shown]
	s_movk_i32 s27, 0x80
	s_mov_b32 s28, 0x4020c0c
	s_branch .LBB64_59
.LBB64_54:                              ;   in Loop: Header=BB64_59 Depth=1
	s_or_b64 exec, exec, s[18:19]
.LBB64_55:                              ;   in Loop: Header=BB64_59 Depth=1
	s_or_b64 exec, exec, s[10:11]
	v_lshlrev_b64 v[12:13], 2, v[0:1]
	v_mov_b32_e32 v0, s20
	v_add_co_u32_e32 v12, vcc, s13, v12
	v_addc_co_u32_e32 v13, vcc, v0, v13, vcc
	v_lshlrev_b32_e32 v0, 16, v6
	v_lshlrev_b32_e32 v3, 8, v3
	v_perm_b32 v0, v4, v0, s28
	v_and_b32_e32 v3, 0xff00, v3
	v_and_b32_e32 v4, 0xff, v8
	s_add_i32 s10, s45, s45
	v_or3_b32 v0, v0, v3, v4
	s_add_i32 s10, s10, s45
	global_store_dword v[12:13], v0, off
	v_add_u32_e32 v0, s10, v2
	v_cmp_le_u32_e32 vcc, s12, v0
	s_orn2_b64 s[10:11], vcc, exec
.LBB64_56:                              ;   in Loop: Header=BB64_59 Depth=1
	s_or_b64 exec, exec, s[8:9]
	s_orn2_b64 s[8:9], s[10:11], exec
.LBB64_57:                              ;   in Loop: Header=BB64_59 Depth=1
	s_or_b64 exec, exec, s[6:7]
	s_orn2_b64 s[6:7], s[8:9], exec
.LBB64_58:                              ;   in Loop: Header=BB64_59 Depth=1
	s_or_b64 exec, exec, s[4:5]
	s_and_b64 s[4:5], exec, s[6:7]
	s_or_b64 s[2:3], s[4:5], s[2:3]
	s_andn2_b64 exec, exec, s[2:3]
	s_cbranch_execz .LBB64_189
.LBB64_59:                              ; =>This Inner Loop Header: Depth=1
	v_lshlrev_b64 v[4:5], 3, v[0:1]
	v_add_co_u32_e32 v2, vcc, s33, v4
	v_addc_co_u32_e32 v3, vcc, v10, v5, vcc
	v_add_co_u32_e32 v4, vcc, s14, v4
	global_load_dwordx2 v[2:3], v[2:3], off
	v_addc_co_u32_e32 v5, vcc, v11, v5, vcc
	global_load_dwordx2 v[4:5], v[4:5], off
	v_lshrrev_b32_e32 v6, 2, v0
	v_and_b32_e32 v6, 0xffffffc, v6
	global_load_dword v7, v6, s[0:1]
	s_waitcnt vmcnt(2)
	v_fma_mixlo_f16 v6, v36, v2, 0 op_sel_hi:[0,1,0]
	s_waitcnt vmcnt(1)
	v_mul_f16_e32 v6, v4, v6
	v_cvt_f32_f16_e32 v8, v6
	v_mov_b32_e32 v6, 0x80
	s_waitcnt vmcnt(0)
	v_div_scale_f32 v9, s[4:5], v7, v7, v8
	v_rcp_f32_e32 v12, v9
	v_div_scale_f32 v13, vcc, v8, v7, v8
	v_fma_f32 v14, -v9, v12, 1.0
	v_fmac_f32_e32 v12, v14, v12
	v_mul_f32_e32 v14, v13, v12
	v_fma_f32 v15, -v9, v14, v13
	v_fmac_f32_e32 v14, v15, v12
	v_fma_f32 v9, -v9, v14, v13
	v_div_fmas_f32 v9, v9, v12, v14
	v_div_fixup_f32 v8, v9, v7, v8
	v_min_f32_e32 v8, 0x43600000, v8
	v_max_f32_e32 v9, 0xc3600000, v8
	v_and_b32_e32 v12, 0x7fffffff, v9
	v_cmp_gt_u32_e32 vcc, s23, v12
	v_mov_b32_e32 v8, 0x80
	s_and_saveexec_b64 s[4:5], vcc
	s_cbranch_execz .LBB64_65
; %bb.60:                               ;   in Loop: Header=BB64_59 Depth=1
	v_cmp_lt_u32_e32 vcc, s24, v12
	s_mov_b64 s[6:7], 0
                                        ; implicit-def: $vgpr12
	s_and_saveexec_b64 s[8:9], vcc
	s_xor_b64 s[8:9], exec, s[8:9]
	s_cbranch_execnz .LBB64_156
; %bb.61:                               ;   in Loop: Header=BB64_59 Depth=1
	s_or_saveexec_b64 s[8:9], s[8:9]
                                        ; implicit-def: $sgpr10
	s_xor_b64 exec, exec, s[8:9]
	s_cbranch_execnz .LBB64_157
.LBB64_62:                              ;   in Loop: Header=BB64_59 Depth=1
	s_or_b64 exec, exec, s[8:9]
	v_mov_b32_e32 v8, s10
	s_and_saveexec_b64 s[8:9], s[6:7]
.LBB64_63:                              ;   in Loop: Header=BB64_59 Depth=1
	v_lshrrev_b32_e32 v8, 24, v9
	v_and_or_b32 v8, v8, s27, v12
.LBB64_64:                              ;   in Loop: Header=BB64_59 Depth=1
	s_or_b64 exec, exec, s[8:9]
.LBB64_65:                              ;   in Loop: Header=BB64_59 Depth=1
	s_or_b64 exec, exec, s[4:5]
	v_fma_mixlo_f16 v2, v36, v2, 0 op_sel:[0,1,0] op_sel_hi:[0,1,0]
	v_mul_f16_sdwa v2, v4, v2 dst_sel:DWORD dst_unused:UNUSED_PAD src0_sel:WORD_1 src1_sel:DWORD
	v_cvt_f32_f16_e32 v2, v2
	v_div_scale_f32 v4, s[4:5], v7, v7, v2
	v_rcp_f32_e32 v9, v4
	v_div_scale_f32 v12, vcc, v2, v7, v2
	v_fma_f32 v13, -v4, v9, 1.0
	v_fmac_f32_e32 v9, v13, v9
	v_mul_f32_e32 v13, v12, v9
	v_fma_f32 v14, -v4, v13, v12
	v_fmac_f32_e32 v13, v14, v9
	v_fma_f32 v4, -v4, v13, v12
	v_div_fmas_f32 v4, v4, v9, v13
	v_div_fixup_f32 v2, v4, v7, v2
	v_min_f32_e32 v2, 0x43600000, v2
	v_max_f32_e32 v2, 0xc3600000, v2
	v_and_b32_e32 v4, 0x7fffffff, v2
	v_cmp_gt_u32_e32 vcc, s23, v4
	s_and_saveexec_b64 s[4:5], vcc
	s_cbranch_execz .LBB64_71
; %bb.66:                               ;   in Loop: Header=BB64_59 Depth=1
	v_cmp_lt_u32_e32 vcc, s24, v4
	s_mov_b64 s[6:7], 0
                                        ; implicit-def: $vgpr4
	s_and_saveexec_b64 s[8:9], vcc
	s_xor_b64 s[8:9], exec, s[8:9]
	s_cbranch_execnz .LBB64_158
; %bb.67:                               ;   in Loop: Header=BB64_59 Depth=1
	s_or_saveexec_b64 s[8:9], s[8:9]
                                        ; implicit-def: $sgpr10
	s_xor_b64 exec, exec, s[8:9]
	s_cbranch_execnz .LBB64_159
.LBB64_68:                              ;   in Loop: Header=BB64_59 Depth=1
	s_or_b64 exec, exec, s[8:9]
	v_mov_b32_e32 v6, s10
	s_and_saveexec_b64 s[8:9], s[6:7]
.LBB64_69:                              ;   in Loop: Header=BB64_59 Depth=1
	v_lshrrev_b32_e32 v2, 24, v2
	v_and_or_b32 v6, v2, s27, v4
.LBB64_70:                              ;   in Loop: Header=BB64_59 Depth=1
	s_or_b64 exec, exec, s[8:9]
.LBB64_71:                              ;   in Loop: Header=BB64_59 Depth=1
	s_or_b64 exec, exec, s[4:5]
	v_fma_mixlo_f16 v2, v36, v3, 0 op_sel_hi:[0,1,0]
	v_mul_f16_e32 v2, v5, v2
	v_cvt_f32_f16_e32 v4, v2
	v_mov_b32_e32 v2, 0x80
	v_div_scale_f32 v9, s[4:5], v7, v7, v4
	v_rcp_f32_e32 v12, v9
	v_div_scale_f32 v13, vcc, v4, v7, v4
	v_fma_f32 v14, -v9, v12, 1.0
	v_fmac_f32_e32 v12, v14, v12
	v_mul_f32_e32 v14, v13, v12
	v_fma_f32 v15, -v9, v14, v13
	v_fmac_f32_e32 v14, v15, v12
	v_fma_f32 v9, -v9, v14, v13
	v_div_fmas_f32 v9, v9, v12, v14
	v_div_fixup_f32 v4, v9, v7, v4
	v_min_f32_e32 v4, 0x43600000, v4
	v_max_f32_e32 v9, 0xc3600000, v4
	v_and_b32_e32 v12, 0x7fffffff, v9
	v_cmp_gt_u32_e32 vcc, s23, v12
	v_mov_b32_e32 v4, 0x80
	s_and_saveexec_b64 s[4:5], vcc
	s_cbranch_execz .LBB64_77
; %bb.72:                               ;   in Loop: Header=BB64_59 Depth=1
	v_cmp_lt_u32_e32 vcc, s24, v12
	s_mov_b64 s[6:7], 0
                                        ; implicit-def: $vgpr12
	s_and_saveexec_b64 s[8:9], vcc
	s_xor_b64 s[8:9], exec, s[8:9]
	s_cbranch_execnz .LBB64_160
; %bb.73:                               ;   in Loop: Header=BB64_59 Depth=1
	s_or_saveexec_b64 s[8:9], s[8:9]
                                        ; implicit-def: $sgpr10
	s_xor_b64 exec, exec, s[8:9]
	s_cbranch_execnz .LBB64_161
.LBB64_74:                              ;   in Loop: Header=BB64_59 Depth=1
	s_or_b64 exec, exec, s[8:9]
	v_mov_b32_e32 v4, s10
	s_and_saveexec_b64 s[8:9], s[6:7]
.LBB64_75:                              ;   in Loop: Header=BB64_59 Depth=1
	v_lshrrev_b32_e32 v4, 24, v9
	v_and_or_b32 v4, v4, s27, v12
.LBB64_76:                              ;   in Loop: Header=BB64_59 Depth=1
	s_or_b64 exec, exec, s[8:9]
.LBB64_77:                              ;   in Loop: Header=BB64_59 Depth=1
	s_or_b64 exec, exec, s[4:5]
	v_fma_mixlo_f16 v3, v36, v3, 0 op_sel:[0,1,0] op_sel_hi:[0,1,0]
	v_mul_f16_sdwa v3, v5, v3 dst_sel:DWORD dst_unused:UNUSED_PAD src0_sel:WORD_1 src1_sel:DWORD
	v_cvt_f32_f16_e32 v3, v3
	v_div_scale_f32 v5, s[4:5], v7, v7, v3
	v_rcp_f32_e32 v9, v5
	v_div_scale_f32 v12, vcc, v3, v7, v3
	v_fma_f32 v13, -v5, v9, 1.0
	v_fmac_f32_e32 v9, v13, v9
	v_mul_f32_e32 v13, v12, v9
	v_fma_f32 v14, -v5, v13, v12
	v_fmac_f32_e32 v13, v14, v9
	v_fma_f32 v5, -v5, v13, v12
	v_div_fmas_f32 v5, v5, v9, v13
	v_div_fixup_f32 v3, v5, v7, v3
	v_min_f32_e32 v3, 0x43600000, v3
	v_max_f32_e32 v3, 0xc3600000, v3
	v_and_b32_e32 v5, 0x7fffffff, v3
	v_cmp_gt_u32_e32 vcc, s23, v5
	s_and_saveexec_b64 s[4:5], vcc
	s_cbranch_execz .LBB64_83
; %bb.78:                               ;   in Loop: Header=BB64_59 Depth=1
	v_cmp_lt_u32_e32 vcc, s24, v5
	s_mov_b64 s[6:7], 0
                                        ; implicit-def: $vgpr5
	s_and_saveexec_b64 s[8:9], vcc
	s_xor_b64 s[8:9], exec, s[8:9]
	s_cbranch_execnz .LBB64_162
; %bb.79:                               ;   in Loop: Header=BB64_59 Depth=1
	s_or_saveexec_b64 s[8:9], s[8:9]
                                        ; implicit-def: $sgpr10
	s_xor_b64 exec, exec, s[8:9]
	s_cbranch_execnz .LBB64_163
.LBB64_80:                              ;   in Loop: Header=BB64_59 Depth=1
	s_or_b64 exec, exec, s[8:9]
	v_mov_b32_e32 v2, s10
	s_and_saveexec_b64 s[8:9], s[6:7]
.LBB64_81:                              ;   in Loop: Header=BB64_59 Depth=1
	v_lshrrev_b32_e32 v2, 24, v3
	v_and_or_b32 v2, v2, s27, v5
.LBB64_82:                              ;   in Loop: Header=BB64_59 Depth=1
	s_or_b64 exec, exec, s[8:9]
.LBB64_83:                              ;   in Loop: Header=BB64_59 Depth=1
	s_or_b64 exec, exec, s[4:5]
	v_lshlrev_b64 v[12:13], 2, v[0:1]
	v_mov_b32_e32 v3, s20
	v_add_co_u32_e32 v12, vcc, s13, v12
	v_addc_co_u32_e32 v13, vcc, v3, v13, vcc
	v_lshlrev_b32_e32 v3, 16, v4
	v_perm_b32 v2, v2, v3, s28
	v_lshlrev_b32_e32 v3, 8, v6
	v_and_b32_e32 v3, 0xff00, v3
	v_and_b32_e32 v4, 0xff, v8
	v_or3_b32 v2, v2, v3, v4
	global_store_dword v[12:13], v2, off
	v_add_u32_e32 v2, s45, v0
	v_cmp_gt_u32_e32 vcc, s12, v2
	s_mov_b64 s[6:7], -1
	s_and_saveexec_b64 s[4:5], vcc
	s_cbranch_execz .LBB64_58
; %bb.84:                               ;   in Loop: Header=BB64_59 Depth=1
	v_mov_b32_e32 v3, v1
	v_lshlrev_b64 v[6:7], 3, v[2:3]
	v_mov_b32_e32 v5, s44
	v_add_co_u32_e32 v4, vcc, s33, v6
	v_addc_co_u32_e32 v5, vcc, v5, v7, vcc
	v_mov_b32_e32 v8, s15
	v_add_co_u32_e32 v6, vcc, s14, v6
	global_load_dwordx2 v[4:5], v[4:5], off
	v_addc_co_u32_e32 v7, vcc, v8, v7, vcc
	global_load_dwordx2 v[6:7], v[6:7], off
	v_lshrrev_b32_e32 v8, 2, v2
	v_and_b32_e32 v8, 0xffffffc, v8
	global_load_dword v12, v8, s[0:1]
	s_waitcnt vmcnt(2)
	v_fma_mixlo_f16 v8, v36, v4, 0 op_sel_hi:[0,1,0]
	s_waitcnt vmcnt(1)
	v_mul_f16_e32 v8, v6, v8
	v_cvt_f32_f16_e32 v9, v8
	v_mov_b32_e32 v8, 0x80
	s_waitcnt vmcnt(0)
	v_div_scale_f32 v13, s[6:7], v12, v12, v9
	v_rcp_f32_e32 v14, v13
	v_div_scale_f32 v15, vcc, v9, v12, v9
	v_fma_f32 v16, -v13, v14, 1.0
	v_fmac_f32_e32 v14, v16, v14
	v_mul_f32_e32 v16, v15, v14
	v_fma_f32 v17, -v13, v16, v15
	v_fmac_f32_e32 v16, v17, v14
	v_fma_f32 v13, -v13, v16, v15
	v_div_fmas_f32 v13, v13, v14, v16
	v_div_fixup_f32 v9, v13, v12, v9
	v_min_f32_e32 v9, 0x43600000, v9
	v_max_f32_e32 v13, 0xc3600000, v9
	v_and_b32_e32 v14, 0x7fffffff, v13
	v_cmp_gt_u32_e32 vcc, s23, v14
	v_mov_b32_e32 v9, 0x80
	s_and_saveexec_b64 s[6:7], vcc
	s_cbranch_execz .LBB64_90
; %bb.85:                               ;   in Loop: Header=BB64_59 Depth=1
	v_cmp_lt_u32_e32 vcc, s24, v14
	s_mov_b64 s[8:9], 0
                                        ; implicit-def: $vgpr14
	s_and_saveexec_b64 s[10:11], vcc
	s_xor_b64 s[10:11], exec, s[10:11]
	s_cbranch_execnz .LBB64_164
; %bb.86:                               ;   in Loop: Header=BB64_59 Depth=1
	s_or_saveexec_b64 s[10:11], s[10:11]
                                        ; implicit-def: $sgpr16
	s_xor_b64 exec, exec, s[10:11]
	s_cbranch_execnz .LBB64_165
.LBB64_87:                              ;   in Loop: Header=BB64_59 Depth=1
	s_or_b64 exec, exec, s[10:11]
	v_mov_b32_e32 v9, s16
	s_and_saveexec_b64 s[10:11], s[8:9]
.LBB64_88:                              ;   in Loop: Header=BB64_59 Depth=1
	v_lshrrev_b32_e32 v9, 24, v13
	v_and_or_b32 v9, v9, s27, v14
.LBB64_89:                              ;   in Loop: Header=BB64_59 Depth=1
	s_or_b64 exec, exec, s[10:11]
.LBB64_90:                              ;   in Loop: Header=BB64_59 Depth=1
	s_or_b64 exec, exec, s[6:7]
	v_fma_mixlo_f16 v4, v36, v4, 0 op_sel:[0,1,0] op_sel_hi:[0,1,0]
	v_mul_f16_sdwa v4, v6, v4 dst_sel:DWORD dst_unused:UNUSED_PAD src0_sel:WORD_1 src1_sel:DWORD
	v_cvt_f32_f16_e32 v4, v4
	v_div_scale_f32 v6, s[6:7], v12, v12, v4
	v_rcp_f32_e32 v13, v6
	v_div_scale_f32 v14, vcc, v4, v12, v4
	v_fma_f32 v15, -v6, v13, 1.0
	v_fmac_f32_e32 v13, v15, v13
	v_mul_f32_e32 v15, v14, v13
	v_fma_f32 v16, -v6, v15, v14
	v_fmac_f32_e32 v15, v16, v13
	v_fma_f32 v6, -v6, v15, v14
	v_div_fmas_f32 v6, v6, v13, v15
	v_div_fixup_f32 v4, v6, v12, v4
	v_min_f32_e32 v4, 0x43600000, v4
	v_max_f32_e32 v4, 0xc3600000, v4
	v_and_b32_e32 v6, 0x7fffffff, v4
	v_cmp_gt_u32_e32 vcc, s23, v6
	s_and_saveexec_b64 s[6:7], vcc
	s_cbranch_execz .LBB64_96
; %bb.91:                               ;   in Loop: Header=BB64_59 Depth=1
	v_cmp_lt_u32_e32 vcc, s24, v6
	s_mov_b64 s[8:9], 0
                                        ; implicit-def: $vgpr6
	s_and_saveexec_b64 s[10:11], vcc
	s_xor_b64 s[10:11], exec, s[10:11]
	s_cbranch_execnz .LBB64_166
; %bb.92:                               ;   in Loop: Header=BB64_59 Depth=1
	s_or_saveexec_b64 s[10:11], s[10:11]
                                        ; implicit-def: $sgpr16
	s_xor_b64 exec, exec, s[10:11]
	s_cbranch_execnz .LBB64_167
.LBB64_93:                              ;   in Loop: Header=BB64_59 Depth=1
	s_or_b64 exec, exec, s[10:11]
	v_mov_b32_e32 v8, s16
	s_and_saveexec_b64 s[10:11], s[8:9]
.LBB64_94:                              ;   in Loop: Header=BB64_59 Depth=1
	v_lshrrev_b32_e32 v4, 24, v4
	v_and_or_b32 v8, v4, s27, v6
.LBB64_95:                              ;   in Loop: Header=BB64_59 Depth=1
	s_or_b64 exec, exec, s[10:11]
.LBB64_96:                              ;   in Loop: Header=BB64_59 Depth=1
	s_or_b64 exec, exec, s[6:7]
	v_fma_mixlo_f16 v4, v36, v5, 0 op_sel_hi:[0,1,0]
	v_mul_f16_e32 v4, v7, v4
	v_cvt_f32_f16_e32 v6, v4
	v_mov_b32_e32 v4, 0x80
	v_div_scale_f32 v13, s[6:7], v12, v12, v6
	v_rcp_f32_e32 v14, v13
	v_div_scale_f32 v15, vcc, v6, v12, v6
	v_fma_f32 v16, -v13, v14, 1.0
	v_fmac_f32_e32 v14, v16, v14
	v_mul_f32_e32 v16, v15, v14
	v_fma_f32 v17, -v13, v16, v15
	v_fmac_f32_e32 v16, v17, v14
	v_fma_f32 v13, -v13, v16, v15
	v_div_fmas_f32 v13, v13, v14, v16
	v_div_fixup_f32 v6, v13, v12, v6
	v_min_f32_e32 v6, 0x43600000, v6
	v_max_f32_e32 v13, 0xc3600000, v6
	v_and_b32_e32 v14, 0x7fffffff, v13
	v_cmp_gt_u32_e32 vcc, s23, v14
	v_mov_b32_e32 v6, 0x80
	s_and_saveexec_b64 s[6:7], vcc
	s_cbranch_execz .LBB64_102
; %bb.97:                               ;   in Loop: Header=BB64_59 Depth=1
	v_cmp_lt_u32_e32 vcc, s24, v14
	s_mov_b64 s[8:9], 0
                                        ; implicit-def: $vgpr14
	s_and_saveexec_b64 s[10:11], vcc
	s_xor_b64 s[10:11], exec, s[10:11]
	s_cbranch_execnz .LBB64_168
; %bb.98:                               ;   in Loop: Header=BB64_59 Depth=1
	s_or_saveexec_b64 s[10:11], s[10:11]
                                        ; implicit-def: $sgpr16
	s_xor_b64 exec, exec, s[10:11]
	s_cbranch_execnz .LBB64_169
.LBB64_99:                              ;   in Loop: Header=BB64_59 Depth=1
	s_or_b64 exec, exec, s[10:11]
	v_mov_b32_e32 v6, s16
	s_and_saveexec_b64 s[10:11], s[8:9]
.LBB64_100:                             ;   in Loop: Header=BB64_59 Depth=1
	v_lshrrev_b32_e32 v6, 24, v13
	v_and_or_b32 v6, v6, s27, v14
.LBB64_101:                             ;   in Loop: Header=BB64_59 Depth=1
	s_or_b64 exec, exec, s[10:11]
.LBB64_102:                             ;   in Loop: Header=BB64_59 Depth=1
	s_or_b64 exec, exec, s[6:7]
	v_fma_mixlo_f16 v5, v36, v5, 0 op_sel:[0,1,0] op_sel_hi:[0,1,0]
	v_mul_f16_sdwa v5, v7, v5 dst_sel:DWORD dst_unused:UNUSED_PAD src0_sel:WORD_1 src1_sel:DWORD
	v_cvt_f32_f16_e32 v5, v5
	v_div_scale_f32 v7, s[6:7], v12, v12, v5
	v_rcp_f32_e32 v13, v7
	v_div_scale_f32 v14, vcc, v5, v12, v5
	v_fma_f32 v15, -v7, v13, 1.0
	v_fmac_f32_e32 v13, v15, v13
	v_mul_f32_e32 v15, v14, v13
	v_fma_f32 v16, -v7, v15, v14
	v_fmac_f32_e32 v15, v16, v13
	v_fma_f32 v7, -v7, v15, v14
	v_div_fmas_f32 v7, v7, v13, v15
	v_div_fixup_f32 v5, v7, v12, v5
	v_min_f32_e32 v5, 0x43600000, v5
	v_max_f32_e32 v5, 0xc3600000, v5
	v_and_b32_e32 v7, 0x7fffffff, v5
	v_cmp_gt_u32_e32 vcc, s23, v7
	s_and_saveexec_b64 s[6:7], vcc
	s_cbranch_execz .LBB64_108
; %bb.103:                              ;   in Loop: Header=BB64_59 Depth=1
	v_cmp_lt_u32_e32 vcc, s24, v7
	s_mov_b64 s[8:9], 0
                                        ; implicit-def: $vgpr7
	s_and_saveexec_b64 s[10:11], vcc
	s_xor_b64 s[10:11], exec, s[10:11]
	s_cbranch_execnz .LBB64_170
; %bb.104:                              ;   in Loop: Header=BB64_59 Depth=1
	s_or_saveexec_b64 s[10:11], s[10:11]
                                        ; implicit-def: $sgpr16
	s_xor_b64 exec, exec, s[10:11]
	s_cbranch_execnz .LBB64_171
.LBB64_105:                             ;   in Loop: Header=BB64_59 Depth=1
	s_or_b64 exec, exec, s[10:11]
	v_mov_b32_e32 v4, s16
	s_and_saveexec_b64 s[10:11], s[8:9]
.LBB64_106:                             ;   in Loop: Header=BB64_59 Depth=1
	v_lshrrev_b32_e32 v4, 24, v5
	v_and_or_b32 v4, v4, s27, v7
.LBB64_107:                             ;   in Loop: Header=BB64_59 Depth=1
	s_or_b64 exec, exec, s[10:11]
.LBB64_108:                             ;   in Loop: Header=BB64_59 Depth=1
	s_or_b64 exec, exec, s[6:7]
	v_lshlrev_b64 v[12:13], 2, v[2:3]
	v_mov_b32_e32 v3, s20
	v_add_co_u32_e32 v12, vcc, s13, v12
	v_addc_co_u32_e32 v13, vcc, v3, v13, vcc
	v_lshlrev_b32_e32 v3, 16, v6
	v_perm_b32 v3, v4, v3, s28
	v_lshlrev_b32_e32 v4, 8, v8
	v_and_b32_e32 v4, 0xff00, v4
	v_and_b32_e32 v5, 0xff, v9
	v_or3_b32 v3, v3, v4, v5
	v_add_u32_e32 v4, s22, v0
	v_cmp_gt_u32_e32 vcc, s12, v4
	s_mov_b64 s[8:9], -1
	global_store_dword v[12:13], v3, off
	s_and_saveexec_b64 s[6:7], vcc
	s_cbranch_execz .LBB64_57
; %bb.109:                              ;   in Loop: Header=BB64_59 Depth=1
	v_mov_b32_e32 v5, v1
	v_lshlrev_b64 v[8:9], 3, v[4:5]
	v_mov_b32_e32 v3, s44
	v_add_co_u32_e32 v6, vcc, s33, v8
	v_addc_co_u32_e32 v7, vcc, v3, v9, vcc
	v_mov_b32_e32 v3, s15
	v_add_co_u32_e32 v8, vcc, s14, v8
	global_load_dwordx2 v[6:7], v[6:7], off
	v_addc_co_u32_e32 v9, vcc, v3, v9, vcc
	global_load_dwordx2 v[8:9], v[8:9], off
	v_lshrrev_b32_e32 v3, 2, v4
	v_and_b32_e32 v3, 0xffffffc, v3
	global_load_dword v13, v3, s[0:1]
	s_waitcnt vmcnt(2)
	v_fma_mixlo_f16 v3, v36, v6, 0 op_sel_hi:[0,1,0]
	s_waitcnt vmcnt(1)
	v_mul_f16_e32 v3, v8, v3
	v_cvt_f32_f16_e32 v12, v3
	v_mov_b32_e32 v3, 0x80
	s_waitcnt vmcnt(0)
	v_div_scale_f32 v14, s[8:9], v13, v13, v12
	v_rcp_f32_e32 v15, v14
	v_div_scale_f32 v16, vcc, v12, v13, v12
	v_fma_f32 v17, -v14, v15, 1.0
	v_fmac_f32_e32 v15, v17, v15
	v_mul_f32_e32 v17, v16, v15
	v_fma_f32 v18, -v14, v17, v16
	v_fmac_f32_e32 v17, v18, v15
	v_fma_f32 v14, -v14, v17, v16
	v_div_fmas_f32 v14, v14, v15, v17
	v_div_fixup_f32 v12, v14, v13, v12
	v_min_f32_e32 v12, 0x43600000, v12
	v_max_f32_e32 v14, 0xc3600000, v12
	v_and_b32_e32 v15, 0x7fffffff, v14
	v_cmp_gt_u32_e32 vcc, s23, v15
	v_mov_b32_e32 v12, 0x80
	s_and_saveexec_b64 s[8:9], vcc
	s_cbranch_execz .LBB64_115
; %bb.110:                              ;   in Loop: Header=BB64_59 Depth=1
	v_cmp_lt_u32_e32 vcc, s24, v15
	s_mov_b64 s[10:11], 0
                                        ; implicit-def: $vgpr15
	s_and_saveexec_b64 s[16:17], vcc
	s_xor_b64 s[16:17], exec, s[16:17]
	s_cbranch_execnz .LBB64_172
; %bb.111:                              ;   in Loop: Header=BB64_59 Depth=1
	s_or_saveexec_b64 s[16:17], s[16:17]
                                        ; implicit-def: $sgpr18
	s_xor_b64 exec, exec, s[16:17]
	s_cbranch_execnz .LBB64_173
.LBB64_112:                             ;   in Loop: Header=BB64_59 Depth=1
	s_or_b64 exec, exec, s[16:17]
	v_mov_b32_e32 v12, s18
	s_and_saveexec_b64 s[16:17], s[10:11]
.LBB64_113:                             ;   in Loop: Header=BB64_59 Depth=1
	v_lshrrev_b32_e32 v12, 24, v14
	v_and_or_b32 v12, v12, s27, v15
.LBB64_114:                             ;   in Loop: Header=BB64_59 Depth=1
	s_or_b64 exec, exec, s[16:17]
.LBB64_115:                             ;   in Loop: Header=BB64_59 Depth=1
	s_or_b64 exec, exec, s[8:9]
	v_fma_mixlo_f16 v6, v36, v6, 0 op_sel:[0,1,0] op_sel_hi:[0,1,0]
	v_mul_f16_sdwa v6, v8, v6 dst_sel:DWORD dst_unused:UNUSED_PAD src0_sel:WORD_1 src1_sel:DWORD
	v_cvt_f32_f16_e32 v6, v6
	v_div_scale_f32 v8, s[8:9], v13, v13, v6
	v_rcp_f32_e32 v14, v8
	v_div_scale_f32 v15, vcc, v6, v13, v6
	v_fma_f32 v16, -v8, v14, 1.0
	v_fmac_f32_e32 v14, v16, v14
	v_mul_f32_e32 v16, v15, v14
	v_fma_f32 v17, -v8, v16, v15
	v_fmac_f32_e32 v16, v17, v14
	v_fma_f32 v8, -v8, v16, v15
	v_div_fmas_f32 v8, v8, v14, v16
	v_div_fixup_f32 v6, v8, v13, v6
	v_min_f32_e32 v6, 0x43600000, v6
	v_max_f32_e32 v6, 0xc3600000, v6
	v_and_b32_e32 v8, 0x7fffffff, v6
	v_cmp_gt_u32_e32 vcc, s23, v8
	s_and_saveexec_b64 s[8:9], vcc
	s_cbranch_execz .LBB64_121
; %bb.116:                              ;   in Loop: Header=BB64_59 Depth=1
	v_cmp_lt_u32_e32 vcc, s24, v8
	s_mov_b64 s[10:11], 0
                                        ; implicit-def: $vgpr8
	s_and_saveexec_b64 s[16:17], vcc
	s_xor_b64 s[16:17], exec, s[16:17]
	s_cbranch_execnz .LBB64_174
; %bb.117:                              ;   in Loop: Header=BB64_59 Depth=1
	s_or_saveexec_b64 s[16:17], s[16:17]
                                        ; implicit-def: $sgpr18
	s_xor_b64 exec, exec, s[16:17]
	s_cbranch_execnz .LBB64_175
.LBB64_118:                             ;   in Loop: Header=BB64_59 Depth=1
	s_or_b64 exec, exec, s[16:17]
	v_mov_b32_e32 v3, s18
	s_and_saveexec_b64 s[16:17], s[10:11]
.LBB64_119:                             ;   in Loop: Header=BB64_59 Depth=1
	v_lshrrev_b32_e32 v3, 24, v6
	v_and_or_b32 v3, v3, s27, v8
.LBB64_120:                             ;   in Loop: Header=BB64_59 Depth=1
	s_or_b64 exec, exec, s[16:17]
.LBB64_121:                             ;   in Loop: Header=BB64_59 Depth=1
	s_or_b64 exec, exec, s[8:9]
	v_fma_mixlo_f16 v6, v36, v7, 0 op_sel_hi:[0,1,0]
	v_mul_f16_e32 v6, v9, v6
	v_cvt_f32_f16_e32 v8, v6
	v_mov_b32_e32 v6, 0x80
	v_div_scale_f32 v14, s[8:9], v13, v13, v8
	v_rcp_f32_e32 v15, v14
	v_div_scale_f32 v16, vcc, v8, v13, v8
	v_fma_f32 v17, -v14, v15, 1.0
	v_fmac_f32_e32 v15, v17, v15
	v_mul_f32_e32 v17, v16, v15
	v_fma_f32 v18, -v14, v17, v16
	v_fmac_f32_e32 v17, v18, v15
	v_fma_f32 v14, -v14, v17, v16
	v_div_fmas_f32 v14, v14, v15, v17
	v_div_fixup_f32 v8, v14, v13, v8
	v_min_f32_e32 v8, 0x43600000, v8
	v_max_f32_e32 v14, 0xc3600000, v8
	v_and_b32_e32 v15, 0x7fffffff, v14
	v_cmp_gt_u32_e32 vcc, s23, v15
	v_mov_b32_e32 v8, 0x80
	s_and_saveexec_b64 s[8:9], vcc
	s_cbranch_execz .LBB64_127
; %bb.122:                              ;   in Loop: Header=BB64_59 Depth=1
	v_cmp_lt_u32_e32 vcc, s24, v15
	s_mov_b64 s[10:11], 0
                                        ; implicit-def: $vgpr15
	s_and_saveexec_b64 s[16:17], vcc
	s_xor_b64 s[16:17], exec, s[16:17]
	s_cbranch_execnz .LBB64_176
; %bb.123:                              ;   in Loop: Header=BB64_59 Depth=1
	s_or_saveexec_b64 s[16:17], s[16:17]
                                        ; implicit-def: $sgpr18
	s_xor_b64 exec, exec, s[16:17]
	s_cbranch_execnz .LBB64_177
.LBB64_124:                             ;   in Loop: Header=BB64_59 Depth=1
	s_or_b64 exec, exec, s[16:17]
	v_mov_b32_e32 v8, s18
	s_and_saveexec_b64 s[16:17], s[10:11]
.LBB64_125:                             ;   in Loop: Header=BB64_59 Depth=1
	v_lshrrev_b32_e32 v8, 24, v14
	v_and_or_b32 v8, v8, s27, v15
.LBB64_126:                             ;   in Loop: Header=BB64_59 Depth=1
	s_or_b64 exec, exec, s[16:17]
.LBB64_127:                             ;   in Loop: Header=BB64_59 Depth=1
	s_or_b64 exec, exec, s[8:9]
	v_fma_mixlo_f16 v7, v36, v7, 0 op_sel:[0,1,0] op_sel_hi:[0,1,0]
	v_mul_f16_sdwa v7, v9, v7 dst_sel:DWORD dst_unused:UNUSED_PAD src0_sel:WORD_1 src1_sel:DWORD
	v_cvt_f32_f16_e32 v7, v7
	v_div_scale_f32 v9, s[8:9], v13, v13, v7
	v_rcp_f32_e32 v14, v9
	v_div_scale_f32 v15, vcc, v7, v13, v7
	v_fma_f32 v16, -v9, v14, 1.0
	v_fmac_f32_e32 v14, v16, v14
	v_mul_f32_e32 v16, v15, v14
	v_fma_f32 v17, -v9, v16, v15
	v_fmac_f32_e32 v16, v17, v14
	v_fma_f32 v9, -v9, v16, v15
	v_div_fmas_f32 v9, v9, v14, v16
	v_div_fixup_f32 v7, v9, v13, v7
	v_min_f32_e32 v7, 0x43600000, v7
	v_max_f32_e32 v7, 0xc3600000, v7
	v_and_b32_e32 v9, 0x7fffffff, v7
	v_cmp_gt_u32_e32 vcc, s23, v9
	s_and_saveexec_b64 s[8:9], vcc
	s_cbranch_execz .LBB64_133
; %bb.128:                              ;   in Loop: Header=BB64_59 Depth=1
	v_cmp_lt_u32_e32 vcc, s24, v9
	s_mov_b64 s[10:11], 0
                                        ; implicit-def: $vgpr9
	s_and_saveexec_b64 s[16:17], vcc
	s_xor_b64 s[16:17], exec, s[16:17]
	s_cbranch_execnz .LBB64_178
; %bb.129:                              ;   in Loop: Header=BB64_59 Depth=1
	s_or_saveexec_b64 s[16:17], s[16:17]
                                        ; implicit-def: $sgpr18
	s_xor_b64 exec, exec, s[16:17]
	s_cbranch_execnz .LBB64_179
.LBB64_130:                             ;   in Loop: Header=BB64_59 Depth=1
	s_or_b64 exec, exec, s[16:17]
	v_mov_b32_e32 v6, s18
	s_and_saveexec_b64 s[16:17], s[10:11]
.LBB64_131:                             ;   in Loop: Header=BB64_59 Depth=1
	v_lshrrev_b32_e32 v6, 24, v7
	v_and_or_b32 v6, v6, s27, v9
.LBB64_132:                             ;   in Loop: Header=BB64_59 Depth=1
	s_or_b64 exec, exec, s[16:17]
.LBB64_133:                             ;   in Loop: Header=BB64_59 Depth=1
	s_or_b64 exec, exec, s[8:9]
	v_lshlrev_b64 v[4:5], 2, v[4:5]
	v_mov_b32_e32 v7, s20
	v_add_co_u32_e32 v4, vcc, s13, v4
	v_addc_co_u32_e32 v5, vcc, v7, v5, vcc
	v_lshlrev_b32_e32 v7, 16, v8
	v_lshlrev_b32_e32 v3, 8, v3
	v_perm_b32 v6, v6, v7, s28
	v_and_b32_e32 v3, 0xff00, v3
	v_and_b32_e32 v7, 0xff, v12
	v_add_u32_e32 v0, s21, v0
	v_or3_b32 v3, v6, v3, v7
	v_cmp_gt_u32_e32 vcc, s12, v0
	s_mov_b64 s[10:11], -1
	global_store_dword v[4:5], v3, off
	s_and_saveexec_b64 s[8:9], vcc
	s_cbranch_execz .LBB64_56
; %bb.134:                              ;   in Loop: Header=BB64_59 Depth=1
	v_lshlrev_b64 v[6:7], 3, v[0:1]
	v_mov_b32_e32 v3, s44
	v_add_co_u32_e32 v4, vcc, s33, v6
	v_addc_co_u32_e32 v5, vcc, v3, v7, vcc
	v_mov_b32_e32 v3, s15
	v_add_co_u32_e32 v6, vcc, s14, v6
	global_load_dwordx2 v[4:5], v[4:5], off
	v_addc_co_u32_e32 v7, vcc, v3, v7, vcc
	global_load_dwordx2 v[6:7], v[6:7], off
	v_lshrrev_b32_e32 v3, 2, v0
	v_and_b32_e32 v3, 0xffffffc, v3
	global_load_dword v9, v3, s[0:1]
	s_waitcnt vmcnt(2)
	v_fma_mixlo_f16 v3, v36, v4, 0 op_sel_hi:[0,1,0]
	s_waitcnt vmcnt(1)
	v_mul_f16_e32 v3, v6, v3
	v_cvt_f32_f16_e32 v8, v3
	v_mov_b32_e32 v3, 0x80
	s_waitcnt vmcnt(0)
	v_div_scale_f32 v12, s[10:11], v9, v9, v8
	v_rcp_f32_e32 v13, v12
	v_div_scale_f32 v14, vcc, v8, v9, v8
	v_fma_f32 v15, -v12, v13, 1.0
	v_fmac_f32_e32 v13, v15, v13
	v_mul_f32_e32 v15, v14, v13
	v_fma_f32 v16, -v12, v15, v14
	v_fmac_f32_e32 v15, v16, v13
	v_fma_f32 v12, -v12, v15, v14
	v_div_fmas_f32 v12, v12, v13, v15
	v_div_fixup_f32 v8, v12, v9, v8
	v_min_f32_e32 v8, 0x43600000, v8
	v_max_f32_e32 v12, 0xc3600000, v8
	v_and_b32_e32 v13, 0x7fffffff, v12
	v_cmp_gt_u32_e32 vcc, s23, v13
	v_mov_b32_e32 v8, 0x80
	s_and_saveexec_b64 s[10:11], vcc
	s_cbranch_execz .LBB64_140
; %bb.135:                              ;   in Loop: Header=BB64_59 Depth=1
	v_cmp_lt_u32_e32 vcc, s24, v13
	s_mov_b64 s[16:17], 0
                                        ; implicit-def: $vgpr13
	s_and_saveexec_b64 s[18:19], vcc
	s_xor_b64 s[18:19], exec, s[18:19]
	s_cbranch_execnz .LBB64_180
; %bb.136:                              ;   in Loop: Header=BB64_59 Depth=1
	s_or_saveexec_b64 s[18:19], s[18:19]
                                        ; implicit-def: $sgpr29
	s_xor_b64 exec, exec, s[18:19]
	s_cbranch_execnz .LBB64_181
.LBB64_137:                             ;   in Loop: Header=BB64_59 Depth=1
	s_or_b64 exec, exec, s[18:19]
	v_mov_b32_e32 v8, s29
	s_and_saveexec_b64 s[18:19], s[16:17]
.LBB64_138:                             ;   in Loop: Header=BB64_59 Depth=1
	v_lshrrev_b32_e32 v8, 24, v12
	v_and_or_b32 v8, v8, s27, v13
.LBB64_139:                             ;   in Loop: Header=BB64_59 Depth=1
	s_or_b64 exec, exec, s[18:19]
.LBB64_140:                             ;   in Loop: Header=BB64_59 Depth=1
	s_or_b64 exec, exec, s[10:11]
	v_fma_mixlo_f16 v4, v36, v4, 0 op_sel:[0,1,0] op_sel_hi:[0,1,0]
	v_mul_f16_sdwa v4, v6, v4 dst_sel:DWORD dst_unused:UNUSED_PAD src0_sel:WORD_1 src1_sel:DWORD
	v_cvt_f32_f16_e32 v4, v4
	v_div_scale_f32 v6, s[10:11], v9, v9, v4
	v_rcp_f32_e32 v12, v6
	v_div_scale_f32 v13, vcc, v4, v9, v4
	v_fma_f32 v14, -v6, v12, 1.0
	v_fmac_f32_e32 v12, v14, v12
	v_mul_f32_e32 v14, v13, v12
	v_fma_f32 v15, -v6, v14, v13
	v_fmac_f32_e32 v14, v15, v12
	v_fma_f32 v6, -v6, v14, v13
	v_div_fmas_f32 v6, v6, v12, v14
	v_div_fixup_f32 v4, v6, v9, v4
	v_min_f32_e32 v4, 0x43600000, v4
	v_max_f32_e32 v4, 0xc3600000, v4
	v_and_b32_e32 v6, 0x7fffffff, v4
	v_cmp_gt_u32_e32 vcc, s23, v6
	s_and_saveexec_b64 s[10:11], vcc
	s_cbranch_execz .LBB64_146
; %bb.141:                              ;   in Loop: Header=BB64_59 Depth=1
	v_cmp_lt_u32_e32 vcc, s24, v6
	s_mov_b64 s[16:17], 0
                                        ; implicit-def: $vgpr6
	s_and_saveexec_b64 s[18:19], vcc
	s_xor_b64 s[18:19], exec, s[18:19]
	s_cbranch_execnz .LBB64_182
; %bb.142:                              ;   in Loop: Header=BB64_59 Depth=1
	s_or_saveexec_b64 s[18:19], s[18:19]
                                        ; implicit-def: $sgpr29
	s_xor_b64 exec, exec, s[18:19]
	s_cbranch_execnz .LBB64_183
.LBB64_143:                             ;   in Loop: Header=BB64_59 Depth=1
	s_or_b64 exec, exec, s[18:19]
	v_mov_b32_e32 v3, s29
	s_and_saveexec_b64 s[18:19], s[16:17]
.LBB64_144:                             ;   in Loop: Header=BB64_59 Depth=1
	v_lshrrev_b32_e32 v3, 24, v4
	v_and_or_b32 v3, v3, s27, v6
.LBB64_145:                             ;   in Loop: Header=BB64_59 Depth=1
	s_or_b64 exec, exec, s[18:19]
.LBB64_146:                             ;   in Loop: Header=BB64_59 Depth=1
	s_or_b64 exec, exec, s[10:11]
	v_fma_mixlo_f16 v4, v36, v5, 0 op_sel_hi:[0,1,0]
	v_mul_f16_e32 v4, v7, v4
	v_cvt_f32_f16_e32 v6, v4
	v_mov_b32_e32 v4, 0x80
	v_div_scale_f32 v12, s[10:11], v9, v9, v6
	v_rcp_f32_e32 v13, v12
	v_div_scale_f32 v14, vcc, v6, v9, v6
	v_fma_f32 v15, -v12, v13, 1.0
	v_fmac_f32_e32 v13, v15, v13
	v_mul_f32_e32 v15, v14, v13
	v_fma_f32 v16, -v12, v15, v14
	v_fmac_f32_e32 v15, v16, v13
	v_fma_f32 v12, -v12, v15, v14
	v_div_fmas_f32 v12, v12, v13, v15
	v_div_fixup_f32 v6, v12, v9, v6
	v_min_f32_e32 v6, 0x43600000, v6
	v_max_f32_e32 v12, 0xc3600000, v6
	v_and_b32_e32 v13, 0x7fffffff, v12
	v_cmp_gt_u32_e32 vcc, s23, v13
	v_mov_b32_e32 v6, 0x80
	s_and_saveexec_b64 s[10:11], vcc
	s_cbranch_execz .LBB64_152
; %bb.147:                              ;   in Loop: Header=BB64_59 Depth=1
	v_cmp_lt_u32_e32 vcc, s24, v13
	s_mov_b64 s[16:17], 0
                                        ; implicit-def: $vgpr13
	s_and_saveexec_b64 s[18:19], vcc
	s_xor_b64 s[18:19], exec, s[18:19]
	s_cbranch_execnz .LBB64_184
; %bb.148:                              ;   in Loop: Header=BB64_59 Depth=1
	s_or_saveexec_b64 s[18:19], s[18:19]
                                        ; implicit-def: $sgpr29
	s_xor_b64 exec, exec, s[18:19]
	s_cbranch_execnz .LBB64_185
.LBB64_149:                             ;   in Loop: Header=BB64_59 Depth=1
	s_or_b64 exec, exec, s[18:19]
	v_mov_b32_e32 v6, s29
	s_and_saveexec_b64 s[18:19], s[16:17]
.LBB64_150:                             ;   in Loop: Header=BB64_59 Depth=1
	v_lshrrev_b32_e32 v6, 24, v12
	v_and_or_b32 v6, v6, s27, v13
.LBB64_151:                             ;   in Loop: Header=BB64_59 Depth=1
	s_or_b64 exec, exec, s[18:19]
.LBB64_152:                             ;   in Loop: Header=BB64_59 Depth=1
	s_or_b64 exec, exec, s[10:11]
	v_fma_mixlo_f16 v5, v36, v5, 0 op_sel:[0,1,0] op_sel_hi:[0,1,0]
	v_mul_f16_sdwa v5, v7, v5 dst_sel:DWORD dst_unused:UNUSED_PAD src0_sel:WORD_1 src1_sel:DWORD
	v_cvt_f32_f16_e32 v5, v5
	v_div_scale_f32 v7, s[10:11], v9, v9, v5
	v_rcp_f32_e32 v12, v7
	v_div_scale_f32 v13, vcc, v5, v9, v5
	v_fma_f32 v14, -v7, v12, 1.0
	v_fmac_f32_e32 v12, v14, v12
	v_mul_f32_e32 v14, v13, v12
	v_fma_f32 v15, -v7, v14, v13
	v_fmac_f32_e32 v14, v15, v12
	v_fma_f32 v7, -v7, v14, v13
	v_div_fmas_f32 v7, v7, v12, v14
	v_div_fixup_f32 v5, v7, v9, v5
	v_min_f32_e32 v5, 0x43600000, v5
	v_max_f32_e32 v5, 0xc3600000, v5
	v_and_b32_e32 v7, 0x7fffffff, v5
	v_cmp_gt_u32_e32 vcc, s23, v7
	s_and_saveexec_b64 s[10:11], vcc
	s_cbranch_execz .LBB64_55
; %bb.153:                              ;   in Loop: Header=BB64_59 Depth=1
	v_cmp_lt_u32_e32 vcc, s24, v7
	s_mov_b64 s[16:17], 0
                                        ; implicit-def: $vgpr7
	s_and_saveexec_b64 s[18:19], vcc
	s_xor_b64 s[18:19], exec, s[18:19]
	s_cbranch_execnz .LBB64_186
; %bb.154:                              ;   in Loop: Header=BB64_59 Depth=1
	s_or_saveexec_b64 s[18:19], s[18:19]
                                        ; implicit-def: $sgpr29
	s_xor_b64 exec, exec, s[18:19]
	s_cbranch_execnz .LBB64_187
.LBB64_155:                             ;   in Loop: Header=BB64_59 Depth=1
	s_or_b64 exec, exec, s[18:19]
	v_mov_b32_e32 v4, s29
	s_and_saveexec_b64 s[18:19], s[16:17]
	s_cbranch_execz .LBB64_54
	s_branch .LBB64_188
.LBB64_156:                             ;   in Loop: Header=BB64_59 Depth=1
	v_bfe_u32 v8, v9, 20, 1
	v_add3_u32 v8, v9, v8, s25
	s_mov_b64 s[6:7], exec
	v_lshrrev_b32_e32 v12, 20, v8
	s_or_saveexec_b64 s[8:9], s[8:9]
                                        ; implicit-def: $sgpr10
	s_xor_b64 exec, exec, s[8:9]
	s_cbranch_execz .LBB64_62
.LBB64_157:                             ;   in Loop: Header=BB64_59 Depth=1
	v_add_f32_e64 v8, |v9|, s26
	v_and_b32_e32 v12, 0xff, v8
	v_cmp_ne_u32_e32 vcc, 0, v12
	s_andn2_b64 s[6:7], s[6:7], exec
	s_and_b64 s[16:17], vcc, exec
	s_mov_b32 s10, 0
	s_or_b64 s[6:7], s[6:7], s[16:17]
	s_or_b64 exec, exec, s[8:9]
	v_mov_b32_e32 v8, s10
	s_and_saveexec_b64 s[8:9], s[6:7]
	s_cbranch_execnz .LBB64_63
	s_branch .LBB64_64
.LBB64_158:                             ;   in Loop: Header=BB64_59 Depth=1
	v_bfe_u32 v4, v2, 20, 1
	v_add3_u32 v4, v2, v4, s25
	s_mov_b64 s[6:7], exec
	v_lshrrev_b32_e32 v4, 20, v4
	s_or_saveexec_b64 s[8:9], s[8:9]
                                        ; implicit-def: $sgpr10
	s_xor_b64 exec, exec, s[8:9]
	s_cbranch_execz .LBB64_68
.LBB64_159:                             ;   in Loop: Header=BB64_59 Depth=1
	v_add_f32_e64 v4, |v2|, s26
	v_and_b32_e32 v4, 0xff, v4
	v_cmp_ne_u32_e32 vcc, 0, v4
	s_andn2_b64 s[6:7], s[6:7], exec
	s_and_b64 s[16:17], vcc, exec
	s_mov_b32 s10, 0
	s_or_b64 s[6:7], s[6:7], s[16:17]
	s_or_b64 exec, exec, s[8:9]
	v_mov_b32_e32 v6, s10
	s_and_saveexec_b64 s[8:9], s[6:7]
	s_cbranch_execnz .LBB64_69
	s_branch .LBB64_70
.LBB64_160:                             ;   in Loop: Header=BB64_59 Depth=1
	v_bfe_u32 v4, v9, 20, 1
	v_add3_u32 v4, v9, v4, s25
	s_mov_b64 s[6:7], exec
	v_lshrrev_b32_e32 v12, 20, v4
	s_or_saveexec_b64 s[8:9], s[8:9]
                                        ; implicit-def: $sgpr10
	s_xor_b64 exec, exec, s[8:9]
	s_cbranch_execz .LBB64_74
.LBB64_161:                             ;   in Loop: Header=BB64_59 Depth=1
	v_add_f32_e64 v4, |v9|, s26
	v_and_b32_e32 v12, 0xff, v4
	v_cmp_ne_u32_e32 vcc, 0, v12
	s_andn2_b64 s[6:7], s[6:7], exec
	s_and_b64 s[16:17], vcc, exec
	s_mov_b32 s10, 0
	s_or_b64 s[6:7], s[6:7], s[16:17]
	s_or_b64 exec, exec, s[8:9]
	v_mov_b32_e32 v4, s10
	s_and_saveexec_b64 s[8:9], s[6:7]
	s_cbranch_execnz .LBB64_75
	s_branch .LBB64_76
.LBB64_162:                             ;   in Loop: Header=BB64_59 Depth=1
	v_bfe_u32 v2, v3, 20, 1
	v_add3_u32 v2, v3, v2, s25
	s_mov_b64 s[6:7], exec
	v_lshrrev_b32_e32 v5, 20, v2
	s_or_saveexec_b64 s[8:9], s[8:9]
                                        ; implicit-def: $sgpr10
	s_xor_b64 exec, exec, s[8:9]
	s_cbranch_execz .LBB64_80
.LBB64_163:                             ;   in Loop: Header=BB64_59 Depth=1
	v_add_f32_e64 v2, |v3|, s26
	v_and_b32_e32 v5, 0xff, v2
	v_cmp_ne_u32_e32 vcc, 0, v5
	s_andn2_b64 s[6:7], s[6:7], exec
	s_and_b64 s[16:17], vcc, exec
	s_mov_b32 s10, 0
	s_or_b64 s[6:7], s[6:7], s[16:17]
	s_or_b64 exec, exec, s[8:9]
	v_mov_b32_e32 v2, s10
	s_and_saveexec_b64 s[8:9], s[6:7]
	s_cbranch_execnz .LBB64_81
	s_branch .LBB64_82
.LBB64_164:                             ;   in Loop: Header=BB64_59 Depth=1
	v_bfe_u32 v9, v13, 20, 1
	v_add3_u32 v9, v13, v9, s25
	s_mov_b64 s[8:9], exec
	v_lshrrev_b32_e32 v14, 20, v9
	s_or_saveexec_b64 s[10:11], s[10:11]
                                        ; implicit-def: $sgpr16
	s_xor_b64 exec, exec, s[10:11]
	s_cbranch_execz .LBB64_87
.LBB64_165:                             ;   in Loop: Header=BB64_59 Depth=1
	v_add_f32_e64 v9, |v13|, s26
	v_and_b32_e32 v14, 0xff, v9
	v_cmp_ne_u32_e32 vcc, 0, v14
	s_andn2_b64 s[8:9], s[8:9], exec
	s_and_b64 s[18:19], vcc, exec
	s_mov_b32 s16, 0
	s_or_b64 s[8:9], s[8:9], s[18:19]
	s_or_b64 exec, exec, s[10:11]
	v_mov_b32_e32 v9, s16
	s_and_saveexec_b64 s[10:11], s[8:9]
	s_cbranch_execnz .LBB64_88
	s_branch .LBB64_89
.LBB64_166:                             ;   in Loop: Header=BB64_59 Depth=1
	v_bfe_u32 v6, v4, 20, 1
	v_add3_u32 v6, v4, v6, s25
	s_mov_b64 s[8:9], exec
	v_lshrrev_b32_e32 v6, 20, v6
	s_or_saveexec_b64 s[10:11], s[10:11]
                                        ; implicit-def: $sgpr16
	s_xor_b64 exec, exec, s[10:11]
	s_cbranch_execz .LBB64_93
.LBB64_167:                             ;   in Loop: Header=BB64_59 Depth=1
	v_add_f32_e64 v6, |v4|, s26
	v_and_b32_e32 v6, 0xff, v6
	v_cmp_ne_u32_e32 vcc, 0, v6
	s_andn2_b64 s[8:9], s[8:9], exec
	s_and_b64 s[18:19], vcc, exec
	s_mov_b32 s16, 0
	s_or_b64 s[8:9], s[8:9], s[18:19]
	s_or_b64 exec, exec, s[10:11]
	v_mov_b32_e32 v8, s16
	s_and_saveexec_b64 s[10:11], s[8:9]
	s_cbranch_execnz .LBB64_94
	s_branch .LBB64_95
.LBB64_168:                             ;   in Loop: Header=BB64_59 Depth=1
	v_bfe_u32 v6, v13, 20, 1
	v_add3_u32 v6, v13, v6, s25
	s_mov_b64 s[8:9], exec
	v_lshrrev_b32_e32 v14, 20, v6
	s_or_saveexec_b64 s[10:11], s[10:11]
                                        ; implicit-def: $sgpr16
	s_xor_b64 exec, exec, s[10:11]
	s_cbranch_execz .LBB64_99
.LBB64_169:                             ;   in Loop: Header=BB64_59 Depth=1
	v_add_f32_e64 v6, |v13|, s26
	v_and_b32_e32 v14, 0xff, v6
	v_cmp_ne_u32_e32 vcc, 0, v14
	s_andn2_b64 s[8:9], s[8:9], exec
	s_and_b64 s[18:19], vcc, exec
	s_mov_b32 s16, 0
	s_or_b64 s[8:9], s[8:9], s[18:19]
	s_or_b64 exec, exec, s[10:11]
	v_mov_b32_e32 v6, s16
	s_and_saveexec_b64 s[10:11], s[8:9]
	s_cbranch_execnz .LBB64_100
	s_branch .LBB64_101
.LBB64_170:                             ;   in Loop: Header=BB64_59 Depth=1
	v_bfe_u32 v4, v5, 20, 1
	v_add3_u32 v4, v5, v4, s25
	s_mov_b64 s[8:9], exec
	v_lshrrev_b32_e32 v7, 20, v4
	s_or_saveexec_b64 s[10:11], s[10:11]
                                        ; implicit-def: $sgpr16
	s_xor_b64 exec, exec, s[10:11]
	s_cbranch_execz .LBB64_105
.LBB64_171:                             ;   in Loop: Header=BB64_59 Depth=1
	v_add_f32_e64 v4, |v5|, s26
	v_and_b32_e32 v7, 0xff, v4
	v_cmp_ne_u32_e32 vcc, 0, v7
	s_andn2_b64 s[8:9], s[8:9], exec
	s_and_b64 s[18:19], vcc, exec
	s_mov_b32 s16, 0
	s_or_b64 s[8:9], s[8:9], s[18:19]
	s_or_b64 exec, exec, s[10:11]
	v_mov_b32_e32 v4, s16
	s_and_saveexec_b64 s[10:11], s[8:9]
	s_cbranch_execnz .LBB64_106
	s_branch .LBB64_107
.LBB64_172:                             ;   in Loop: Header=BB64_59 Depth=1
	v_bfe_u32 v12, v14, 20, 1
	v_add3_u32 v12, v14, v12, s25
	s_mov_b64 s[10:11], exec
	v_lshrrev_b32_e32 v15, 20, v12
	s_or_saveexec_b64 s[16:17], s[16:17]
                                        ; implicit-def: $sgpr18
	s_xor_b64 exec, exec, s[16:17]
	s_cbranch_execz .LBB64_112
.LBB64_173:                             ;   in Loop: Header=BB64_59 Depth=1
	v_add_f32_e64 v12, |v14|, s26
	v_and_b32_e32 v15, 0xff, v12
	v_cmp_ne_u32_e32 vcc, 0, v15
	s_andn2_b64 s[10:11], s[10:11], exec
	s_and_b64 s[30:31], vcc, exec
	s_mov_b32 s18, 0
	s_or_b64 s[10:11], s[10:11], s[30:31]
	s_or_b64 exec, exec, s[16:17]
	v_mov_b32_e32 v12, s18
	s_and_saveexec_b64 s[16:17], s[10:11]
	s_cbranch_execnz .LBB64_113
	s_branch .LBB64_114
.LBB64_174:                             ;   in Loop: Header=BB64_59 Depth=1
	v_bfe_u32 v3, v6, 20, 1
	v_add3_u32 v3, v6, v3, s25
	s_mov_b64 s[10:11], exec
	v_lshrrev_b32_e32 v8, 20, v3
	s_or_saveexec_b64 s[16:17], s[16:17]
                                        ; implicit-def: $sgpr18
	s_xor_b64 exec, exec, s[16:17]
	s_cbranch_execz .LBB64_118
.LBB64_175:                             ;   in Loop: Header=BB64_59 Depth=1
	v_add_f32_e64 v3, |v6|, s26
	v_and_b32_e32 v8, 0xff, v3
	v_cmp_ne_u32_e32 vcc, 0, v8
	s_andn2_b64 s[10:11], s[10:11], exec
	s_and_b64 s[30:31], vcc, exec
	s_mov_b32 s18, 0
	s_or_b64 s[10:11], s[10:11], s[30:31]
	s_or_b64 exec, exec, s[16:17]
	v_mov_b32_e32 v3, s18
	s_and_saveexec_b64 s[16:17], s[10:11]
	s_cbranch_execnz .LBB64_119
	s_branch .LBB64_120
.LBB64_176:                             ;   in Loop: Header=BB64_59 Depth=1
	v_bfe_u32 v8, v14, 20, 1
	v_add3_u32 v8, v14, v8, s25
	s_mov_b64 s[10:11], exec
	v_lshrrev_b32_e32 v15, 20, v8
	s_or_saveexec_b64 s[16:17], s[16:17]
                                        ; implicit-def: $sgpr18
	s_xor_b64 exec, exec, s[16:17]
	s_cbranch_execz .LBB64_124
.LBB64_177:                             ;   in Loop: Header=BB64_59 Depth=1
	v_add_f32_e64 v8, |v14|, s26
	v_and_b32_e32 v15, 0xff, v8
	v_cmp_ne_u32_e32 vcc, 0, v15
	s_andn2_b64 s[10:11], s[10:11], exec
	s_and_b64 s[30:31], vcc, exec
	s_mov_b32 s18, 0
	s_or_b64 s[10:11], s[10:11], s[30:31]
	s_or_b64 exec, exec, s[16:17]
	v_mov_b32_e32 v8, s18
	s_and_saveexec_b64 s[16:17], s[10:11]
	s_cbranch_execnz .LBB64_125
	s_branch .LBB64_126
.LBB64_178:                             ;   in Loop: Header=BB64_59 Depth=1
	v_bfe_u32 v6, v7, 20, 1
	v_add3_u32 v6, v7, v6, s25
	s_mov_b64 s[10:11], exec
	v_lshrrev_b32_e32 v9, 20, v6
	s_or_saveexec_b64 s[16:17], s[16:17]
                                        ; implicit-def: $sgpr18
	s_xor_b64 exec, exec, s[16:17]
	s_cbranch_execz .LBB64_130
.LBB64_179:                             ;   in Loop: Header=BB64_59 Depth=1
	v_add_f32_e64 v6, |v7|, s26
	v_and_b32_e32 v9, 0xff, v6
	v_cmp_ne_u32_e32 vcc, 0, v9
	s_andn2_b64 s[10:11], s[10:11], exec
	s_and_b64 s[30:31], vcc, exec
	s_mov_b32 s18, 0
	s_or_b64 s[10:11], s[10:11], s[30:31]
	s_or_b64 exec, exec, s[16:17]
	v_mov_b32_e32 v6, s18
	s_and_saveexec_b64 s[16:17], s[10:11]
	s_cbranch_execnz .LBB64_131
	s_branch .LBB64_132
.LBB64_180:                             ;   in Loop: Header=BB64_59 Depth=1
	v_bfe_u32 v8, v12, 20, 1
	v_add3_u32 v8, v12, v8, s25
	s_mov_b64 s[16:17], exec
	v_lshrrev_b32_e32 v13, 20, v8
	s_or_saveexec_b64 s[18:19], s[18:19]
                                        ; implicit-def: $sgpr29
	s_xor_b64 exec, exec, s[18:19]
	s_cbranch_execz .LBB64_137
.LBB64_181:                             ;   in Loop: Header=BB64_59 Depth=1
	v_add_f32_e64 v8, |v12|, s26
	v_and_b32_e32 v13, 0xff, v8
	v_cmp_ne_u32_e32 vcc, 0, v13
	s_andn2_b64 s[16:17], s[16:17], exec
	s_and_b64 s[30:31], vcc, exec
	s_mov_b32 s29, 0
	s_or_b64 s[16:17], s[16:17], s[30:31]
	s_or_b64 exec, exec, s[18:19]
	v_mov_b32_e32 v8, s29
	s_and_saveexec_b64 s[18:19], s[16:17]
	s_cbranch_execnz .LBB64_138
	s_branch .LBB64_139
.LBB64_182:                             ;   in Loop: Header=BB64_59 Depth=1
	v_bfe_u32 v3, v4, 20, 1
	v_add3_u32 v3, v4, v3, s25
	s_mov_b64 s[16:17], exec
	v_lshrrev_b32_e32 v6, 20, v3
	s_or_saveexec_b64 s[18:19], s[18:19]
                                        ; implicit-def: $sgpr29
	s_xor_b64 exec, exec, s[18:19]
	s_cbranch_execz .LBB64_143
.LBB64_183:                             ;   in Loop: Header=BB64_59 Depth=1
	v_add_f32_e64 v3, |v4|, s26
	v_and_b32_e32 v6, 0xff, v3
	v_cmp_ne_u32_e32 vcc, 0, v6
	s_andn2_b64 s[16:17], s[16:17], exec
	s_and_b64 s[30:31], vcc, exec
	s_mov_b32 s29, 0
	s_or_b64 s[16:17], s[16:17], s[30:31]
	s_or_b64 exec, exec, s[18:19]
	v_mov_b32_e32 v3, s29
	s_and_saveexec_b64 s[18:19], s[16:17]
	s_cbranch_execnz .LBB64_144
	s_branch .LBB64_145
.LBB64_184:                             ;   in Loop: Header=BB64_59 Depth=1
	v_bfe_u32 v6, v12, 20, 1
	v_add3_u32 v6, v12, v6, s25
	s_mov_b64 s[16:17], exec
	v_lshrrev_b32_e32 v13, 20, v6
	s_or_saveexec_b64 s[18:19], s[18:19]
                                        ; implicit-def: $sgpr29
	s_xor_b64 exec, exec, s[18:19]
	s_cbranch_execz .LBB64_149
.LBB64_185:                             ;   in Loop: Header=BB64_59 Depth=1
	v_add_f32_e64 v6, |v12|, s26
	v_and_b32_e32 v13, 0xff, v6
	v_cmp_ne_u32_e32 vcc, 0, v13
	s_andn2_b64 s[16:17], s[16:17], exec
	s_and_b64 s[30:31], vcc, exec
	s_mov_b32 s29, 0
	s_or_b64 s[16:17], s[16:17], s[30:31]
	s_or_b64 exec, exec, s[18:19]
	v_mov_b32_e32 v6, s29
	s_and_saveexec_b64 s[18:19], s[16:17]
	s_cbranch_execnz .LBB64_150
	s_branch .LBB64_151
.LBB64_186:                             ;   in Loop: Header=BB64_59 Depth=1
	v_bfe_u32 v4, v5, 20, 1
	v_add3_u32 v4, v5, v4, s25
	s_mov_b64 s[16:17], exec
	v_lshrrev_b32_e32 v7, 20, v4
	s_or_saveexec_b64 s[18:19], s[18:19]
                                        ; implicit-def: $sgpr29
	s_xor_b64 exec, exec, s[18:19]
	s_cbranch_execz .LBB64_155
.LBB64_187:                             ;   in Loop: Header=BB64_59 Depth=1
	v_add_f32_e64 v4, |v5|, s26
	v_and_b32_e32 v7, 0xff, v4
	v_cmp_ne_u32_e32 vcc, 0, v7
	s_andn2_b64 s[16:17], s[16:17], exec
	s_and_b64 s[30:31], vcc, exec
	s_mov_b32 s29, 0
	s_or_b64 s[16:17], s[16:17], s[30:31]
	s_or_b64 exec, exec, s[18:19]
	v_mov_b32_e32 v4, s29
	s_and_saveexec_b64 s[18:19], s[16:17]
	s_cbranch_execz .LBB64_54
.LBB64_188:                             ;   in Loop: Header=BB64_59 Depth=1
	v_lshrrev_b32_e32 v4, 24, v5
	v_and_or_b32 v4, v4, s27, v7
	s_branch .LBB64_54
.LBB64_189:
	s_endpgm
	.section	.rodata,"a",@progbits
	.p2align	6, 0x0
	.amdhsa_kernel _ZN4vllm31rms_norm_per_block_quant_kernelIN3c104HalfENS1_15Float8_e4m3fnuzELb0ELb0ELi64EEEvPT0_PfPKT_S9_PKffiiPS7_l
		.amdhsa_group_segment_fixed_size 4164
		.amdhsa_private_segment_fixed_size 0
		.amdhsa_kernarg_size 328
		.amdhsa_user_sgpr_count 6
		.amdhsa_user_sgpr_private_segment_buffer 1
		.amdhsa_user_sgpr_dispatch_ptr 0
		.amdhsa_user_sgpr_queue_ptr 0
		.amdhsa_user_sgpr_kernarg_segment_ptr 1
		.amdhsa_user_sgpr_dispatch_id 0
		.amdhsa_user_sgpr_flat_scratch_init 0
		.amdhsa_user_sgpr_kernarg_preload_length 0
		.amdhsa_user_sgpr_kernarg_preload_offset 0
		.amdhsa_user_sgpr_private_segment_size 0
		.amdhsa_uses_dynamic_stack 0
		.amdhsa_system_sgpr_private_segment_wavefront_offset 0
		.amdhsa_system_sgpr_workgroup_id_x 1
		.amdhsa_system_sgpr_workgroup_id_y 0
		.amdhsa_system_sgpr_workgroup_id_z 0
		.amdhsa_system_sgpr_workgroup_info 0
		.amdhsa_system_vgpr_workitem_id 0
		.amdhsa_next_free_vgpr 40
		.amdhsa_next_free_sgpr 46
		.amdhsa_accum_offset 40
		.amdhsa_reserve_vcc 1
		.amdhsa_reserve_flat_scratch 0
		.amdhsa_float_round_mode_32 0
		.amdhsa_float_round_mode_16_64 0
		.amdhsa_float_denorm_mode_32 3
		.amdhsa_float_denorm_mode_16_64 3
		.amdhsa_dx10_clamp 1
		.amdhsa_ieee_mode 1
		.amdhsa_fp16_overflow 0
		.amdhsa_tg_split 0
		.amdhsa_exception_fp_ieee_invalid_op 0
		.amdhsa_exception_fp_denorm_src 0
		.amdhsa_exception_fp_ieee_div_zero 0
		.amdhsa_exception_fp_ieee_overflow 0
		.amdhsa_exception_fp_ieee_underflow 0
		.amdhsa_exception_fp_ieee_inexact 0
		.amdhsa_exception_int_div_zero 0
	.end_amdhsa_kernel
	.section	.text._ZN4vllm31rms_norm_per_block_quant_kernelIN3c104HalfENS1_15Float8_e4m3fnuzELb0ELb0ELi64EEEvPT0_PfPKT_S9_PKffiiPS7_l,"axG",@progbits,_ZN4vllm31rms_norm_per_block_quant_kernelIN3c104HalfENS1_15Float8_e4m3fnuzELb0ELb0ELi64EEEvPT0_PfPKT_S9_PKffiiPS7_l,comdat
.Lfunc_end64:
	.size	_ZN4vllm31rms_norm_per_block_quant_kernelIN3c104HalfENS1_15Float8_e4m3fnuzELb0ELb0ELi64EEEvPT0_PfPKT_S9_PKffiiPS7_l, .Lfunc_end64-_ZN4vllm31rms_norm_per_block_quant_kernelIN3c104HalfENS1_15Float8_e4m3fnuzELb0ELb0ELi64EEEvPT0_PfPKT_S9_PKffiiPS7_l
                                        ; -- End function
	.section	.AMDGPU.csdata,"",@progbits
; Kernel info:
; codeLenInByte = 9384
; NumSgprs: 50
; NumVgprs: 40
; NumAgprs: 0
; TotalNumVgprs: 40
; ScratchSize: 0
; MemoryBound: 0
; FloatMode: 240
; IeeeMode: 1
; LDSByteSize: 4164 bytes/workgroup (compile time only)
; SGPRBlocks: 6
; VGPRBlocks: 4
; NumSGPRsForWavesPerEU: 50
; NumVGPRsForWavesPerEU: 40
; AccumOffset: 40
; Occupancy: 8
; WaveLimiterHint : 0
; COMPUTE_PGM_RSRC2:SCRATCH_EN: 0
; COMPUTE_PGM_RSRC2:USER_SGPR: 6
; COMPUTE_PGM_RSRC2:TRAP_HANDLER: 0
; COMPUTE_PGM_RSRC2:TGID_X_EN: 1
; COMPUTE_PGM_RSRC2:TGID_Y_EN: 0
; COMPUTE_PGM_RSRC2:TGID_Z_EN: 0
; COMPUTE_PGM_RSRC2:TIDIG_COMP_CNT: 0
; COMPUTE_PGM_RSRC3_GFX90A:ACCUM_OFFSET: 9
; COMPUTE_PGM_RSRC3_GFX90A:TG_SPLIT: 0
	.section	.text._ZN4vllm31rms_norm_per_block_quant_kernelIN3c104HalfEaLb0ELb0ELi64EEEvPT0_PfPKT_S8_PKffiiPS6_l,"axG",@progbits,_ZN4vllm31rms_norm_per_block_quant_kernelIN3c104HalfEaLb0ELb0ELi64EEEvPT0_PfPKT_S8_PKffiiPS6_l,comdat
	.protected	_ZN4vllm31rms_norm_per_block_quant_kernelIN3c104HalfEaLb0ELb0ELi64EEEvPT0_PfPKT_S8_PKffiiPS6_l ; -- Begin function _ZN4vllm31rms_norm_per_block_quant_kernelIN3c104HalfEaLb0ELb0ELi64EEEvPT0_PfPKT_S8_PKffiiPS6_l
	.globl	_ZN4vllm31rms_norm_per_block_quant_kernelIN3c104HalfEaLb0ELb0ELi64EEEvPT0_PfPKT_S8_PKffiiPS6_l
	.p2align	8
	.type	_ZN4vllm31rms_norm_per_block_quant_kernelIN3c104HalfEaLb0ELb0ELi64EEEvPT0_PfPKT_S8_PKffiiPS6_l,@function
_ZN4vllm31rms_norm_per_block_quant_kernelIN3c104HalfEaLb0ELb0ELi64EEEvPT0_PfPKT_S8_PKffiiPS6_l: ; @_ZN4vllm31rms_norm_per_block_quant_kernelIN3c104HalfEaLb0ELb0ELi64EEEvPT0_PfPKT_S8_PKffiiPS6_l
; %bb.0:
	s_load_dwordx4 s[16:19], s[4:5], 0x28
	s_load_dwordx8 s[8:15], s[4:5], 0x0
	v_mov_b32_e32 v1, 0
	s_waitcnt lgkmcnt(0)
	s_ashr_i32 s0, s18, 31
	s_mul_hi_u32 s1, s18, s6
	s_mul_i32 s0, s0, s6
	s_add_i32 s1, s1, s0
	s_mul_i32 s0, s18, s6
	s_lshl_b64 s[0:1], s[0:1], 1
	s_add_u32 s33, s12, s0
	s_addc_u32 s44, s13, s1
	s_ashr_i32 s12, s17, 2
	s_add_u32 s2, s4, 0x48
	s_mov_b32 s20, s17
	v_cmp_gt_u32_e64 s[0:1], s12, v0
	s_addc_u32 s3, s5, 0
	s_and_saveexec_b64 s[18:19], s[0:1]
	s_cbranch_execz .LBB65_10
; %bb.1:
	s_load_dword s7, s[2:3], 0x0
	v_mov_b32_e32 v3, 0
	v_mov_b32_e32 v9, s44
	;; [unrolled: 1-line block ×3, first 2 shown]
                                        ; implicit-def: $sgpr24_sgpr25
	s_waitcnt lgkmcnt(0)
	s_cmp_lt_u32 s6, s7
	s_cselect_b32 s7, 12, 18
	s_add_u32 s22, s2, s7
	s_addc_u32 s23, s3, 0
	global_load_ushort v8, v3, s[22:23]
	s_mov_b64 s[22:23], 0
	s_waitcnt vmcnt(0)
	v_add_u32_e32 v1, v8, v8
	v_mul_lo_u32 v10, v8, 3
	v_lshlrev_b32_e32 v11, 1, v8
	v_add_u32_e32 v12, v1, v8
	v_mov_b32_e32 v1, v3
	s_branch .LBB65_5
.LBB65_2:                               ;   in Loop: Header=BB65_5 Depth=1
	s_or_b64 exec, exec, s[30:31]
	s_orn2_b64 s[30:31], s[34:35], exec
.LBB65_3:                               ;   in Loop: Header=BB65_5 Depth=1
	s_or_b64 exec, exec, s[28:29]
	s_andn2_b64 s[24:25], s[24:25], exec
	s_and_b64 s[28:29], s[30:31], exec
	s_or_b64 s[24:25], s[24:25], s[28:29]
.LBB65_4:                               ;   in Loop: Header=BB65_5 Depth=1
	s_or_b64 exec, exec, s[26:27]
	s_and_b64 s[26:27], exec, s[24:25]
	s_or_b64 s[22:23], s[26:27], s[22:23]
	s_andn2_b64 exec, exec, s[22:23]
	s_cbranch_execz .LBB65_9
.LBB65_5:                               ; =>This Inner Loop Header: Depth=1
	v_lshlrev_b64 v[4:5], 3, v[2:3]
	v_add_co_u32_e32 v4, vcc, s33, v4
	v_addc_co_u32_e32 v5, vcc, v9, v5, vcc
	global_load_dwordx2 v[6:7], v[4:5], off
	v_add_u32_e32 v4, v2, v8
	v_cmp_gt_u32_e32 vcc, s12, v4
	s_or_b64 s[24:25], s[24:25], exec
	s_waitcnt vmcnt(0)
	v_fma_mix_f32 v1, v6, v6, v1 op_sel_hi:[1,1,0]
	v_fma_mix_f32 v1, v6, v6, v1 op_sel:[1,1,0] op_sel_hi:[1,1,0]
	v_fma_mix_f32 v1, v7, v7, v1 op_sel_hi:[1,1,0]
	v_fma_mix_f32 v1, v7, v7, v1 op_sel:[1,1,0] op_sel_hi:[1,1,0]
	s_and_saveexec_b64 s[26:27], vcc
	s_cbranch_execz .LBB65_4
; %bb.6:                                ;   in Loop: Header=BB65_5 Depth=1
	v_mov_b32_e32 v5, v3
	v_lshlrev_b64 v[6:7], 3, v[4:5]
	v_add_co_u32_e32 v6, vcc, s33, v6
	v_addc_co_u32_e32 v7, vcc, v9, v7, vcc
	global_load_dwordx2 v[14:15], v[6:7], off
	v_add_u32_e32 v6, v11, v2
	v_cmp_gt_u32_e32 vcc, s12, v6
	s_mov_b64 s[30:31], -1
	s_waitcnt vmcnt(0)
	v_fma_mix_f32 v1, v14, v14, v1 op_sel_hi:[1,1,0]
	v_fma_mix_f32 v1, v14, v14, v1 op_sel:[1,1,0] op_sel_hi:[1,1,0]
	v_fma_mix_f32 v1, v15, v15, v1 op_sel_hi:[1,1,0]
	v_fma_mix_f32 v1, v15, v15, v1 op_sel:[1,1,0] op_sel_hi:[1,1,0]
	s_and_saveexec_b64 s[28:29], vcc
	s_cbranch_execz .LBB65_3
; %bb.7:                                ;   in Loop: Header=BB65_5 Depth=1
	v_mov_b32_e32 v7, v3
	v_lshlrev_b64 v[6:7], 3, v[6:7]
	v_add_co_u32_e32 v6, vcc, s33, v6
	v_addc_co_u32_e32 v7, vcc, v9, v7, vcc
	global_load_dwordx2 v[6:7], v[6:7], off
	v_add_u32_e32 v2, v10, v2
	v_cmp_gt_u32_e32 vcc, s12, v2
	s_mov_b64 s[34:35], -1
	s_waitcnt vmcnt(0)
	v_fma_mix_f32 v1, v6, v6, v1 op_sel_hi:[1,1,0]
	v_fma_mix_f32 v1, v6, v6, v1 op_sel:[1,1,0] op_sel_hi:[1,1,0]
	v_fma_mix_f32 v1, v7, v7, v1 op_sel_hi:[1,1,0]
	v_fma_mix_f32 v1, v7, v7, v1 op_sel:[1,1,0] op_sel_hi:[1,1,0]
	s_and_saveexec_b64 s[30:31], vcc
	s_xor_b64 s[30:31], exec, s[30:31]
	s_cbranch_execz .LBB65_2
; %bb.8:                                ;   in Loop: Header=BB65_5 Depth=1
	v_lshlrev_b64 v[6:7], 3, v[2:3]
	v_add_co_u32_e32 v6, vcc, s33, v6
	v_addc_co_u32_e32 v7, vcc, v9, v7, vcc
	global_load_dwordx2 v[6:7], v[6:7], off
	v_add_u32_e32 v2, v12, v4
	v_cmp_le_u32_e32 vcc, s12, v2
	s_orn2_b64 s[34:35], vcc, exec
	s_waitcnt vmcnt(0)
	v_fma_mix_f32 v1, v6, v6, v1 op_sel_hi:[1,1,0]
	v_fma_mix_f32 v1, v6, v6, v1 op_sel:[1,1,0] op_sel_hi:[1,1,0]
	v_fma_mix_f32 v1, v7, v7, v1 op_sel_hi:[1,1,0]
	v_fma_mix_f32 v1, v7, v7, v1 op_sel:[1,1,0] op_sel_hi:[1,1,0]
	s_branch .LBB65_2
.LBB65_9:
	s_or_b64 exec, exec, s[22:23]
.LBB65_10:
	s_or_b64 exec, exec, s[18:19]
	v_mbcnt_lo_u32_b32 v2, -1, 0
	v_mbcnt_hi_u32_b32 v2, -1, v2
	v_and_b32_e32 v3, 63, v2
	v_cmp_ne_u32_e32 vcc, 63, v3
	s_load_dword s2, s[2:3], 0xc
	v_addc_co_u32_e32 v4, vcc, 0, v2, vcc
	v_lshlrev_b32_e32 v4, 2, v4
	ds_bpermute_b32 v4, v4, v1
	s_waitcnt lgkmcnt(0)
	s_and_b32 s45, s2, 0xffff
	v_and_b32_e32 v5, 0x3c0, v0
	v_sub_u32_e64 v5, s45, v5 clamp
	v_add_u32_e32 v6, 1, v2
	v_add_f32_e32 v4, v1, v4
	v_cmp_lt_u32_e32 vcc, v6, v5
	v_cndmask_b32_e32 v1, v1, v4, vcc
	v_cmp_gt_u32_e32 vcc, 62, v3
	v_cndmask_b32_e64 v4, 0, 1, vcc
	v_lshlrev_b32_e32 v4, 1, v4
	v_add_lshl_u32 v4, v4, v2, 2
	ds_bpermute_b32 v4, v4, v1
	v_add_u32_e32 v6, 2, v2
	v_cmp_lt_u32_e32 vcc, v6, v5
	v_add_u32_e32 v6, 4, v2
	s_waitcnt lgkmcnt(0)
	v_add_f32_e32 v4, v1, v4
	v_cndmask_b32_e32 v1, v1, v4, vcc
	v_cmp_gt_u32_e32 vcc, 60, v3
	v_cndmask_b32_e64 v4, 0, 1, vcc
	v_lshlrev_b32_e32 v4, 2, v4
	v_add_lshl_u32 v4, v4, v2, 2
	ds_bpermute_b32 v4, v4, v1
	v_cmp_lt_u32_e32 vcc, v6, v5
	v_add_u32_e32 v6, 8, v2
	s_waitcnt lgkmcnt(0)
	v_add_f32_e32 v4, v1, v4
	v_cndmask_b32_e32 v1, v1, v4, vcc
	v_cmp_gt_u32_e32 vcc, 56, v3
	v_cndmask_b32_e64 v4, 0, 1, vcc
	v_lshlrev_b32_e32 v4, 3, v4
	v_add_lshl_u32 v4, v4, v2, 2
	ds_bpermute_b32 v4, v4, v1
	;; [unrolled: 10-line block ×3, first 2 shown]
	v_cmp_lt_u32_e32 vcc, v6, v5
	s_waitcnt lgkmcnt(0)
	v_add_f32_e32 v4, v1, v4
	v_cndmask_b32_e32 v1, v1, v4, vcc
	v_cmp_gt_u32_e32 vcc, 32, v3
	v_cndmask_b32_e64 v3, 0, 1, vcc
	v_lshlrev_b32_e32 v3, 5, v3
	v_add_lshl_u32 v3, v3, v2, 2
	ds_bpermute_b32 v3, v3, v1
	v_add_u32_e32 v4, 32, v2
	v_cmp_lt_u32_e32 vcc, v4, v5
	s_waitcnt lgkmcnt(0)
	v_add_f32_e32 v3, v1, v3
	v_cndmask_b32_e32 v1, v1, v3, vcc
	v_cmp_eq_u32_e32 vcc, 0, v2
	s_and_saveexec_b64 s[2:3], vcc
	s_cbranch_execz .LBB65_12
; %bb.11:
	v_lshrrev_b32_e32 v3, 4, v0
	v_and_b32_e32 v3, 60, v3
	ds_write_b32 v3, v1 offset:4096
.LBB65_12:
	s_or_b64 exec, exec, s[2:3]
	v_cmp_gt_u32_e32 vcc, 16, v0
	s_waitcnt lgkmcnt(0)
	s_barrier
	s_and_saveexec_b64 s[18:19], vcc
	s_cbranch_execz .LBB65_14
; %bb.13:
	v_lshlrev_b32_e32 v1, 2, v2
	ds_read_b32 v1, v1 offset:4096
	v_and_b32_e32 v3, 15, v2
	v_cmp_ne_u32_e32 vcc, 15, v3
	v_addc_co_u32_e32 v4, vcc, 0, v2, vcc
	v_lshlrev_b32_e32 v4, 2, v4
	s_waitcnt lgkmcnt(0)
	ds_bpermute_b32 v4, v4, v1
	s_add_i32 s2, s45, 63
	s_lshr_b32 s7, s2, 6
	v_add_u32_e32 v5, 1, v3
	v_cmp_gt_u32_e64 s[2:3], 14, v3
	v_cmp_gt_u32_e32 vcc, s7, v5
	v_cndmask_b32_e64 v5, 0, 1, s[2:3]
	s_waitcnt lgkmcnt(0)
	v_add_f32_e32 v4, v1, v4
	v_lshlrev_b32_e32 v5, 1, v5
	v_cndmask_b32_e32 v4, v1, v4, vcc
	v_add_lshl_u32 v5, v5, v2, 2
	ds_bpermute_b32 v5, v5, v4
	v_add_u32_e32 v6, 2, v3
	v_cmp_gt_u32_e64 s[2:3], s7, v6
	v_add_u32_e32 v6, 4, v3
	s_waitcnt lgkmcnt(0)
	v_add_f32_e32 v5, v4, v5
	v_cndmask_b32_e64 v4, v4, v5, s[2:3]
	v_cmp_gt_u32_e64 s[2:3], 12, v3
	v_cndmask_b32_e64 v5, 0, 1, s[2:3]
	v_lshlrev_b32_e32 v5, 2, v5
	v_add_lshl_u32 v5, v5, v2, 2
	ds_bpermute_b32 v5, v5, v4
	v_cmp_gt_u32_e64 s[2:3], s7, v6
	s_waitcnt lgkmcnt(0)
	v_add_f32_e32 v5, v4, v5
	v_cndmask_b32_e64 v4, v4, v5, s[2:3]
	v_cmp_gt_u32_e64 s[2:3], 8, v3
	v_cndmask_b32_e64 v5, 0, 1, s[2:3]
	v_lshlrev_b32_e32 v5, 3, v5
	v_add_lshl_u32 v2, v5, v2, 2
	ds_bpermute_b32 v2, v2, v4
	v_add_u32_e32 v3, 8, v3
	v_cmp_gt_u32_e64 s[2:3], s7, v3
	s_waitcnt lgkmcnt(0)
	v_add_f32_e32 v2, v4, v2
	v_cndmask_b32_e64 v2, v4, v2, s[2:3]
	v_cndmask_b32_e32 v1, v1, v2, vcc
.LBB65_14:
	s_or_b64 exec, exec, s[18:19]
	v_cmp_eq_u32_e32 vcc, 0, v0
	s_and_saveexec_b64 s[2:3], vcc
	s_cbranch_execz .LBB65_16
; %bb.15:
	v_cvt_f32_i32_e32 v2, s17
	s_mov_b32 s7, 0x800000
	v_div_scale_f32 v3, s[18:19], v2, v2, v1
	v_rcp_f32_e32 v4, v3
	v_div_scale_f32 v5, vcc, v1, v2, v1
	v_fma_f32 v6, -v3, v4, 1.0
	v_fmac_f32_e32 v4, v6, v4
	v_mul_f32_e32 v6, v5, v4
	v_fma_f32 v7, -v3, v6, v5
	v_fmac_f32_e32 v6, v7, v4
	v_fma_f32 v3, -v3, v6, v5
	v_div_fmas_f32 v3, v3, v4, v6
	v_div_fixup_f32 v1, v3, v2, v1
	v_add_f32_e32 v1, s16, v1
	v_mul_f32_e32 v2, 0x4b800000, v1
	v_cmp_gt_f32_e32 vcc, s7, v1
	v_cndmask_b32_e32 v1, v1, v2, vcc
	v_rsq_f32_e32 v1, v1
	v_mul_f32_e32 v2, 0x45800000, v1
	v_cndmask_b32_e32 v1, v1, v2, vcc
	v_mov_b32_e32 v2, 0
	ds_write_b32 v2, v1 offset:4160
.LBB65_16:
	s_or_b64 exec, exec, s[2:3]
	s_ashr_i32 s21, s17, 31
	s_lshr_b32 s2, s21, 26
	s_add_i32 s2, s17, s2
	s_ashr_i32 s18, s2, 6
	s_abs_i32 s3, s18
	v_cvt_f32_u32_e32 v1, s3
	s_sub_i32 s7, 0, s3
	s_ashr_i32 s2, s2, 31
	v_mov_b32_e32 v5, 0
	v_rcp_iflag_f32_e32 v1, v1
	s_waitcnt lgkmcnt(0)
	s_barrier
	v_mul_f32_e32 v1, 0x4f7ffffe, v1
	v_cvt_u32_f32_e32 v1, v1
	ds_read_b32 v36, v5 offset:4160
	v_readfirstlane_b32 s13, v1
	s_mul_i32 s7, s7, s13
	s_mul_hi_u32 s7, s13, s7
	s_add_i32 s13, s13, s7
	s_mul_hi_u32 s7, s45, s13
	s_mul_i32 s13, s7, s3
	s_sub_i32 s13, s45, s13
	s_add_i32 s16, s7, 1
	s_sub_i32 s19, s13, s3
	s_cmp_ge_u32 s13, s3
	s_cselect_b32 s7, s16, s7
	s_cselect_b32 s13, s19, s13
	s_add_i32 s16, s7, 1
	s_cmp_ge_u32 s13, s3
	s_cselect_b32 s3, s16, s7
	s_xor_b32 s3, s3, s2
	s_sub_i32 s2, s3, s2
	s_abs_i32 s7, s2
	v_cvt_f32_u32_e32 v1, s7
	s_sub_i32 s13, 0, s7
	s_ashr_i32 s3, s2, 31
	v_rcp_iflag_f32_e32 v1, v1
	v_mul_f32_e32 v1, 0x4f7ffffe, v1
	v_cvt_u32_f32_e32 v1, v1
	v_mul_lo_u32 v2, s13, v1
	v_mul_hi_u32 v2, v1, v2
	v_add_u32_e32 v1, v1, v2
	v_mul_hi_u32 v1, v0, v1
	v_mul_lo_u32 v2, v1, s7
	v_sub_u32_e32 v2, v0, v2
	v_add_u32_e32 v3, 1, v1
	v_cmp_le_u32_e32 vcc, s7, v2
	v_cndmask_b32_e32 v1, v1, v3, vcc
	v_subrev_u32_e32 v3, s7, v2
	v_cndmask_b32_e32 v2, v2, v3, vcc
	v_add_u32_e32 v3, 1, v1
	v_cmp_le_u32_e32 vcc, s7, v2
	v_cndmask_b32_e32 v1, v1, v3, vcc
	v_xor_b32_e32 v1, s3, v1
	v_subrev_u32_e32 v2, s3, v1
	v_mul_lo_u32 v1, v2, s2
	v_ashrrev_i32_e32 v3, 31, v2
	v_sub_u32_e32 v4, v0, v1
	v_lshlrev_b64 v[8:9], 4, v[2:3]
	v_add_co_u32_e32 v6, vcc, v8, v4
	v_addc_co_u32_e32 v7, vcc, 0, v9, vcc
	v_add_co_u32_e32 v8, vcc, 16, v8
	v_addc_co_u32_e32 v9, vcc, 0, v9, vcc
	s_ashr_i32 s13, s12, 31
	v_mov_b32_e32 v1, s13
	v_cmp_gt_i64_e32 vcc, s[12:13], v[8:9]
	v_cndmask_b32_e32 v9, v1, v9, vcc
	v_mov_b32_e32 v1, s12
	v_cndmask_b32_e32 v8, v1, v8, vcc
	v_ashrrev_i32_e32 v11, 31, v8
	v_mov_b32_e32 v10, v8
	v_cmp_lt_i64_e32 vcc, v[6:7], v[10:11]
	s_and_saveexec_b64 s[22:23], vcc
	s_cbranch_execz .LBB65_26
; %bb.17:
	v_lshlrev_b64 v[12:13], 7, v[2:3]
	v_lshlrev_b64 v[14:15], 3, v[4:5]
	v_add_co_u32_e32 v12, vcc, v12, v14
	v_addc_co_u32_e32 v1, vcc, v13, v15, vcc
	s_lshl_b64 s[24:25], s[2:3], 5
	s_mul_hi_i32 s7, s2, 3
	s_mul_i32 s13, s2, 3
	s_lshl_b64 s[26:27], s[2:3], 1
	s_lshl_b64 s[30:31], s[2:3], 3
	s_mov_b64 s[28:29], 0
	v_mov_b32_e32 v5, 0
	v_mov_b32_e32 v13, s44
	;; [unrolled: 1-line block ×4, first 2 shown]
	v_pk_mov_b32 v[14:15], v[6:7], v[6:7] op_sel:[0,1]
                                        ; implicit-def: $sgpr34_sgpr35
	s_branch .LBB65_21
.LBB65_18:                              ;   in Loop: Header=BB65_21 Depth=1
	s_or_b64 exec, exec, s[40:41]
	s_orn2_b64 s[40:41], s[42:43], exec
.LBB65_19:                              ;   in Loop: Header=BB65_21 Depth=1
	s_or_b64 exec, exec, s[38:39]
	s_andn2_b64 s[34:35], s[34:35], exec
	s_and_b64 s[38:39], s[40:41], exec
	s_or_b64 s[34:35], s[34:35], s[38:39]
.LBB65_20:                              ;   in Loop: Header=BB65_21 Depth=1
	s_or_b64 exec, exec, s[36:37]
	s_and_b64 s[36:37], exec, s[34:35]
	s_or_b64 s[28:29], s[36:37], s[28:29]
	s_andn2_b64 exec, exec, s[28:29]
	s_cbranch_execz .LBB65_25
.LBB65_21:                              ; =>This Inner Loop Header: Depth=1
	v_add_co_u32_e32 v18, vcc, s33, v12
	v_addc_co_u32_e32 v19, vcc, v13, v1, vcc
	v_add_co_u32_e32 v20, vcc, s14, v12
	global_load_dwordx2 v[16:17], v[18:19], off
	v_addc_co_u32_e32 v21, vcc, v22, v1, vcc
	global_load_dwordx2 v[24:25], v[20:21], off
	s_or_b64 s[34:35], s[34:35], exec
	s_waitcnt vmcnt(1) lgkmcnt(0)
	v_fma_mixlo_f16 v26, v36, v16, 0 op_sel_hi:[0,1,0]
	v_fma_mixlo_f16 v16, v36, v16, 0 op_sel:[0,1,0] op_sel_hi:[0,1,0]
	v_fma_mixlo_f16 v27, v36, v17, 0 op_sel_hi:[0,1,0]
	v_fma_mixlo_f16 v17, v36, v17, 0 op_sel:[0,1,0] op_sel_hi:[0,1,0]
	s_waitcnt vmcnt(0)
	v_mul_f16_e32 v26, v24, v26
	v_mul_f16_sdwa v16, v24, v16 dst_sel:DWORD dst_unused:UNUSED_PAD src0_sel:WORD_1 src1_sel:DWORD
	v_mul_f16_e32 v24, v25, v27
	v_mul_f16_sdwa v17, v25, v17 dst_sel:DWORD dst_unused:UNUSED_PAD src0_sel:WORD_1 src1_sel:DWORD
	v_cvt_f32_f16_e64 v25, |v26|
	v_cvt_f32_f16_e64 v26, |v16|
	;; [unrolled: 1-line block ×4, first 2 shown]
	v_add_co_u32_e32 v16, vcc, s2, v14
	v_addc_co_u32_e32 v17, vcc, v15, v23, vcc
	v_max3_f32 v5, v5, v25, v26
	v_cmp_lt_i64_e32 vcc, v[16:17], v[10:11]
	v_max3_f32 v5, v5, v24, v27
	s_and_saveexec_b64 s[36:37], vcc
	s_cbranch_execz .LBB65_20
; %bb.22:                               ;   in Loop: Header=BB65_21 Depth=1
	v_mov_b32_e32 v26, s31
	v_add_co_u32_e32 v18, vcc, s30, v18
	v_addc_co_u32_e32 v19, vcc, v19, v26, vcc
	v_add_co_u32_e32 v20, vcc, s30, v20
	global_load_dwordx2 v[24:25], v[18:19], off
	v_addc_co_u32_e32 v21, vcc, v21, v26, vcc
	global_load_dwordx2 v[26:27], v[20:21], off
	v_mov_b32_e32 v28, s27
	s_mov_b64 s[40:41], -1
	s_waitcnt vmcnt(1)
	v_fma_mixlo_f16 v29, v36, v24, 0 op_sel_hi:[0,1,0]
	v_fma_mixlo_f16 v24, v36, v24, 0 op_sel:[0,1,0] op_sel_hi:[0,1,0]
	v_fma_mixlo_f16 v30, v36, v25, 0 op_sel_hi:[0,1,0]
	v_fma_mixlo_f16 v25, v36, v25, 0 op_sel:[0,1,0] op_sel_hi:[0,1,0]
	s_waitcnt vmcnt(0)
	v_mul_f16_e32 v29, v26, v29
	v_mul_f16_sdwa v24, v26, v24 dst_sel:DWORD dst_unused:UNUSED_PAD src0_sel:WORD_1 src1_sel:DWORD
	v_mul_f16_e32 v26, v27, v30
	v_mul_f16_sdwa v25, v27, v25 dst_sel:DWORD dst_unused:UNUSED_PAD src0_sel:WORD_1 src1_sel:DWORD
	v_cvt_f32_f16_e64 v27, |v29|
	v_cvt_f32_f16_e64 v29, |v24|
	;; [unrolled: 1-line block ×4, first 2 shown]
	v_add_co_u32_e32 v24, vcc, s26, v14
	v_addc_co_u32_e32 v25, vcc, v28, v15, vcc
	v_max3_f32 v5, v5, v27, v29
	v_cmp_lt_i64_e32 vcc, v[24:25], v[10:11]
	v_max3_f32 v5, v5, v26, v30
	s_and_saveexec_b64 s[38:39], vcc
	s_cbranch_execz .LBB65_19
; %bb.23:                               ;   in Loop: Header=BB65_21 Depth=1
	v_mov_b32_e32 v26, s31
	v_add_co_u32_e32 v18, vcc, s30, v18
	v_addc_co_u32_e32 v19, vcc, v19, v26, vcc
	v_add_co_u32_e32 v20, vcc, s30, v20
	global_load_dwordx2 v[24:25], v[18:19], off
	v_addc_co_u32_e32 v21, vcc, v21, v26, vcc
	global_load_dwordx2 v[26:27], v[20:21], off
	v_mov_b32_e32 v28, s7
	v_add_co_u32_e32 v14, vcc, s13, v14
	v_addc_co_u32_e32 v15, vcc, v28, v15, vcc
	v_cmp_lt_i64_e32 vcc, v[14:15], v[10:11]
	s_mov_b64 s[42:43], -1
                                        ; implicit-def: $vgpr14_vgpr15
	s_waitcnt vmcnt(1)
	v_fma_mixlo_f16 v29, v36, v24, 0 op_sel_hi:[0,1,0]
	v_fma_mixlo_f16 v24, v36, v24, 0 op_sel:[0,1,0] op_sel_hi:[0,1,0]
	v_fma_mixlo_f16 v30, v36, v25, 0 op_sel_hi:[0,1,0]
	v_fma_mixlo_f16 v25, v36, v25, 0 op_sel:[0,1,0] op_sel_hi:[0,1,0]
	s_waitcnt vmcnt(0)
	v_mul_f16_e32 v29, v26, v29
	v_mul_f16_sdwa v24, v26, v24 dst_sel:DWORD dst_unused:UNUSED_PAD src0_sel:WORD_1 src1_sel:DWORD
	v_mul_f16_e32 v26, v27, v30
	v_mul_f16_sdwa v25, v27, v25 dst_sel:DWORD dst_unused:UNUSED_PAD src0_sel:WORD_1 src1_sel:DWORD
	v_cvt_f32_f16_e64 v27, |v29|
	v_cvt_f32_f16_e64 v24, |v24|
	v_cvt_f32_f16_e64 v26, |v26|
	v_cvt_f32_f16_e64 v25, |v25|
	v_max3_f32 v5, v5, v27, v24
	v_max3_f32 v5, v5, v26, v25
	s_and_saveexec_b64 s[40:41], vcc
	s_xor_b64 s[40:41], exec, s[40:41]
	s_cbranch_execz .LBB65_18
; %bb.24:                               ;   in Loop: Header=BB65_21 Depth=1
	v_mov_b32_e32 v24, s31
	v_add_co_u32_e32 v14, vcc, s30, v18
	v_addc_co_u32_e32 v15, vcc, v19, v24, vcc
	v_add_co_u32_e32 v18, vcc, s30, v20
	global_load_dwordx2 v[14:15], v[14:15], off
	v_addc_co_u32_e32 v19, vcc, v21, v24, vcc
	global_load_dwordx2 v[18:19], v[18:19], off
	s_add_u32 s16, s2, s2
	s_addc_u32 s19, s3, s3
	v_mov_b32_e32 v20, s25
	v_add_co_u32_e32 v12, vcc, s24, v12
	s_add_u32 s16, s16, s2
	v_addc_co_u32_e32 v1, vcc, v1, v20, vcc
	s_addc_u32 s19, s19, s3
	v_mov_b32_e32 v20, s19
	s_waitcnt vmcnt(1)
	v_fma_mixlo_f16 v21, v36, v14, 0 op_sel_hi:[0,1,0]
	v_fma_mixlo_f16 v14, v36, v14, 0 op_sel:[0,1,0] op_sel_hi:[0,1,0]
	v_fma_mixlo_f16 v24, v36, v15, 0 op_sel_hi:[0,1,0]
	v_fma_mixlo_f16 v15, v36, v15, 0 op_sel:[0,1,0] op_sel_hi:[0,1,0]
	s_waitcnt vmcnt(0)
	v_mul_f16_e32 v21, v18, v21
	v_mul_f16_sdwa v14, v18, v14 dst_sel:DWORD dst_unused:UNUSED_PAD src0_sel:WORD_1 src1_sel:DWORD
	v_mul_f16_e32 v18, v19, v24
	v_mul_f16_sdwa v15, v19, v15 dst_sel:DWORD dst_unused:UNUSED_PAD src0_sel:WORD_1 src1_sel:DWORD
	v_cvt_f32_f16_e64 v19, |v21|
	v_cvt_f32_f16_e64 v21, |v14|
	;; [unrolled: 1-line block ×4, first 2 shown]
	v_add_co_u32_e32 v14, vcc, s16, v16
	v_addc_co_u32_e32 v15, vcc, v20, v17, vcc
	v_cmp_ge_i64_e32 vcc, v[14:15], v[10:11]
	v_max3_f32 v5, v5, v19, v21
	v_max3_f32 v5, v5, v18, v24
	s_orn2_b64 s[42:43], vcc, exec
	s_branch .LBB65_18
.LBB65_25:
	s_or_b64 exec, exec, s[28:29]
.LBB65_26:
	s_or_b64 exec, exec, s[22:23]
	s_lshr_b32 s7, s45, 6
	v_cvt_f32_u32_e32 v10, s7
	v_lshlrev_b32_e32 v1, 2, v0
	ds_write_b32 v1, v5
	s_sub_i32 s22, 0, s7
	v_rcp_iflag_f32_e32 v5, v10
	s_add_i32 s13, s18, s7
	s_add_i32 s13, s13, -1
	s_ashr_i32 s16, s13, 31
	v_mul_f32_e32 v5, 0x4f7ffffe, v5
	v_cvt_u32_f32_e32 v5, v5
	s_abs_i32 s13, s13
	s_ashr_i32 s19, s18, 31
	s_waitcnt lgkmcnt(0)
	v_readfirstlane_b32 s23, v5
	s_mul_i32 s22, s22, s23
	s_mul_hi_u32 s22, s23, s22
	s_add_i32 s23, s23, s22
	s_mul_hi_u32 s22, s13, s23
	s_mul_i32 s23, s22, s7
	s_sub_i32 s13, s13, s23
	s_add_i32 s23, s22, 1
	s_sub_i32 s24, s13, s7
	s_cmp_ge_u32 s13, s7
	s_cselect_b32 s22, s23, s22
	s_cselect_b32 s13, s24, s13
	s_add_i32 s23, s22, 1
	s_cmp_ge_u32 s13, s7
	s_cselect_b32 s13, s23, s22
	s_xor_b32 s13, s13, s16
	s_sub_i32 s22, s13, s16
	s_ashr_i32 s23, s22, 31
	v_cmp_lt_i64_e64 s[24:25], s[22:23], 1
	s_and_b64 vcc, exec, s[24:25]
	s_barrier
	s_cbranch_vccnz .LBB65_48
; %bb.27:
	v_and_b32_e32 v12, 63, v0
	v_add_co_u32_e32 v14, vcc, 32, v12
	v_addc_co_u32_e64 v15, s[24:25], 0, 0, vcc
	v_add_co_u32_e32 v16, vcc, 16, v12
	v_addc_co_u32_e64 v17, s[24:25], 0, 0, vcc
	v_add_co_u32_e32 v18, vcc, 8, v12
	v_lshrrev_b32_e32 v10, 6, v0
	v_addc_co_u32_e64 v19, s[24:25], 0, 0, vcc
	v_add_co_u32_e32 v20, vcc, 4, v12
	v_addc_co_u32_e64 v21, s[24:25], 0, 0, vcc
	v_add_co_u32_e32 v22, vcc, 2, v12
	v_mul_lo_u32 v5, s2, v10
	v_addc_co_u32_e64 v23, s[24:25], 0, 0, vcc
	v_add_co_u32_e32 v24, vcc, 1, v12
	v_lshlrev_b32_e32 v5, 2, v5
	v_lshlrev_b32_e32 v26, 2, v12
	s_movk_i32 s13, 0x100
	v_mov_b32_e32 v11, 0
	v_addc_co_u32_e64 v25, s[24:25], 0, 0, vcc
	v_add3_u32 v5, v5, v26, s13
	s_mul_i32 s13, s2, s7
	v_mov_b32_e32 v13, v11
	s_lshl_b32 s13, s13, 2
	s_mov_b64 s[24:25], 0
	v_mov_b32_e32 v37, s7
	s_mov_b64 s[26:27], src_shared_base
	s_branch .LBB65_30
.LBB65_28:                              ;   in Loop: Header=BB65_30 Depth=1
	s_or_b64 exec, exec, s[30:31]
	v_mov_b32_e32 v27, s27
	flat_load_dword v26, v[26:27] glc
	s_waitcnt vmcnt(0)
.LBB65_29:                              ;   in Loop: Header=BB65_30 Depth=1
	s_or_b64 exec, exec, s[28:29]
	s_add_u32 s24, s24, 1
	s_addc_u32 s25, s25, 0
	s_cmp_eq_u64 s[24:25], s[22:23]
	v_add_u32_e32 v5, s13, v5
	s_cbranch_scc1 .LBB65_48
.LBB65_30:                              ; =>This Loop Header: Depth=1
                                        ;     Child Loop BB65_33 Depth 2
	v_mad_u64_u32 v[30:31], s[28:29], s24, v37, v[10:11]
	s_mul_i32 s16, s25, s7
	v_add_u32_e32 v31, s16, v31
	v_cmp_gt_i64_e32 vcc, s[18:19], v[30:31]
	s_and_saveexec_b64 s[28:29], vcc
	s_cbranch_execz .LBB65_29
; %bb.31:                               ;   in Loop: Header=BB65_30 Depth=1
	v_pk_mov_b32 v[32:33], s[2:3], s[2:3] op_sel:[0,1]
	v_mul_lo_u32 v29, v31, s2
	v_mul_lo_u32 v38, v30, s3
	v_mad_u64_u32 v[32:33], s[30:31], v30, s2, v[32:33]
	v_add3_u32 v33, v29, v33, v38
	v_mov_b32_e32 v28, s21
	v_cmp_gt_i64_e32 vcc, s[20:21], v[32:33]
	s_waitcnt lgkmcnt(0)
	v_mad_u64_u32 v[26:27], s[30:31], v30, s2, v[12:13]
	v_cndmask_b32_e32 v33, v28, v33, vcc
	v_mov_b32_e32 v28, s17
	v_add3_u32 v27, v29, v27, v38
	v_cndmask_b32_e32 v32, v28, v32, vcc
	v_add_co_u32_e32 v34, vcc, 64, v26
	v_addc_co_u32_e32 v35, vcc, 0, v27, vcc
	v_cmp_lt_i64_e32 vcc, v[34:35], v[32:33]
	v_lshlrev_b32_e32 v28, 2, v26
	s_and_saveexec_b64 s[30:31], vcc
	s_cbranch_execz .LBB65_34
; %bb.32:                               ;   in Loop: Header=BB65_30 Depth=1
	ds_read_b32 v31, v28
	s_mov_b64 s[34:35], 0
	v_mov_b32_e32 v27, v5
.LBB65_33:                              ;   Parent Loop BB65_30 Depth=1
                                        ; =>  This Inner Loop Header: Depth=2
	ds_read_b32 v39, v27
	v_add_co_u32_e32 v34, vcc, 64, v34
	v_addc_co_u32_e32 v35, vcc, 0, v35, vcc
	s_waitcnt lgkmcnt(1)
	v_max_f32_e32 v31, v31, v31
	v_cmp_ge_i64_e32 vcc, v[34:35], v[32:33]
	s_waitcnt lgkmcnt(0)
	v_max_f32_e32 v39, v39, v39
	v_add_u32_e32 v27, 0x100, v27
	s_or_b64 s[34:35], vcc, s[34:35]
	v_max_f32_e32 v31, v31, v39
	ds_write_b32 v28, v31
	s_andn2_b64 exec, exec, s[34:35]
	s_cbranch_execnz .LBB65_33
.LBB65_34:                              ;   in Loop: Header=BB65_30 Depth=1
	s_or_b64 exec, exec, s[30:31]
	v_mad_u64_u32 v[30:31], s[30:31], v30, s2, 0
	v_add3_u32 v27, v31, v38, v29
	v_sub_co_u32_e32 v30, vcc, v32, v30
	v_subb_co_u32_e32 v31, vcc, v33, v27, vcc
	v_cmp_gt_i64_e32 vcc, 64, v[30:31]
	v_cndmask_b32_e32 v31, 0, v31, vcc
	v_cndmask_b32_e32 v30, 64, v30, vcc
	v_cmp_lt_i64_e32 vcc, v[14:15], v[30:31]
	s_and_saveexec_b64 s[30:31], vcc
	s_cbranch_execnz .LBB65_46
; %bb.35:                               ;   in Loop: Header=BB65_30 Depth=1
	s_or_b64 exec, exec, s[30:31]
	v_cmp_lt_i64_e32 vcc, v[16:17], v[30:31]
	s_and_saveexec_b64 s[30:31], vcc
	s_cbranch_execnz .LBB65_47
.LBB65_36:                              ;   in Loop: Header=BB65_30 Depth=1
	s_or_b64 exec, exec, s[30:31]
	v_cmp_lt_i64_e32 vcc, v[18:19], v[30:31]
	s_and_saveexec_b64 s[30:31], vcc
	s_cbranch_execz .LBB65_38
.LBB65_37:                              ;   in Loop: Header=BB65_30 Depth=1
	v_mov_b32_e32 v29, s27
	v_add_u32_e32 v32, 32, v28
	v_mov_b32_e32 v33, s27
	flat_load_dword v27, v[28:29] glc
	s_waitcnt vmcnt(0)
	flat_load_dword v34, v[32:33] glc
	s_waitcnt vmcnt(0) lgkmcnt(0)
	v_max_f32_e32 v27, v27, v27
	v_max_f32_e32 v32, v34, v34
	;; [unrolled: 1-line block ×3, first 2 shown]
	flat_store_dword v[28:29], v27
	s_waitcnt vmcnt(0)
.LBB65_38:                              ;   in Loop: Header=BB65_30 Depth=1
	s_or_b64 exec, exec, s[30:31]
	v_cmp_ge_i64_e32 vcc, v[20:21], v[30:31]
	s_and_saveexec_b64 s[30:31], vcc
	s_xor_b64 s[30:31], exec, s[30:31]
; %bb.39:                               ;   in Loop: Header=BB65_30 Depth=1
                                        ; implicit-def: $vgpr28
; %bb.40:                               ;   in Loop: Header=BB65_30 Depth=1
	s_andn2_saveexec_b64 s[30:31], s[30:31]
	s_cbranch_execz .LBB65_42
; %bb.41:                               ;   in Loop: Header=BB65_30 Depth=1
	v_mov_b32_e32 v29, s27
	v_add_u32_e32 v32, 16, v28
	v_mov_b32_e32 v33, s27
	flat_load_dword v27, v[28:29] glc
	s_waitcnt vmcnt(0)
	flat_load_dword v34, v[32:33] glc
	s_waitcnt vmcnt(0) lgkmcnt(0)
	v_max_f32_e32 v27, v27, v27
	v_max_f32_e32 v32, v34, v34
	;; [unrolled: 1-line block ×3, first 2 shown]
	flat_store_dword v[28:29], v27
	s_waitcnt vmcnt(0)
.LBB65_42:                              ;   in Loop: Header=BB65_30 Depth=1
	s_or_b64 exec, exec, s[30:31]
	v_cmp_lt_i64_e32 vcc, v[22:23], v[30:31]
	v_lshlrev_b32_e32 v26, 2, v26
	s_and_saveexec_b64 s[30:31], vcc
	s_cbranch_execz .LBB65_44
; %bb.43:                               ;   in Loop: Header=BB65_30 Depth=1
	v_mov_b32_e32 v27, s27
	v_add_u32_e32 v28, 8, v26
	v_mov_b32_e32 v29, s27
	flat_load_dword v32, v[26:27] glc
	s_waitcnt vmcnt(0)
	flat_load_dword v33, v[28:29] glc
	s_waitcnt vmcnt(0) lgkmcnt(0)
	v_max_f32_e32 v28, v32, v32
	v_max_f32_e32 v29, v33, v33
	;; [unrolled: 1-line block ×3, first 2 shown]
	flat_store_dword v[26:27], v28
	s_waitcnt vmcnt(0)
.LBB65_44:                              ;   in Loop: Header=BB65_30 Depth=1
	s_or_b64 exec, exec, s[30:31]
	v_cmp_lt_i64_e32 vcc, v[24:25], v[30:31]
	s_and_saveexec_b64 s[30:31], vcc
	s_cbranch_execz .LBB65_28
; %bb.45:                               ;   in Loop: Header=BB65_30 Depth=1
	v_mov_b32_e32 v27, s27
	v_add_u32_e32 v28, 4, v26
	v_mov_b32_e32 v29, s27
	flat_load_dword v30, v[26:27] glc
	s_waitcnt vmcnt(0)
	flat_load_dword v31, v[28:29] glc
	s_waitcnt vmcnt(0) lgkmcnt(0)
	v_max_f32_e32 v28, v30, v30
	v_max_f32_e32 v29, v31, v31
	v_max_f32_e32 v28, v28, v29
	flat_store_dword v[26:27], v28
	s_waitcnt vmcnt(0)
	s_branch .LBB65_28
.LBB65_46:                              ;   in Loop: Header=BB65_30 Depth=1
	v_mov_b32_e32 v29, s27
	v_add_u32_e32 v32, 0x80, v28
	v_mov_b32_e32 v33, s27
	flat_load_dword v27, v[28:29] glc
	s_waitcnt vmcnt(0)
	flat_load_dword v34, v[32:33] glc
	s_waitcnt vmcnt(0) lgkmcnt(0)
	v_max_f32_e32 v27, v27, v27
	v_max_f32_e32 v32, v34, v34
	v_max_f32_e32 v27, v27, v32
	flat_store_dword v[28:29], v27
	s_waitcnt vmcnt(0)
	s_or_b64 exec, exec, s[30:31]
	v_cmp_lt_i64_e32 vcc, v[16:17], v[30:31]
	s_and_saveexec_b64 s[30:31], vcc
	s_cbranch_execz .LBB65_36
.LBB65_47:                              ;   in Loop: Header=BB65_30 Depth=1
	v_mov_b32_e32 v29, s27
	v_add_u32_e32 v32, 64, v28
	v_mov_b32_e32 v33, s27
	flat_load_dword v27, v[28:29] glc
	s_waitcnt vmcnt(0)
	flat_load_dword v34, v[32:33] glc
	s_waitcnt vmcnt(0) lgkmcnt(0)
	v_max_f32_e32 v27, v27, v27
	v_max_f32_e32 v32, v34, v34
	;; [unrolled: 1-line block ×3, first 2 shown]
	flat_store_dword v[28:29], v27
	s_waitcnt vmcnt(0)
	s_or_b64 exec, exec, s[30:31]
	v_cmp_lt_i64_e32 vcc, v[18:19], v[30:31]
	s_and_saveexec_b64 s[30:31], vcc
	s_cbranch_execnz .LBB65_37
	s_branch .LBB65_38
.LBB65_48:
	v_cmp_eq_u32_e32 vcc, 0, v4
	v_cmp_lt_i64_e64 s[2:3], v[6:7], v[8:9]
	s_and_b64 s[22:23], vcc, s[2:3]
	s_mul_i32 s7, s19, s6
	s_mul_hi_u32 s16, s18, s6
	s_mul_i32 s2, s18, s6
	s_waitcnt lgkmcnt(0)
	s_barrier
	s_and_saveexec_b64 s[18:19], s[22:23]
	s_cbranch_execz .LBB65_52
; %bb.49:
	s_load_dwordx2 s[4:5], s[4:5], 0x20
	ds_read_b32 v1, v1
	s_waitcnt lgkmcnt(0)
	s_cmp_eq_u64 s[4:5], 0
	s_cbranch_scc1 .LBB65_51
; %bb.50:
	s_load_dword s3, s[4:5], 0x0
	v_max_f32_e32 v1, v1, v1
	s_waitcnt lgkmcnt(0)
	v_max_f32_e64 v4, s3, s3
	v_min_f32_e32 v1, v1, v4
.LBB65_51:
	s_mov_b32 s3, 0x42fe0000
	v_div_scale_f32 v4, s[4:5], s3, s3, v1
	v_rcp_f32_e32 v5, v4
	v_div_scale_f32 v6, vcc, v1, s3, v1
	v_lshlrev_b64 v[2:3], 2, v[2:3]
	v_fma_f32 v7, -v4, v5, 1.0
	v_fmac_f32_e32 v5, v7, v5
	v_mul_f32_e32 v7, v6, v5
	v_fma_f32 v8, -v4, v7, v6
	v_fmac_f32_e32 v7, v8, v5
	v_fma_f32 v4, -v4, v7, v6
	v_div_fmas_f32 v4, v4, v5, v7
	v_div_fixup_f32 v1, v4, s3, v1
	s_add_i32 s3, s16, s7
	s_lshl_b64 s[4:5], s[2:3], 2
	s_add_u32 s3, s10, s4
	s_addc_u32 s4, s11, s5
	v_mov_b32_e32 v4, s4
	v_add_co_u32_e32 v2, vcc, s3, v2
	v_max_f32_e32 v1, 0x34000000, v1
	v_addc_co_u32_e32 v3, vcc, v4, v3, vcc
	global_store_dword v[2:3], v1, off
.LBB65_52:
	s_or_b64 exec, exec, s[18:19]
	s_barrier
	s_and_saveexec_b64 s[4:5], s[0:1]
	s_cbranch_execz .LBB65_61
; %bb.53:
	s_mul_i32 s0, s21, s6
	s_mul_hi_u32 s1, s17, s6
	s_add_i32 s1, s1, s0
	s_mul_i32 s0, s17, s6
	s_add_u32 s13, s8, s0
	s_addc_u32 s20, s9, s1
	s_add_i32 s3, s16, s7
	s_lshl_b64 s[0:1], s[2:3], 2
	s_add_u32 s2, s10, s0
	s_addc_u32 s3, s11, s1
	s_add_i32 s25, s45, s45
	s_mul_i32 s21, s45, 3
	s_lshl_b32 s22, s45, 1
	s_mov_b64 s[4:5], 0
	v_mov_b32_e32 v1, 0
	v_mov_b32_e32 v6, s44
	v_mov_b32_e32 v7, s15
	s_mov_b32 s23, 0x42fe0000
	v_mov_b32_e32 v8, 0x42fe0000
	s_mov_b32 s24, 0xc3000000
	v_mov_b32_e32 v9, 0xc3000000
	v_mov_b32_e32 v10, s20
	s_add_i32 s25, s25, s45
	v_mov_b32_e32 v11, 8
                                        ; implicit-def: $sgpr6_sgpr7
	s_branch .LBB65_57
.LBB65_54:                              ;   in Loop: Header=BB65_57 Depth=1
	s_or_b64 exec, exec, s[16:17]
	s_orn2_b64 s[16:17], s[18:19], exec
.LBB65_55:                              ;   in Loop: Header=BB65_57 Depth=1
	s_or_b64 exec, exec, s[10:11]
	s_andn2_b64 s[0:1], s[6:7], exec
	s_and_b64 s[6:7], s[16:17], exec
	s_or_b64 s[6:7], s[0:1], s[6:7]
.LBB65_56:                              ;   in Loop: Header=BB65_57 Depth=1
	s_or_b64 exec, exec, s[8:9]
	s_and_b64 s[0:1], exec, s[6:7]
	s_or_b64 s[4:5], s[0:1], s[4:5]
	s_andn2_b64 exec, exec, s[4:5]
	s_cbranch_execz .LBB65_61
.LBB65_57:                              ; =>This Inner Loop Header: Depth=1
	v_lshrrev_b32_e32 v4, 2, v0
	v_lshlrev_b64 v[2:3], 3, v[0:1]
	v_and_b32_e32 v4, 0xffffffc, v4
	global_load_dword v16, v4, s[2:3]
	v_add_co_u32_e32 v4, vcc, s33, v2
	v_addc_co_u32_e32 v5, vcc, v6, v3, vcc
	v_add_co_u32_e32 v2, vcc, s14, v2
	global_load_dwordx2 v[4:5], v[4:5], off
	v_addc_co_u32_e32 v3, vcc, v7, v3, vcc
	global_load_dwordx2 v[12:13], v[2:3], off
	v_lshlrev_b64 v[14:15], 2, v[0:1]
	v_add_co_u32_e32 v14, vcc, s13, v14
	v_addc_co_u32_e32 v15, vcc, v10, v15, vcc
	v_add_u32_e32 v2, s45, v0
	v_cmp_gt_u32_e64 s[0:1], s12, v2
	s_or_b64 s[6:7], s[6:7], exec
	s_waitcnt vmcnt(2)
	v_div_scale_f32 v3, s[8:9], v16, v16, 1.0
	v_rcp_f32_e32 v20, v3
	v_div_scale_f32 v17, vcc, 1.0, v16, 1.0
	s_waitcnt vmcnt(1)
	v_fma_mixlo_f16 v18, v36, v4, 0 op_sel_hi:[0,1,0]
	v_fma_mixlo_f16 v4, v36, v4, 0 op_sel:[0,1,0] op_sel_hi:[0,1,0]
	v_fma_mixlo_f16 v19, v36, v5, 0 op_sel_hi:[0,1,0]
	v_fma_mixlo_f16 v5, v36, v5, 0 op_sel:[0,1,0] op_sel_hi:[0,1,0]
	s_waitcnt vmcnt(0)
	v_mul_f16_e32 v18, v12, v18
	v_mul_f16_sdwa v4, v12, v4 dst_sel:DWORD dst_unused:UNUSED_PAD src0_sel:WORD_1 src1_sel:DWORD
	v_mul_f16_e32 v12, v13, v19
	v_mul_f16_sdwa v5, v13, v5 dst_sel:DWORD dst_unused:UNUSED_PAD src0_sel:WORD_1 src1_sel:DWORD
	v_cvt_f32_f16_e32 v13, v18
	v_fma_f32 v18, -v3, v20, 1.0
	v_fmac_f32_e32 v20, v18, v20
	v_mul_f32_e32 v18, v17, v20
	v_fma_f32 v19, -v3, v18, v17
	v_fmac_f32_e32 v18, v19, v20
	v_cvt_f32_f16_e32 v4, v4
	v_cvt_f32_f16_e32 v12, v12
	;; [unrolled: 1-line block ×3, first 2 shown]
	v_fma_f32 v3, -v3, v18, v17
	v_div_fmas_f32 v3, v3, v20, v18
	v_div_fixup_f32 v3, v3, v16, 1.0
	v_mul_f32_e32 v13, v3, v13
	v_mul_f32_e32 v4, v3, v4
	;; [unrolled: 1-line block ×4, first 2 shown]
	v_rndne_f32_e32 v5, v13
	v_rndne_f32_e32 v4, v4
	v_cmp_nlt_f32_e32 vcc, s23, v5
	v_rndne_f32_e32 v12, v12
	v_cndmask_b32_e32 v13, v8, v5, vcc
	v_cmp_nlt_f32_e32 vcc, s23, v4
	v_rndne_f32_e32 v3, v3
	v_cndmask_b32_e32 v16, v8, v4, vcc
	v_cmp_nlt_f32_e32 vcc, s23, v12
	v_cndmask_b32_e32 v17, v8, v12, vcc
	v_cmp_nlt_f32_e32 vcc, s23, v3
	v_cndmask_b32_e32 v18, v8, v3, vcc
	v_cmp_ngt_f32_e32 vcc, s24, v5
	v_cndmask_b32_e32 v5, v9, v13, vcc
	v_cmp_ngt_f32_e32 vcc, s24, v4
	;; [unrolled: 2-line block ×4, first 2 shown]
	v_cvt_i32_f32_e32 v12, v12
	v_cndmask_b32_e32 v3, v9, v18, vcc
	v_cvt_i32_f32_e32 v4, v4
	v_cvt_i32_f32_e32 v5, v5
	;; [unrolled: 1-line block ×3, first 2 shown]
	v_and_b32_e32 v12, 0xff, v12
	v_lshlrev_b32_e32 v12, 16, v12
	v_lshlrev_b32_sdwa v4, v11, v4 dst_sel:DWORD dst_unused:UNUSED_PAD src0_sel:DWORD src1_sel:BYTE_0
	v_and_b32_e32 v5, 0xff, v5
	v_lshl_or_b32 v3, v3, 24, v12
	v_or3_b32 v3, v3, v4, v5
	global_store_dword v[14:15], v3, off
	s_and_saveexec_b64 s[8:9], s[0:1]
	s_cbranch_execz .LBB65_56
; %bb.58:                               ;   in Loop: Header=BB65_57 Depth=1
	v_mov_b32_e32 v3, v1
	v_lshrrev_b32_e32 v12, 2, v2
	v_lshlrev_b64 v[4:5], 3, v[2:3]
	v_and_b32_e32 v12, 0xffffffc, v12
	global_load_dword v18, v12, s[2:3]
	v_add_co_u32_e32 v12, vcc, s33, v4
	v_addc_co_u32_e32 v13, vcc, v6, v5, vcc
	v_add_co_u32_e32 v4, vcc, s14, v4
	global_load_dwordx2 v[12:13], v[12:13], off
	v_addc_co_u32_e32 v5, vcc, v7, v5, vcc
	global_load_dwordx2 v[14:15], v[4:5], off
	v_lshlrev_b64 v[16:17], 2, v[2:3]
	v_add_co_u32_e32 v16, vcc, s13, v16
	v_addc_co_u32_e32 v17, vcc, v10, v17, vcc
	v_add_u32_e32 v4, s22, v0
	v_cmp_gt_u32_e64 s[0:1], s12, v4
	s_mov_b64 s[16:17], -1
	s_waitcnt vmcnt(2)
	v_div_scale_f32 v3, s[10:11], v18, v18, 1.0
	v_rcp_f32_e32 v19, v3
	v_div_scale_f32 v5, vcc, 1.0, v18, 1.0
	s_waitcnt vmcnt(1)
	v_fma_mixlo_f16 v20, v36, v12, 0 op_sel_hi:[0,1,0]
	v_fma_mixlo_f16 v12, v36, v12, 0 op_sel:[0,1,0] op_sel_hi:[0,1,0]
	v_fma_mixlo_f16 v21, v36, v13, 0 op_sel_hi:[0,1,0]
	v_fma_mixlo_f16 v13, v36, v13, 0 op_sel:[0,1,0] op_sel_hi:[0,1,0]
	s_waitcnt vmcnt(0)
	v_mul_f16_e32 v20, v14, v20
	v_mul_f16_sdwa v12, v14, v12 dst_sel:DWORD dst_unused:UNUSED_PAD src0_sel:WORD_1 src1_sel:DWORD
	v_mul_f16_e32 v14, v15, v21
	v_mul_f16_sdwa v13, v15, v13 dst_sel:DWORD dst_unused:UNUSED_PAD src0_sel:WORD_1 src1_sel:DWORD
	v_cvt_f32_f16_e32 v15, v20
	v_fma_f32 v20, -v3, v19, 1.0
	v_fmac_f32_e32 v19, v20, v19
	v_mul_f32_e32 v20, v5, v19
	v_fma_f32 v21, -v3, v20, v5
	v_fmac_f32_e32 v20, v21, v19
	v_cvt_f32_f16_e32 v12, v12
	v_fma_f32 v3, -v3, v20, v5
	v_cvt_f32_f16_e32 v14, v14
	v_div_fmas_f32 v3, v3, v19, v20
	v_cvt_f32_f16_e32 v13, v13
	v_div_fixup_f32 v3, v3, v18, 1.0
	v_mul_f32_e32 v5, v3, v15
	v_mul_f32_e32 v12, v3, v12
	v_rndne_f32_e32 v5, v5
	v_mul_f32_e32 v14, v3, v14
	v_rndne_f32_e32 v12, v12
	v_cmp_nlt_f32_e32 vcc, s23, v5
	v_mul_f32_e32 v3, v3, v13
	v_rndne_f32_e32 v13, v14
	v_cndmask_b32_e32 v14, v8, v5, vcc
	v_cmp_nlt_f32_e32 vcc, s23, v12
	v_rndne_f32_e32 v3, v3
	v_cndmask_b32_e32 v15, v8, v12, vcc
	v_cmp_nlt_f32_e32 vcc, s23, v13
	v_cndmask_b32_e32 v18, v8, v13, vcc
	v_cmp_nlt_f32_e32 vcc, s23, v3
	v_cndmask_b32_e32 v19, v8, v3, vcc
	v_cmp_ngt_f32_e32 vcc, s24, v5
	v_cndmask_b32_e32 v5, v9, v14, vcc
	v_cmp_ngt_f32_e32 vcc, s24, v12
	;; [unrolled: 2-line block ×4, first 2 shown]
	v_cvt_i32_f32_e32 v13, v13
	v_cndmask_b32_e32 v3, v9, v19, vcc
	v_cvt_i32_f32_e32 v12, v12
	v_cvt_i32_f32_e32 v5, v5
	;; [unrolled: 1-line block ×3, first 2 shown]
	v_and_b32_e32 v13, 0xff, v13
	v_lshlrev_b32_e32 v13, 16, v13
	v_lshlrev_b32_sdwa v12, v11, v12 dst_sel:DWORD dst_unused:UNUSED_PAD src0_sel:DWORD src1_sel:BYTE_0
	v_and_b32_e32 v5, 0xff, v5
	v_lshl_or_b32 v3, v3, 24, v13
	v_or3_b32 v3, v3, v12, v5
	global_store_dword v[16:17], v3, off
	s_and_saveexec_b64 s[10:11], s[0:1]
	s_cbranch_execz .LBB65_55
; %bb.59:                               ;   in Loop: Header=BB65_57 Depth=1
	v_mov_b32_e32 v5, v1
	v_lshrrev_b32_e32 v14, 2, v4
	v_lshlrev_b64 v[12:13], 3, v[4:5]
	v_and_b32_e32 v14, 0xffffffc, v14
	v_mov_b32_e32 v3, s44
	global_load_dword v16, v14, s[2:3]
	v_add_co_u32_e32 v14, vcc, s33, v12
	v_addc_co_u32_e32 v15, vcc, v3, v13, vcc
	v_mov_b32_e32 v3, s15
	v_add_co_u32_e32 v12, vcc, s14, v12
	global_load_dwordx2 v[14:15], v[14:15], off
	v_addc_co_u32_e32 v13, vcc, v3, v13, vcc
	global_load_dwordx2 v[12:13], v[12:13], off
	v_lshlrev_b64 v[4:5], 2, v[4:5]
	v_mov_b32_e32 v3, s20
	v_add_co_u32_e32 v4, vcc, s13, v4
	v_addc_co_u32_e32 v5, vcc, v3, v5, vcc
	v_add_u32_e32 v0, s21, v0
	v_cmp_gt_u32_e64 s[0:1], s12, v0
	s_mov_b64 s[18:19], -1
	s_waitcnt vmcnt(2)
	v_div_scale_f32 v3, s[16:17], v16, v16, 1.0
	v_rcp_f32_e32 v18, v3
	v_div_scale_f32 v17, vcc, 1.0, v16, 1.0
	s_waitcnt vmcnt(1)
	v_fma_mixlo_f16 v19, v36, v14, 0 op_sel_hi:[0,1,0]
	v_fma_mixlo_f16 v14, v36, v14, 0 op_sel:[0,1,0] op_sel_hi:[0,1,0]
	v_fma_mixlo_f16 v20, v36, v15, 0 op_sel_hi:[0,1,0]
	v_fma_mixlo_f16 v15, v36, v15, 0 op_sel:[0,1,0] op_sel_hi:[0,1,0]
	s_waitcnt vmcnt(0)
	v_mul_f16_e32 v19, v12, v19
	v_mul_f16_sdwa v12, v12, v14 dst_sel:DWORD dst_unused:UNUSED_PAD src0_sel:WORD_1 src1_sel:DWORD
	v_mul_f16_e32 v14, v13, v20
	v_mul_f16_sdwa v13, v13, v15 dst_sel:DWORD dst_unused:UNUSED_PAD src0_sel:WORD_1 src1_sel:DWORD
	v_cvt_f32_f16_e32 v15, v19
	v_fma_f32 v19, -v3, v18, 1.0
	v_fmac_f32_e32 v18, v19, v18
	v_mul_f32_e32 v19, v17, v18
	v_fma_f32 v20, -v3, v19, v17
	v_fmac_f32_e32 v19, v20, v18
	v_cvt_f32_f16_e32 v12, v12
	v_cvt_f32_f16_e32 v14, v14
	;; [unrolled: 1-line block ×3, first 2 shown]
	v_fma_f32 v3, -v3, v19, v17
	v_div_fmas_f32 v3, v3, v18, v19
	v_div_fixup_f32 v3, v3, v16, 1.0
	v_mul_f32_e32 v15, v3, v15
	v_mul_f32_e32 v12, v3, v12
	;; [unrolled: 1-line block ×4, first 2 shown]
	v_rndne_f32_e32 v13, v15
	v_rndne_f32_e32 v12, v12
	v_cmp_nlt_f32_e32 vcc, s23, v13
	v_rndne_f32_e32 v14, v14
	v_cndmask_b32_e32 v15, v8, v13, vcc
	v_cmp_nlt_f32_e32 vcc, s23, v12
	v_rndne_f32_e32 v3, v3
	v_cndmask_b32_e32 v16, v8, v12, vcc
	v_cmp_nlt_f32_e32 vcc, s23, v14
	v_cndmask_b32_e32 v17, v8, v14, vcc
	v_cmp_nlt_f32_e32 vcc, s23, v3
	v_cndmask_b32_e32 v18, v8, v3, vcc
	v_cmp_ngt_f32_e32 vcc, s24, v13
	v_cndmask_b32_e32 v13, v9, v15, vcc
	v_cmp_ngt_f32_e32 vcc, s24, v12
	v_cndmask_b32_e32 v12, v9, v16, vcc
	v_cmp_ngt_f32_e32 vcc, s24, v14
	v_cndmask_b32_e32 v14, v9, v17, vcc
	v_cmp_ngt_f32_e32 vcc, s24, v3
	v_cvt_i32_f32_e32 v14, v14
	v_cndmask_b32_e32 v3, v9, v18, vcc
	v_cvt_i32_f32_e32 v12, v12
	v_cvt_i32_f32_e32 v13, v13
	;; [unrolled: 1-line block ×3, first 2 shown]
	v_and_b32_e32 v14, 0xff, v14
	v_lshlrev_b32_e32 v14, 16, v14
	v_lshlrev_b32_sdwa v12, v11, v12 dst_sel:DWORD dst_unused:UNUSED_PAD src0_sel:DWORD src1_sel:BYTE_0
	v_and_b32_e32 v13, 0xff, v13
	v_lshl_or_b32 v3, v3, 24, v14
	v_or3_b32 v3, v3, v12, v13
	global_store_dword v[4:5], v3, off
	s_and_saveexec_b64 s[16:17], s[0:1]
	s_cbranch_execz .LBB65_54
; %bb.60:                               ;   in Loop: Header=BB65_57 Depth=1
	v_lshrrev_b32_e32 v12, 2, v0
	v_lshlrev_b64 v[4:5], 3, v[0:1]
	v_and_b32_e32 v12, 0xffffffc, v12
	v_mov_b32_e32 v3, s44
	global_load_dword v16, v12, s[2:3]
	v_add_co_u32_e32 v12, vcc, s33, v4
	v_addc_co_u32_e32 v13, vcc, v3, v5, vcc
	v_mov_b32_e32 v3, s15
	v_add_co_u32_e32 v4, vcc, s14, v4
	global_load_dwordx2 v[12:13], v[12:13], off
	v_addc_co_u32_e32 v5, vcc, v3, v5, vcc
	global_load_dwordx2 v[4:5], v[4:5], off
	v_lshlrev_b64 v[14:15], 2, v[0:1]
	v_add_u32_e32 v0, s25, v2
	v_add_co_u32_e32 v2, vcc, s13, v14
	v_mov_b32_e32 v3, s20
	v_addc_co_u32_e32 v3, vcc, v3, v15, vcc
	v_cmp_le_u32_e64 s[0:1], s12, v0
	s_waitcnt vmcnt(2)
	v_div_scale_f32 v14, s[18:19], v16, v16, 1.0
	v_rcp_f32_e32 v19, v14
	v_div_scale_f32 v15, vcc, 1.0, v16, 1.0
	s_orn2_b64 s[18:19], s[0:1], exec
	s_waitcnt vmcnt(1)
	v_fma_mixlo_f16 v17, v36, v12, 0 op_sel_hi:[0,1,0]
	v_fma_mixlo_f16 v12, v36, v12, 0 op_sel:[0,1,0] op_sel_hi:[0,1,0]
	v_fma_mixlo_f16 v18, v36, v13, 0 op_sel_hi:[0,1,0]
	v_fma_mixlo_f16 v13, v36, v13, 0 op_sel:[0,1,0] op_sel_hi:[0,1,0]
	s_waitcnt vmcnt(0)
	v_mul_f16_e32 v17, v4, v17
	v_mul_f16_sdwa v4, v4, v12 dst_sel:DWORD dst_unused:UNUSED_PAD src0_sel:WORD_1 src1_sel:DWORD
	v_mul_f16_e32 v12, v5, v18
	v_mul_f16_sdwa v5, v5, v13 dst_sel:DWORD dst_unused:UNUSED_PAD src0_sel:WORD_1 src1_sel:DWORD
	v_cvt_f32_f16_e32 v13, v17
	v_fma_f32 v17, -v14, v19, 1.0
	v_fmac_f32_e32 v19, v17, v19
	v_mul_f32_e32 v17, v15, v19
	v_fma_f32 v18, -v14, v17, v15
	v_fmac_f32_e32 v17, v18, v19
	v_cvt_f32_f16_e32 v4, v4
	v_fma_f32 v14, -v14, v17, v15
	v_cvt_f32_f16_e32 v12, v12
	v_div_fmas_f32 v14, v14, v19, v17
	v_cvt_f32_f16_e32 v5, v5
	v_div_fixup_f32 v14, v14, v16, 1.0
	v_mul_f32_e32 v13, v14, v13
	v_mul_f32_e32 v4, v14, v4
	v_rndne_f32_e32 v13, v13
	v_mul_f32_e32 v12, v14, v12
	v_rndne_f32_e32 v4, v4
	v_cmp_nlt_f32_e32 vcc, s23, v13
	v_mul_f32_e32 v5, v14, v5
	v_rndne_f32_e32 v12, v12
	v_cndmask_b32_e32 v14, v8, v13, vcc
	v_cmp_nlt_f32_e32 vcc, s23, v4
	v_rndne_f32_e32 v5, v5
	v_cndmask_b32_e32 v15, v8, v4, vcc
	v_cmp_nlt_f32_e32 vcc, s23, v12
	v_cndmask_b32_e32 v16, v8, v12, vcc
	v_cmp_nlt_f32_e32 vcc, s23, v5
	v_cndmask_b32_e32 v17, v8, v5, vcc
	v_cmp_ngt_f32_e32 vcc, s24, v13
	v_cndmask_b32_e32 v13, v9, v14, vcc
	v_cmp_ngt_f32_e32 vcc, s24, v4
	;; [unrolled: 2-line block ×4, first 2 shown]
	v_cvt_i32_f32_e32 v12, v12
	v_cndmask_b32_e32 v5, v9, v17, vcc
	v_cvt_i32_f32_e32 v4, v4
	v_cvt_i32_f32_e32 v13, v13
	;; [unrolled: 1-line block ×3, first 2 shown]
	v_and_b32_e32 v12, 0xff, v12
	v_lshlrev_b32_e32 v12, 16, v12
	v_lshlrev_b32_sdwa v4, v11, v4 dst_sel:DWORD dst_unused:UNUSED_PAD src0_sel:DWORD src1_sel:BYTE_0
	v_and_b32_e32 v13, 0xff, v13
	v_lshl_or_b32 v5, v5, 24, v12
	v_or3_b32 v4, v5, v4, v13
	global_store_dword v[2:3], v4, off
	s_branch .LBB65_54
.LBB65_61:
	s_endpgm
	.section	.rodata,"a",@progbits
	.p2align	6, 0x0
	.amdhsa_kernel _ZN4vllm31rms_norm_per_block_quant_kernelIN3c104HalfEaLb0ELb0ELi64EEEvPT0_PfPKT_S8_PKffiiPS6_l
		.amdhsa_group_segment_fixed_size 4164
		.amdhsa_private_segment_fixed_size 0
		.amdhsa_kernarg_size 328
		.amdhsa_user_sgpr_count 6
		.amdhsa_user_sgpr_private_segment_buffer 1
		.amdhsa_user_sgpr_dispatch_ptr 0
		.amdhsa_user_sgpr_queue_ptr 0
		.amdhsa_user_sgpr_kernarg_segment_ptr 1
		.amdhsa_user_sgpr_dispatch_id 0
		.amdhsa_user_sgpr_flat_scratch_init 0
		.amdhsa_user_sgpr_kernarg_preload_length 0
		.amdhsa_user_sgpr_kernarg_preload_offset 0
		.amdhsa_user_sgpr_private_segment_size 0
		.amdhsa_uses_dynamic_stack 0
		.amdhsa_system_sgpr_private_segment_wavefront_offset 0
		.amdhsa_system_sgpr_workgroup_id_x 1
		.amdhsa_system_sgpr_workgroup_id_y 0
		.amdhsa_system_sgpr_workgroup_id_z 0
		.amdhsa_system_sgpr_workgroup_info 0
		.amdhsa_system_vgpr_workitem_id 0
		.amdhsa_next_free_vgpr 40
		.amdhsa_next_free_sgpr 46
		.amdhsa_accum_offset 40
		.amdhsa_reserve_vcc 1
		.amdhsa_reserve_flat_scratch 0
		.amdhsa_float_round_mode_32 0
		.amdhsa_float_round_mode_16_64 0
		.amdhsa_float_denorm_mode_32 3
		.amdhsa_float_denorm_mode_16_64 3
		.amdhsa_dx10_clamp 1
		.amdhsa_ieee_mode 1
		.amdhsa_fp16_overflow 0
		.amdhsa_tg_split 0
		.amdhsa_exception_fp_ieee_invalid_op 0
		.amdhsa_exception_fp_denorm_src 0
		.amdhsa_exception_fp_ieee_div_zero 0
		.amdhsa_exception_fp_ieee_overflow 0
		.amdhsa_exception_fp_ieee_underflow 0
		.amdhsa_exception_fp_ieee_inexact 0
		.amdhsa_exception_int_div_zero 0
	.end_amdhsa_kernel
	.section	.text._ZN4vllm31rms_norm_per_block_quant_kernelIN3c104HalfEaLb0ELb0ELi64EEEvPT0_PfPKT_S8_PKffiiPS6_l,"axG",@progbits,_ZN4vllm31rms_norm_per_block_quant_kernelIN3c104HalfEaLb0ELb0ELi64EEEvPT0_PfPKT_S8_PKffiiPS6_l,comdat
.Lfunc_end65:
	.size	_ZN4vllm31rms_norm_per_block_quant_kernelIN3c104HalfEaLb0ELb0ELi64EEEvPT0_PfPKT_S8_PKffiiPS6_l, .Lfunc_end65-_ZN4vllm31rms_norm_per_block_quant_kernelIN3c104HalfEaLb0ELb0ELi64EEEvPT0_PfPKT_S8_PKffiiPS6_l
                                        ; -- End function
	.section	.AMDGPU.csdata,"",@progbits
; Kernel info:
; codeLenInByte = 5784
; NumSgprs: 50
; NumVgprs: 40
; NumAgprs: 0
; TotalNumVgprs: 40
; ScratchSize: 0
; MemoryBound: 0
; FloatMode: 240
; IeeeMode: 1
; LDSByteSize: 4164 bytes/workgroup (compile time only)
; SGPRBlocks: 6
; VGPRBlocks: 4
; NumSGPRsForWavesPerEU: 50
; NumVGPRsForWavesPerEU: 40
; AccumOffset: 40
; Occupancy: 8
; WaveLimiterHint : 0
; COMPUTE_PGM_RSRC2:SCRATCH_EN: 0
; COMPUTE_PGM_RSRC2:USER_SGPR: 6
; COMPUTE_PGM_RSRC2:TRAP_HANDLER: 0
; COMPUTE_PGM_RSRC2:TGID_X_EN: 1
; COMPUTE_PGM_RSRC2:TGID_Y_EN: 0
; COMPUTE_PGM_RSRC2:TGID_Z_EN: 0
; COMPUTE_PGM_RSRC2:TIDIG_COMP_CNT: 0
; COMPUTE_PGM_RSRC3_GFX90A:ACCUM_OFFSET: 9
; COMPUTE_PGM_RSRC3_GFX90A:TG_SPLIT: 0
	.section	.text._ZN4vllm31rms_norm_per_block_quant_kernelIN3c108BFloat16ENS1_13Float8_e4m3fnELb1ELb1ELi128EEEvPT0_PfPKT_S9_PKffiiPS7_l,"axG",@progbits,_ZN4vllm31rms_norm_per_block_quant_kernelIN3c108BFloat16ENS1_13Float8_e4m3fnELb1ELb1ELi128EEEvPT0_PfPKT_S9_PKffiiPS7_l,comdat
	.protected	_ZN4vllm31rms_norm_per_block_quant_kernelIN3c108BFloat16ENS1_13Float8_e4m3fnELb1ELb1ELi128EEEvPT0_PfPKT_S9_PKffiiPS7_l ; -- Begin function _ZN4vllm31rms_norm_per_block_quant_kernelIN3c108BFloat16ENS1_13Float8_e4m3fnELb1ELb1ELi128EEEvPT0_PfPKT_S9_PKffiiPS7_l
	.globl	_ZN4vllm31rms_norm_per_block_quant_kernelIN3c108BFloat16ENS1_13Float8_e4m3fnELb1ELb1ELi128EEEvPT0_PfPKT_S9_PKffiiPS7_l
	.p2align	8
	.type	_ZN4vllm31rms_norm_per_block_quant_kernelIN3c108BFloat16ENS1_13Float8_e4m3fnELb1ELb1ELi128EEEvPT0_PfPKT_S9_PKffiiPS7_l,@function
_ZN4vllm31rms_norm_per_block_quant_kernelIN3c108BFloat16ENS1_13Float8_e4m3fnELb1ELb1ELi128EEEvPT0_PfPKT_S9_PKffiiPS7_l: ; @_ZN4vllm31rms_norm_per_block_quant_kernelIN3c108BFloat16ENS1_13Float8_e4m3fnELb1ELb1ELi128EEEvPT0_PfPKT_S9_PKffiiPS7_l
; %bb.0:
	s_load_dwordx4 s[8:11], s[4:5], 0x28
	s_load_dwordx8 s[12:19], s[4:5], 0x0
	s_load_dwordx2 s[34:35], s[4:5], 0x38
	s_load_dword s49, s[4:5], 0x48
	s_mov_b32 s7, 0
	s_waitcnt lgkmcnt(0)
	s_ashr_i32 s0, s10, 31
	s_mul_hi_u32 s1, s10, s6
	s_mul_i32 s0, s0, s6
	s_ashr_i32 s23, s9, 31
	s_add_i32 s1, s1, s0
	s_mul_i32 s0, s10, s6
	s_mul_hi_u32 s2, s9, s6
	s_mul_i32 s3, s23, s6
	s_add_i32 s21, s2, s3
	s_lshl_b64 s[30:31], s[0:1], 1
	s_mul_i32 s20, s9, s6
	s_add_u32 s33, s16, s30
	s_addc_u32 s46, s17, s31
	s_lshl_b64 s[36:37], s[20:21], 1
	s_add_u32 s47, s34, s36
	s_addc_u32 s48, s35, s37
	s_ashr_i32 s10, s9, 2
	s_add_u32 s26, s4, 0x48
	s_mov_b32 s22, s9
	v_cmp_gt_u32_e64 s[0:1], s10, v0
	s_addc_u32 s27, s5, 0
	v_mov_b32_e32 v1, 0
	s_and_saveexec_b64 s[2:3], s[0:1]
	s_cbranch_execz .LBB66_10
; %bb.1:
	s_cmp_lt_u32 s6, s49
	s_cselect_b32 s9, 12, 18
	s_add_u32 s24, s26, s9
	s_addc_u32 s25, s27, 0
	v_mov_b32_e32 v3, 0
	global_load_ushort v8, v3, s[24:25]
	s_mov_b64 s[24:25], 0
	v_mov_b32_e32 v9, s46
	v_mov_b32_e32 v10, s48
	;; [unrolled: 1-line block ×3, first 2 shown]
                                        ; implicit-def: $sgpr28_sgpr29
	s_waitcnt vmcnt(0)
	v_add_u32_e32 v1, v8, v8
	v_mul_lo_u32 v11, v8, 3
	v_lshlrev_b32_e32 v12, 1, v8
	v_add_u32_e32 v13, v1, v8
	v_mov_b32_e32 v1, v3
	s_branch .LBB66_5
.LBB66_2:                               ;   in Loop: Header=BB66_5 Depth=1
	s_or_b64 exec, exec, s[42:43]
	s_orn2_b64 s[42:43], s[44:45], exec
.LBB66_3:                               ;   in Loop: Header=BB66_5 Depth=1
	s_or_b64 exec, exec, s[40:41]
	s_andn2_b64 s[28:29], s[28:29], exec
	s_and_b64 s[40:41], s[42:43], exec
	s_or_b64 s[28:29], s[28:29], s[40:41]
.LBB66_4:                               ;   in Loop: Header=BB66_5 Depth=1
	s_or_b64 exec, exec, s[38:39]
	s_and_b64 s[38:39], exec, s[28:29]
	s_or_b64 s[24:25], s[38:39], s[24:25]
	s_andn2_b64 exec, exec, s[24:25]
	s_cbranch_execz .LBB66_9
.LBB66_5:                               ; =>This Inner Loop Header: Depth=1
	v_lshlrev_b64 v[4:5], 3, v[2:3]
	v_add_co_u32_e32 v6, vcc, s33, v4
	v_addc_co_u32_e32 v7, vcc, v9, v5, vcc
	v_add_co_u32_e32 v4, vcc, s47, v4
	v_addc_co_u32_e32 v5, vcc, v10, v5, vcc
	global_load_dwordx2 v[6:7], v[6:7], off
	s_or_b64 s[28:29], s[28:29], exec
	global_load_dwordx2 v[14:15], v[4:5], off
	v_add_u32_e32 v4, v2, v8
	v_cmp_gt_u32_e32 vcc, s10, v4
	s_waitcnt vmcnt(1)
	v_lshlrev_b32_e32 v16, 16, v6
	v_and_b32_e32 v5, 0xffff0000, v6
	s_waitcnt vmcnt(0)
	v_lshlrev_b32_e32 v18, 16, v14
	v_alignbit_b32 v6, v7, v6, 16
	v_and_b32_e32 v17, 0xffff0000, v14
	v_alignbit_b32 v14, v15, v14, 16
	v_add_f32_e32 v16, v16, v18
	v_and_b32_e32 v6, 0xffff0000, v6
	v_add_f32_e32 v5, v5, v17
	v_and_b32_e32 v14, 0xffff0000, v14
	v_fmac_f32_e32 v1, v16, v16
	v_and_b32_e32 v7, 0xffff0000, v7
	v_and_b32_e32 v15, 0xffff0000, v15
	v_add_f32_e32 v6, v6, v14
	v_fmac_f32_e32 v1, v5, v5
	v_add_f32_e32 v7, v7, v15
	v_fmac_f32_e32 v1, v6, v6
	v_fmac_f32_e32 v1, v7, v7
	s_and_saveexec_b64 s[38:39], vcc
	s_cbranch_execz .LBB66_4
; %bb.6:                                ;   in Loop: Header=BB66_5 Depth=1
	v_mov_b32_e32 v5, v3
	v_lshlrev_b64 v[6:7], 3, v[4:5]
	v_add_co_u32_e32 v14, vcc, s33, v6
	v_addc_co_u32_e32 v15, vcc, v9, v7, vcc
	v_add_co_u32_e32 v6, vcc, s47, v6
	v_addc_co_u32_e32 v7, vcc, v10, v7, vcc
	global_load_dwordx2 v[14:15], v[14:15], off
	s_mov_b64 s[42:43], -1
	global_load_dwordx2 v[16:17], v[6:7], off
	v_add_u32_e32 v6, v12, v2
	v_cmp_gt_u32_e32 vcc, s10, v6
	s_waitcnt vmcnt(1)
	v_lshlrev_b32_e32 v7, 16, v14
	v_and_b32_e32 v5, 0xffff0000, v14
	s_waitcnt vmcnt(0)
	v_lshlrev_b32_e32 v19, 16, v16
	v_alignbit_b32 v14, v15, v14, 16
	v_and_b32_e32 v18, 0xffff0000, v16
	v_alignbit_b32 v16, v17, v16, 16
	v_add_f32_e32 v7, v7, v19
	v_and_b32_e32 v14, 0xffff0000, v14
	v_add_f32_e32 v5, v5, v18
	v_and_b32_e32 v16, 0xffff0000, v16
	v_fmac_f32_e32 v1, v7, v7
	v_and_b32_e32 v15, 0xffff0000, v15
	v_and_b32_e32 v17, 0xffff0000, v17
	v_add_f32_e32 v14, v14, v16
	v_fmac_f32_e32 v1, v5, v5
	v_add_f32_e32 v15, v15, v17
	v_fmac_f32_e32 v1, v14, v14
	v_fmac_f32_e32 v1, v15, v15
	s_and_saveexec_b64 s[40:41], vcc
	s_cbranch_execz .LBB66_3
; %bb.7:                                ;   in Loop: Header=BB66_5 Depth=1
	v_mov_b32_e32 v7, v3
	v_lshlrev_b64 v[6:7], 3, v[6:7]
	v_add_co_u32_e32 v14, vcc, s33, v6
	v_addc_co_u32_e32 v15, vcc, v9, v7, vcc
	v_add_co_u32_e32 v6, vcc, s47, v6
	v_addc_co_u32_e32 v7, vcc, v10, v7, vcc
	global_load_dwordx2 v[14:15], v[14:15], off
	v_add_u32_e32 v2, v11, v2
	global_load_dwordx2 v[6:7], v[6:7], off
	v_cmp_gt_u32_e32 vcc, s10, v2
	s_mov_b64 s[44:45], -1
	s_waitcnt vmcnt(1)
	v_lshlrev_b32_e32 v16, 16, v14
	v_and_b32_e32 v5, 0xffff0000, v14
	s_waitcnt vmcnt(0)
	v_lshlrev_b32_e32 v18, 16, v6
	v_alignbit_b32 v14, v15, v14, 16
	v_and_b32_e32 v17, 0xffff0000, v6
	v_alignbit_b32 v6, v7, v6, 16
	v_add_f32_e32 v16, v16, v18
	v_and_b32_e32 v14, 0xffff0000, v14
	v_add_f32_e32 v5, v5, v17
	v_and_b32_e32 v6, 0xffff0000, v6
	v_fmac_f32_e32 v1, v16, v16
	v_and_b32_e32 v15, 0xffff0000, v15
	v_and_b32_e32 v7, 0xffff0000, v7
	v_add_f32_e32 v6, v14, v6
	v_fmac_f32_e32 v1, v5, v5
	v_add_f32_e32 v7, v15, v7
	v_fmac_f32_e32 v1, v6, v6
	v_fmac_f32_e32 v1, v7, v7
	s_and_saveexec_b64 s[42:43], vcc
	s_xor_b64 s[42:43], exec, s[42:43]
	s_cbranch_execz .LBB66_2
; %bb.8:                                ;   in Loop: Header=BB66_5 Depth=1
	v_lshlrev_b64 v[6:7], 3, v[2:3]
	v_mov_b32_e32 v2, s46
	v_add_co_u32_e32 v14, vcc, s33, v6
	v_addc_co_u32_e32 v15, vcc, v2, v7, vcc
	v_mov_b32_e32 v2, s48
	v_add_co_u32_e32 v6, vcc, s47, v6
	v_addc_co_u32_e32 v7, vcc, v2, v7, vcc
	global_load_dwordx2 v[14:15], v[14:15], off
	v_add_u32_e32 v2, v13, v4
	global_load_dwordx2 v[6:7], v[6:7], off
	v_cmp_le_u32_e32 vcc, s10, v2
	s_orn2_b64 s[44:45], vcc, exec
	s_waitcnt vmcnt(1)
	v_lshlrev_b32_e32 v5, 16, v14
	v_and_b32_e32 v4, 0xffff0000, v14
	s_waitcnt vmcnt(0)
	v_lshlrev_b32_e32 v17, 16, v6
	v_alignbit_b32 v14, v15, v14, 16
	v_and_b32_e32 v16, 0xffff0000, v6
	v_alignbit_b32 v6, v7, v6, 16
	v_add_f32_e32 v5, v5, v17
	v_and_b32_e32 v14, 0xffff0000, v14
	v_add_f32_e32 v4, v4, v16
	v_and_b32_e32 v6, 0xffff0000, v6
	v_fmac_f32_e32 v1, v5, v5
	v_and_b32_e32 v15, 0xffff0000, v15
	v_and_b32_e32 v7, 0xffff0000, v7
	v_add_f32_e32 v6, v14, v6
	v_fmac_f32_e32 v1, v4, v4
	v_add_f32_e32 v7, v15, v7
	v_fmac_f32_e32 v1, v6, v6
	v_fmac_f32_e32 v1, v7, v7
	s_branch .LBB66_2
.LBB66_9:
	s_or_b64 exec, exec, s[24:25]
.LBB66_10:
	s_or_b64 exec, exec, s[2:3]
	v_mbcnt_lo_u32_b32 v2, -1, 0
	v_mbcnt_hi_u32_b32 v2, -1, v2
	v_and_b32_e32 v3, 63, v2
	v_cmp_ne_u32_e32 vcc, 63, v3
	s_load_dword s2, s[26:27], 0xc
	v_addc_co_u32_e32 v4, vcc, 0, v2, vcc
	v_lshlrev_b32_e32 v4, 2, v4
	ds_bpermute_b32 v4, v4, v1
	s_waitcnt lgkmcnt(0)
	s_and_b32 s9, s2, 0xffff
	v_and_b32_e32 v5, 0x3c0, v0
	v_sub_u32_e64 v5, s9, v5 clamp
	v_add_u32_e32 v6, 1, v2
	v_add_f32_e32 v4, v1, v4
	v_cmp_lt_u32_e32 vcc, v6, v5
	v_cndmask_b32_e32 v1, v1, v4, vcc
	v_cmp_gt_u32_e32 vcc, 62, v3
	v_cndmask_b32_e64 v4, 0, 1, vcc
	v_lshlrev_b32_e32 v4, 1, v4
	v_add_lshl_u32 v4, v4, v2, 2
	ds_bpermute_b32 v4, v4, v1
	v_add_u32_e32 v6, 2, v2
	v_cmp_lt_u32_e32 vcc, v6, v5
	v_add_u32_e32 v6, 4, v2
	s_waitcnt lgkmcnt(0)
	v_add_f32_e32 v4, v1, v4
	v_cndmask_b32_e32 v1, v1, v4, vcc
	v_cmp_gt_u32_e32 vcc, 60, v3
	v_cndmask_b32_e64 v4, 0, 1, vcc
	v_lshlrev_b32_e32 v4, 2, v4
	v_add_lshl_u32 v4, v4, v2, 2
	ds_bpermute_b32 v4, v4, v1
	v_cmp_lt_u32_e32 vcc, v6, v5
	v_add_u32_e32 v6, 8, v2
	s_waitcnt lgkmcnt(0)
	v_add_f32_e32 v4, v1, v4
	v_cndmask_b32_e32 v1, v1, v4, vcc
	v_cmp_gt_u32_e32 vcc, 56, v3
	v_cndmask_b32_e64 v4, 0, 1, vcc
	v_lshlrev_b32_e32 v4, 3, v4
	v_add_lshl_u32 v4, v4, v2, 2
	ds_bpermute_b32 v4, v4, v1
	;; [unrolled: 10-line block ×3, first 2 shown]
	v_cmp_lt_u32_e32 vcc, v6, v5
	s_waitcnt lgkmcnt(0)
	v_add_f32_e32 v4, v1, v4
	v_cndmask_b32_e32 v1, v1, v4, vcc
	v_cmp_gt_u32_e32 vcc, 32, v3
	v_cndmask_b32_e64 v3, 0, 1, vcc
	v_lshlrev_b32_e32 v3, 5, v3
	v_add_lshl_u32 v3, v3, v2, 2
	ds_bpermute_b32 v3, v3, v1
	v_add_u32_e32 v4, 32, v2
	v_cmp_lt_u32_e32 vcc, v4, v5
	s_waitcnt lgkmcnt(0)
	v_add_f32_e32 v3, v1, v3
	v_cndmask_b32_e32 v1, v1, v3, vcc
	v_cmp_eq_u32_e32 vcc, 0, v2
	s_and_saveexec_b64 s[2:3], vcc
	s_cbranch_execz .LBB66_12
; %bb.11:
	v_lshrrev_b32_e32 v3, 4, v0
	v_and_b32_e32 v3, 60, v3
	ds_write_b32 v3, v1 offset:4096
.LBB66_12:
	s_or_b64 exec, exec, s[2:3]
	v_cmp_gt_u32_e32 vcc, 16, v0
	s_waitcnt lgkmcnt(0)
	s_barrier
	s_and_saveexec_b64 s[24:25], vcc
	s_cbranch_execz .LBB66_14
; %bb.13:
	v_lshlrev_b32_e32 v1, 2, v2
	ds_read_b32 v1, v1 offset:4096
	v_and_b32_e32 v3, 15, v2
	v_cmp_ne_u32_e32 vcc, 15, v3
	v_addc_co_u32_e32 v4, vcc, 0, v2, vcc
	v_lshlrev_b32_e32 v4, 2, v4
	s_waitcnt lgkmcnt(0)
	ds_bpermute_b32 v4, v4, v1
	s_add_i32 s9, s9, 63
	s_lshr_b32 s9, s9, 6
	v_add_u32_e32 v5, 1, v3
	v_cmp_gt_u32_e64 s[2:3], 14, v3
	v_cmp_gt_u32_e32 vcc, s9, v5
	v_cndmask_b32_e64 v5, 0, 1, s[2:3]
	s_waitcnt lgkmcnt(0)
	v_add_f32_e32 v4, v1, v4
	v_lshlrev_b32_e32 v5, 1, v5
	v_cndmask_b32_e32 v4, v1, v4, vcc
	v_add_lshl_u32 v5, v5, v2, 2
	ds_bpermute_b32 v5, v5, v4
	v_add_u32_e32 v6, 2, v3
	v_cmp_gt_u32_e64 s[2:3], s9, v6
	v_add_u32_e32 v6, 4, v3
	s_waitcnt lgkmcnt(0)
	v_add_f32_e32 v5, v4, v5
	v_cndmask_b32_e64 v4, v4, v5, s[2:3]
	v_cmp_gt_u32_e64 s[2:3], 12, v3
	v_cndmask_b32_e64 v5, 0, 1, s[2:3]
	v_lshlrev_b32_e32 v5, 2, v5
	v_add_lshl_u32 v5, v5, v2, 2
	ds_bpermute_b32 v5, v5, v4
	v_cmp_gt_u32_e64 s[2:3], s9, v6
	s_waitcnt lgkmcnt(0)
	v_add_f32_e32 v5, v4, v5
	v_cndmask_b32_e64 v4, v4, v5, s[2:3]
	v_cmp_gt_u32_e64 s[2:3], 8, v3
	v_cndmask_b32_e64 v5, 0, 1, s[2:3]
	v_lshlrev_b32_e32 v5, 3, v5
	v_add_lshl_u32 v2, v5, v2, 2
	ds_bpermute_b32 v2, v2, v4
	v_add_u32_e32 v3, 8, v3
	v_cmp_gt_u32_e64 s[2:3], s9, v3
	s_waitcnt lgkmcnt(0)
	v_add_f32_e32 v2, v4, v2
	v_cndmask_b32_e64 v2, v4, v2, s[2:3]
	v_cndmask_b32_e32 v1, v1, v2, vcc
.LBB66_14:
	s_or_b64 exec, exec, s[24:25]
	v_cmp_eq_u32_e32 vcc, 0, v0
	s_and_saveexec_b64 s[2:3], vcc
	s_cbranch_execz .LBB66_16
; %bb.15:
	v_cvt_f32_i32_e32 v2, s22
	s_mov_b32 s9, 0x800000
	v_div_scale_f32 v3, s[24:25], v2, v2, v1
	v_rcp_f32_e32 v4, v3
	v_div_scale_f32 v5, vcc, v1, v2, v1
	v_fma_f32 v6, -v3, v4, 1.0
	v_fmac_f32_e32 v4, v6, v4
	v_mul_f32_e32 v6, v5, v4
	v_fma_f32 v7, -v3, v6, v5
	v_fmac_f32_e32 v6, v7, v4
	v_fma_f32 v3, -v3, v6, v5
	v_div_fmas_f32 v3, v3, v4, v6
	v_div_fixup_f32 v1, v3, v2, v1
	v_add_f32_e32 v1, s8, v1
	v_mul_f32_e32 v2, 0x4b800000, v1
	v_cmp_gt_f32_e32 vcc, s9, v1
	v_cndmask_b32_e32 v1, v1, v2, vcc
	v_rsq_f32_e32 v1, v1
	v_mul_f32_e32 v2, 0x45800000, v1
	v_cndmask_b32_e32 v1, v1, v2, vcc
	v_mov_b32_e32 v2, 0
	ds_write_b32 v2, v1 offset:4160
.LBB66_16:
	s_or_b64 exec, exec, s[2:3]
	s_ashr_i32 s2, s22, 31
	s_lshr_b32 s2, s2, 25
	s_add_i32 s8, s22, s2
	s_ashr_i32 s24, s8, 7
	s_cmp_lt_u32 s6, s49
	s_cselect_b32 s2, 12, 18
	s_add_u32 s2, s26, s2
	v_mov_b32_e32 v5, 0
	s_addc_u32 s3, s27, 0
	s_waitcnt lgkmcnt(0)
	s_barrier
	global_load_ushort v1, v5, s[2:3]
	ds_read_b32 v37, v5 offset:4160
	s_abs_i32 s2, s24
	v_cvt_f32_u32_e32 v2, s2
	s_ashr_i32 s3, s8, 31
	s_sub_i32 s8, 0, s2
	v_mov_b32_e32 v10, s10
	v_rcp_iflag_f32_e32 v2, v2
	v_mul_f32_e32 v2, 0x4f7ffffe, v2
	v_cvt_u32_f32_e32 v2, v2
	v_readfirstlane_b32 s9, v2
	s_mul_i32 s8, s8, s9
	s_mul_hi_u32 s8, s9, s8
	s_add_i32 s9, s9, s8
	s_waitcnt vmcnt(0)
	v_readfirstlane_b32 s44, v1
	s_mul_hi_u32 s8, s44, s9
	s_mul_i32 s9, s8, s2
	s_sub_i32 s9, s44, s9
	s_add_i32 s11, s8, 1
	s_sub_i32 s25, s9, s2
	s_cmp_ge_u32 s9, s2
	s_cselect_b32 s8, s11, s8
	s_cselect_b32 s9, s25, s9
	s_add_i32 s11, s8, 1
	s_cmp_ge_u32 s9, s2
	s_cselect_b32 s2, s11, s8
	s_xor_b32 s2, s2, s3
	s_sub_i32 s26, s2, s3
	s_abs_i32 s2, s26
	v_cvt_f32_u32_e32 v1, s2
	s_sub_i32 s3, 0, s2
	s_ashr_i32 s27, s26, 31
	s_ashr_i32 s11, s10, 31
	v_rcp_iflag_f32_e32 v1, v1
	v_mov_b32_e32 v11, s11
	v_mul_f32_e32 v1, 0x4f7ffffe, v1
	v_cvt_u32_f32_e32 v1, v1
	v_mul_lo_u32 v2, s3, v1
	v_mul_hi_u32 v2, v1, v2
	v_add_u32_e32 v1, v1, v2
	v_mul_hi_u32 v1, v0, v1
	v_mul_lo_u32 v2, v1, s2
	v_sub_u32_e32 v2, v0, v2
	v_add_u32_e32 v3, 1, v1
	v_cmp_le_u32_e32 vcc, s2, v2
	v_cndmask_b32_e32 v1, v1, v3, vcc
	v_subrev_u32_e32 v3, s2, v2
	v_cndmask_b32_e32 v2, v2, v3, vcc
	v_add_u32_e32 v3, 1, v1
	v_cmp_le_u32_e32 vcc, s2, v2
	v_cndmask_b32_e32 v1, v1, v3, vcc
	v_xor_b32_e32 v1, s27, v1
	v_subrev_u32_e32 v2, s27, v1
	v_mul_lo_u32 v1, v2, s26
	v_ashrrev_i32_e32 v3, 31, v2
	v_sub_u32_e32 v4, v0, v1
	v_lshlrev_b64 v[8:9], 5, v[2:3]
	v_add_co_u32_e32 v6, vcc, v8, v4
	v_addc_co_u32_e32 v7, vcc, 0, v9, vcc
	v_add_co_u32_e32 v8, vcc, 32, v8
	v_addc_co_u32_e32 v9, vcc, 0, v9, vcc
	v_cmp_gt_i64_e32 vcc, s[10:11], v[8:9]
	v_cndmask_b32_e32 v8, v10, v8, vcc
	v_cndmask_b32_e32 v9, v11, v9, vcc
	v_ashrrev_i32_e32 v11, 31, v8
	v_mov_b32_e32 v10, v8
	v_cmp_lt_i64_e32 vcc, v[6:7], v[10:11]
	s_and_saveexec_b64 s[28:29], vcc
	s_cbranch_execz .LBB66_26
; %bb.17:
	v_lshlrev_b64 v[30:31], 8, v[2:3]
	s_mul_i32 s25, s26, 24
	v_lshlrev_b64 v[12:13], 3, v[4:5]
	v_mov_b32_e32 v1, s31
	v_add_co_u32_e32 v5, vcc, s30, v30
	s_mul_hi_i32 s11, s26, 24
	s_add_u32 s2, s16, s25
	v_addc_co_u32_e32 v19, vcc, v1, v31, vcc
	s_addc_u32 s3, s17, s11
	v_mov_b32_e32 v1, s3
	v_add_co_u32_e32 v14, vcc, s2, v5
	s_lshl_b64 s[30:31], s[26:27], 5
	s_lshl_b64 s[2:3], s[26:27], 4
	s_add_u32 s8, s16, s2
	v_addc_co_u32_e32 v1, vcc, v1, v19, vcc
	s_addc_u32 s9, s17, s3
	v_mov_b32_e32 v15, s9
	v_add_co_u32_e32 v16, vcc, s8, v5
	s_lshl_b64 s[8:9], s[26:27], 3
	s_add_u32 s38, s16, s8
	v_addc_co_u32_e32 v15, vcc, v15, v19, vcc
	s_addc_u32 s39, s17, s9
	v_mov_b32_e32 v17, s39
	v_add_co_u32_e32 v18, vcc, s38, v5
	v_addc_co_u32_e32 v17, vcc, v17, v19, vcc
	v_mov_b32_e32 v21, s17
	v_add_co_u32_e32 v20, vcc, s16, v5
	s_add_u32 s16, s18, s25
	v_addc_co_u32_e32 v19, vcc, v21, v19, vcc
	s_addc_u32 s17, s19, s11
	v_mov_b32_e32 v5, s17
	v_add_co_u32_e32 v22, vcc, s16, v30
	s_add_u32 s16, s18, s2
	v_addc_co_u32_e32 v21, vcc, v5, v31, vcc
	s_addc_u32 s17, s19, s3
	;; [unrolled: 5-line block ×3, first 2 shown]
	v_mov_b32_e32 v5, s17
	v_add_co_u32_e32 v26, vcc, s16, v30
	v_addc_co_u32_e32 v25, vcc, v5, v31, vcc
	v_mov_b32_e32 v5, s19
	v_add_co_u32_e32 v28, vcc, s18, v30
	v_addc_co_u32_e32 v27, vcc, v5, v31, vcc
	v_mov_b32_e32 v5, s37
	v_add_co_u32_e32 v35, vcc, s36, v30
	s_add_u32 s16, s34, s25
	v_addc_co_u32_e32 v5, vcc, v5, v31, vcc
	s_addc_u32 s11, s35, s11
	v_mov_b32_e32 v29, s11
	v_add_co_u32_e32 v30, vcc, s16, v35
	s_add_u32 s2, s34, s2
	v_addc_co_u32_e32 v29, vcc, v29, v5, vcc
	s_addc_u32 s3, s35, s3
	;; [unrolled: 5-line block ×3, first 2 shown]
	v_mov_b32_e32 v33, s3
	v_add_co_u32_e32 v34, vcc, s2, v35
	v_addc_co_u32_e32 v33, vcc, v33, v5, vcc
	v_mov_b32_e32 v38, s35
	v_add_co_u32_e32 v36, vcc, s34, v35
	v_addc_co_u32_e32 v35, vcc, v38, v5, vcc
	s_mul_hi_i32 s11, s26, 3
	s_mul_i32 s25, s26, 3
	s_lshl_b64 s[34:35], s[26:27], 1
	s_mov_b64 s[16:17], 0
	v_mov_b32_e32 v5, 0
	s_movk_i32 s45, 0x7fff
	v_mov_b32_e32 v42, 0x7fc00000
	v_pk_mov_b32 v[38:39], v[6:7], v[6:7] op_sel:[0,1]
                                        ; implicit-def: $sgpr36_sgpr37
	s_branch .LBB66_21
.LBB66_18:                              ;   in Loop: Header=BB66_21 Depth=1
	s_or_b64 exec, exec, s[42:43]
	s_orn2_b64 s[2:3], s[2:3], exec
.LBB66_19:                              ;   in Loop: Header=BB66_21 Depth=1
	s_or_b64 exec, exec, s[40:41]
	s_andn2_b64 s[8:9], s[36:37], exec
	s_and_b64 s[2:3], s[2:3], exec
	s_or_b64 s[36:37], s[8:9], s[2:3]
.LBB66_20:                              ;   in Loop: Header=BB66_21 Depth=1
	s_or_b64 exec, exec, s[38:39]
	s_and_b64 s[2:3], exec, s[36:37]
	s_or_b64 s[16:17], s[2:3], s[16:17]
	s_andn2_b64 exec, exec, s[16:17]
	s_cbranch_execz .LBB66_25
.LBB66_21:                              ; =>This Inner Loop Header: Depth=1
	v_add_co_u32_e32 v40, vcc, v20, v12
	v_addc_co_u32_e32 v41, vcc, v19, v13, vcc
	global_load_dwordx2 v[44:45], v[40:41], off
	v_add_co_u32_e32 v40, vcc, v28, v12
	v_addc_co_u32_e32 v41, vcc, v27, v13, vcc
	global_load_dwordx2 v[46:47], v[40:41], off
	;; [unrolled: 3-line block ×3, first 2 shown]
	v_mov_b32_e32 v41, s27
	v_add_co_u32_e32 v40, vcc, s26, v38
	v_addc_co_u32_e32 v41, vcc, v39, v41, vcc
	v_cmp_lt_i64_e32 vcc, v[40:41], v[10:11]
	s_or_b64 s[36:37], s[36:37], exec
	s_waitcnt vmcnt(2)
	v_and_b32_e32 v43, 0xffff0000, v44
	v_lshlrev_b32_e32 v51, 16, v44
	v_alignbit_b32 v44, v45, v44, 16
	v_and_b32_e32 v44, 0xffff0000, v44
	v_and_b32_e32 v45, 0xffff0000, v45
	s_waitcnt vmcnt(1)
	v_lshlrev_b32_e32 v54, 16, v46
	v_and_b32_e32 v50, 0xffff0000, v46
	v_alignbit_b32 v46, v47, v46, 16
	v_and_b32_e32 v47, 0xffff0000, v47
	v_and_b32_e32 v46, 0xffff0000, v46
	s_waitcnt vmcnt(0)
	v_and_b32_e32 v52, 0xffff0000, v48
	v_lshlrev_b32_e32 v53, 16, v48
	v_alignbit_b32 v48, v49, v48, 16
	v_add_f32_e32 v51, v51, v53
	v_and_b32_e32 v48, 0xffff0000, v48
	v_and_b32_e32 v49, 0xffff0000, v49
	v_add_f32_e32 v43, v43, v52
	v_add_f32_e32 v44, v44, v48
	s_waitcnt lgkmcnt(0)
	v_mul_f32_e32 v48, v37, v51
	v_add_f32_e32 v45, v45, v49
	v_mul_f32_e32 v43, v37, v43
	v_bfe_u32 v49, v48, 16, 1
	v_mul_f32_e32 v45, v37, v45
	v_bfe_u32 v51, v43, 16, 1
	v_add3_u32 v49, v48, v49, s45
	v_bfe_u32 v52, v45, 16, 1
	v_add3_u32 v51, v43, v51, s45
	v_and_b32_e32 v49, 0xffff0000, v49
	v_cmp_o_f32_e64 s[2:3], v48, v48
	v_mul_f32_e32 v44, v37, v44
	v_add3_u32 v52, v45, v52, s45
	v_and_b32_e32 v51, 0xffff0000, v51
	v_cndmask_b32_e64 v48, v42, v49, s[2:3]
	v_cmp_o_f32_e64 s[2:3], v43, v43
	v_bfe_u32 v53, v44, 16, 1
	v_and_b32_e32 v52, 0xffff0000, v52
	v_cndmask_b32_e64 v43, v42, v51, s[2:3]
	v_cmp_o_f32_e64 s[2:3], v45, v45
	v_add3_u32 v53, v44, v53, s45
	v_cndmask_b32_e64 v45, v42, v52, s[2:3]
	v_mul_f32_e32 v48, v48, v54
	v_and_b32_e32 v49, 0xffff0000, v53
	v_mul_f32_e32 v43, v43, v50
	v_cmp_o_f32_e64 s[2:3], v44, v44
	v_mul_f32_e32 v45, v45, v47
	v_bfe_u32 v47, v48, 16, 1
	v_cndmask_b32_e64 v44, v42, v49, s[2:3]
	v_bfe_u32 v49, v43, 16, 1
	v_add3_u32 v47, v48, v47, s45
	v_mul_f32_e32 v44, v44, v46
	v_bfe_u32 v46, v45, 16, 1
	v_add3_u32 v49, v43, v49, s45
	v_and_b32_e32 v47, 0xffff0000, v47
	v_cmp_o_f32_e64 s[2:3], v48, v48
	v_bfe_u32 v50, v44, 16, 1
	v_add3_u32 v46, v45, v46, s45
	v_and_b32_e32 v49, 0xffff0000, v49
	v_cndmask_b32_e64 v47, v42, |v47|, s[2:3]
	v_cmp_o_f32_e64 s[2:3], v43, v43
	v_add3_u32 v50, v44, v50, s45
	v_and_b32_e32 v46, 0xffff0000, v46
	v_cndmask_b32_e64 v43, v42, |v49|, s[2:3]
	v_cmp_o_f32_e64 s[2:3], v45, v45
	v_and_b32_e32 v48, 0xffff0000, v50
	v_cndmask_b32_e64 v45, v42, |v46|, s[2:3]
	v_cmp_o_f32_e64 s[2:3], v44, v44
	v_max3_f32 v5, v5, v47, v43
	v_cndmask_b32_e64 v43, v42, |v48|, s[2:3]
	v_max3_f32 v5, v5, v43, v45
	s_and_saveexec_b64 s[38:39], vcc
	s_cbranch_execz .LBB66_20
; %bb.22:                               ;   in Loop: Header=BB66_21 Depth=1
	v_add_co_u32_e32 v44, vcc, v18, v12
	v_addc_co_u32_e32 v45, vcc, v17, v13, vcc
	v_add_co_u32_e32 v46, vcc, v26, v12
	v_addc_co_u32_e32 v47, vcc, v25, v13, vcc
	;; [unrolled: 2-line block ×3, first 2 shown]
	global_load_dwordx2 v[44:45], v[44:45], off
	v_mov_b32_e32 v43, s35
	global_load_dwordx2 v[48:49], v[48:49], off
	v_add_co_u32_e32 v50, vcc, s34, v38
	global_load_dwordx2 v[46:47], v[46:47], off
	v_addc_co_u32_e32 v51, vcc, v43, v39, vcc
	v_cmp_lt_i64_e32 vcc, v[50:51], v[10:11]
	s_waitcnt vmcnt(2)
	v_and_b32_e32 v43, 0xffff0000, v44
	v_lshlrev_b32_e32 v51, 16, v44
	v_alignbit_b32 v44, v45, v44, 16
	s_waitcnt vmcnt(1)
	v_and_b32_e32 v52, 0xffff0000, v48
	v_lshlrev_b32_e32 v53, 16, v48
	v_alignbit_b32 v48, v49, v48, 16
	v_and_b32_e32 v44, 0xffff0000, v44
	v_add_f32_e32 v51, v51, v53
	v_and_b32_e32 v48, 0xffff0000, v48
	v_and_b32_e32 v45, 0xffff0000, v45
	;; [unrolled: 1-line block ×3, first 2 shown]
	v_add_f32_e32 v43, v43, v52
	v_add_f32_e32 v44, v44, v48
	v_mul_f32_e32 v48, v37, v51
	v_add_f32_e32 v45, v45, v49
	v_mul_f32_e32 v43, v37, v43
	v_bfe_u32 v49, v48, 16, 1
	v_mul_f32_e32 v45, v37, v45
	v_bfe_u32 v51, v43, 16, 1
	v_add3_u32 v49, v48, v49, s45
	v_bfe_u32 v52, v45, 16, 1
	v_add3_u32 v51, v43, v51, s45
	v_and_b32_e32 v49, 0xffff0000, v49
	v_cmp_o_f32_e64 s[2:3], v48, v48
	v_mul_f32_e32 v44, v37, v44
	v_add3_u32 v52, v45, v52, s45
	v_and_b32_e32 v51, 0xffff0000, v51
	v_cndmask_b32_e64 v48, v42, v49, s[2:3]
	v_cmp_o_f32_e64 s[2:3], v43, v43
	s_waitcnt vmcnt(0)
	v_lshlrev_b32_e32 v54, 16, v46
	v_bfe_u32 v53, v44, 16, 1
	v_and_b32_e32 v52, 0xffff0000, v52
	v_cndmask_b32_e64 v43, v42, v51, s[2:3]
	v_cmp_o_f32_e64 s[2:3], v45, v45
	v_and_b32_e32 v50, 0xffff0000, v46
	v_alignbit_b32 v46, v47, v46, 16
	v_and_b32_e32 v47, 0xffff0000, v47
	v_add3_u32 v53, v44, v53, s45
	v_cndmask_b32_e64 v45, v42, v52, s[2:3]
	v_mul_f32_e32 v48, v48, v54
	v_and_b32_e32 v49, 0xffff0000, v53
	v_mul_f32_e32 v43, v43, v50
	v_cmp_o_f32_e64 s[2:3], v44, v44
	v_mul_f32_e32 v45, v45, v47
	v_bfe_u32 v47, v48, 16, 1
	v_and_b32_e32 v46, 0xffff0000, v46
	v_cndmask_b32_e64 v44, v42, v49, s[2:3]
	v_bfe_u32 v49, v43, 16, 1
	v_add3_u32 v47, v48, v47, s45
	v_mul_f32_e32 v44, v44, v46
	v_bfe_u32 v46, v45, 16, 1
	v_add3_u32 v49, v43, v49, s45
	v_and_b32_e32 v47, 0xffff0000, v47
	v_cmp_o_f32_e64 s[2:3], v48, v48
	v_bfe_u32 v50, v44, 16, 1
	v_add3_u32 v46, v45, v46, s45
	v_and_b32_e32 v49, 0xffff0000, v49
	v_cndmask_b32_e64 v47, v42, |v47|, s[2:3]
	v_cmp_o_f32_e64 s[2:3], v43, v43
	v_add3_u32 v50, v44, v50, s45
	v_and_b32_e32 v46, 0xffff0000, v46
	v_cndmask_b32_e64 v43, v42, |v49|, s[2:3]
	v_cmp_o_f32_e64 s[2:3], v45, v45
	v_and_b32_e32 v48, 0xffff0000, v50
	v_cndmask_b32_e64 v45, v42, |v46|, s[2:3]
	v_cmp_o_f32_e64 s[2:3], v44, v44
	v_max3_f32 v5, v5, v47, v43
	v_cndmask_b32_e64 v43, v42, |v48|, s[2:3]
	v_max3_f32 v5, v5, v43, v45
	s_mov_b64 s[2:3], -1
	s_and_saveexec_b64 s[40:41], vcc
	s_cbranch_execz .LBB66_19
; %bb.23:                               ;   in Loop: Header=BB66_21 Depth=1
	v_add_co_u32_e32 v44, vcc, v16, v12
	v_addc_co_u32_e32 v45, vcc, v15, v13, vcc
	v_add_co_u32_e32 v46, vcc, v24, v12
	v_addc_co_u32_e32 v47, vcc, v23, v13, vcc
	;; [unrolled: 2-line block ×3, first 2 shown]
	global_load_dwordx2 v[44:45], v[44:45], off
	v_mov_b32_e32 v43, s11
	global_load_dwordx2 v[48:49], v[48:49], off
	v_add_co_u32_e32 v38, vcc, s25, v38
	global_load_dwordx2 v[46:47], v[46:47], off
	v_addc_co_u32_e32 v39, vcc, v43, v39, vcc
	v_cmp_lt_i64_e32 vcc, v[38:39], v[10:11]
	s_waitcnt vmcnt(2)
	v_lshlrev_b32_e32 v43, 16, v44
	v_and_b32_e32 v38, 0xffff0000, v44
	s_waitcnt vmcnt(1)
	v_lshlrev_b32_e32 v51, 16, v48
	v_alignbit_b32 v44, v45, v44, 16
	v_and_b32_e32 v50, 0xffff0000, v48
	v_alignbit_b32 v48, v49, v48, 16
	v_add_f32_e32 v43, v43, v51
	v_and_b32_e32 v45, 0xffff0000, v45
	v_and_b32_e32 v49, 0xffff0000, v49
	v_and_b32_e32 v44, 0xffff0000, v44
	v_add_f32_e32 v38, v38, v50
	v_and_b32_e32 v48, 0xffff0000, v48
	v_mul_f32_e32 v43, v37, v43
	v_add_f32_e32 v45, v45, v49
	v_add_f32_e32 v44, v44, v48
	v_mul_f32_e32 v38, v37, v38
	v_bfe_u32 v48, v43, 16, 1
	v_mul_f32_e32 v45, v37, v45
	v_bfe_u32 v49, v38, 16, 1
	v_add3_u32 v48, v43, v48, s45
	v_bfe_u32 v50, v45, 16, 1
	v_add3_u32 v49, v38, v49, s45
	v_and_b32_e32 v48, 0xffff0000, v48
	v_cmp_o_f32_e64 s[2:3], v43, v43
	v_mul_f32_e32 v44, v37, v44
	v_add3_u32 v50, v45, v50, s45
	v_and_b32_e32 v49, 0xffff0000, v49
	v_cndmask_b32_e64 v43, v42, v48, s[2:3]
	v_cmp_o_f32_e64 s[2:3], v38, v38
	s_waitcnt vmcnt(0)
	v_lshlrev_b32_e32 v52, 16, v46
	v_bfe_u32 v51, v44, 16, 1
	v_and_b32_e32 v50, 0xffff0000, v50
	v_cndmask_b32_e64 v38, v42, v49, s[2:3]
	v_cmp_o_f32_e64 s[2:3], v45, v45
	v_and_b32_e32 v39, 0xffff0000, v46
	v_alignbit_b32 v46, v47, v46, 16
	v_and_b32_e32 v47, 0xffff0000, v47
	v_add3_u32 v51, v44, v51, s45
	v_cndmask_b32_e64 v45, v42, v50, s[2:3]
	v_mul_f32_e32 v43, v43, v52
	v_and_b32_e32 v48, 0xffff0000, v51
	v_mul_f32_e32 v38, v38, v39
	v_cmp_o_f32_e64 s[2:3], v44, v44
	v_mul_f32_e32 v44, v45, v47
	v_bfe_u32 v45, v43, 16, 1
	v_and_b32_e32 v46, 0xffff0000, v46
	v_cndmask_b32_e64 v39, v42, v48, s[2:3]
	v_bfe_u32 v47, v38, 16, 1
	v_add3_u32 v45, v43, v45, s45
	v_mul_f32_e32 v39, v39, v46
	v_bfe_u32 v46, v44, 16, 1
	v_add3_u32 v47, v38, v47, s45
	v_and_b32_e32 v45, 0xffff0000, v45
	v_cmp_o_f32_e64 s[2:3], v43, v43
	v_bfe_u32 v48, v39, 16, 1
	v_add3_u32 v46, v44, v46, s45
	v_and_b32_e32 v47, 0xffff0000, v47
	v_cndmask_b32_e64 v43, v42, |v45|, s[2:3]
	v_cmp_o_f32_e64 s[2:3], v38, v38
	v_add3_u32 v48, v39, v48, s45
	v_and_b32_e32 v46, 0xffff0000, v46
	v_cndmask_b32_e64 v38, v42, |v47|, s[2:3]
	v_cmp_o_f32_e64 s[2:3], v44, v44
	v_and_b32_e32 v45, 0xffff0000, v48
	v_cndmask_b32_e64 v44, v42, |v46|, s[2:3]
	v_cmp_o_f32_e64 s[2:3], v39, v39
	v_max3_f32 v5, v5, v43, v38
	v_cndmask_b32_e64 v38, v42, |v45|, s[2:3]
	v_max3_f32 v5, v5, v38, v44
	s_mov_b64 s[2:3], -1
                                        ; implicit-def: $vgpr38_vgpr39
	s_and_saveexec_b64 s[8:9], vcc
	s_xor_b64 s[42:43], exec, s[8:9]
	s_cbranch_execz .LBB66_18
; %bb.24:                               ;   in Loop: Header=BB66_21 Depth=1
	s_add_u32 s2, s26, s26
	s_addc_u32 s3, s27, s27
	s_add_u32 s2, s2, s26
	s_addc_u32 s3, s3, s27
	v_mov_b32_e32 v39, s3
	v_add_co_u32_e32 v38, vcc, s2, v40
	v_addc_co_u32_e32 v39, vcc, v39, v41, vcc
	v_add_co_u32_e32 v40, vcc, v14, v12
	v_addc_co_u32_e32 v41, vcc, v1, v13, vcc
	global_load_dwordx2 v[40:41], v[40:41], off
	s_waitcnt vmcnt(0)
	v_and_b32_e32 v43, 0xffff0000, v40
	v_lshlrev_b32_e32 v44, 16, v40
	v_alignbit_b32 v45, v41, v40, 16
	v_add_co_u32_e32 v40, vcc, v30, v12
	v_and_b32_e32 v46, 0xffff0000, v41
	v_addc_co_u32_e32 v41, vcc, v29, v13, vcc
	global_load_dwordx2 v[40:41], v[40:41], off
	v_and_b32_e32 v45, 0xffff0000, v45
	s_waitcnt vmcnt(0)
	v_and_b32_e32 v47, 0xffff0000, v40
	v_lshlrev_b32_e32 v48, 16, v40
	v_alignbit_b32 v49, v41, v40, 16
	v_add_co_u32_e32 v40, vcc, v22, v12
	v_and_b32_e32 v50, 0xffff0000, v41
	v_addc_co_u32_e32 v41, vcc, v21, v13, vcc
	global_load_dwordx2 v[40:41], v[40:41], off
	v_add_f32_e32 v44, v44, v48
	v_add_f32_e32 v43, v43, v47
	v_and_b32_e32 v47, 0xffff0000, v49
	v_mul_f32_e32 v44, v37, v44
	v_add_f32_e32 v45, v45, v47
	v_bfe_u32 v47, v44, 16, 1
	v_add3_u32 v47, v44, v47, s45
	v_and_b32_e32 v47, 0xffff0000, v47
	v_cmp_o_f32_e32 vcc, v44, v44
	v_mul_f32_e32 v43, v37, v43
	v_cndmask_b32_e32 v44, v42, v47, vcc
	v_bfe_u32 v47, v43, 16, 1
	v_add_f32_e32 v46, v46, v50
	v_add3_u32 v47, v43, v47, s45
	v_and_b32_e32 v47, 0xffff0000, v47
	v_cmp_o_f32_e32 vcc, v43, v43
	v_mul_f32_e32 v46, v37, v46
	v_cndmask_b32_e32 v43, v42, v47, vcc
	v_bfe_u32 v47, v46, 16, 1
	v_add3_u32 v47, v46, v47, s45
	v_and_b32_e32 v47, 0xffff0000, v47
	v_cmp_o_f32_e32 vcc, v46, v46
	v_cndmask_b32_e32 v46, v42, v47, vcc
	v_mul_f32_e32 v45, v37, v45
	v_cmp_o_f32_e32 vcc, v45, v45
	s_waitcnt vmcnt(0)
	v_and_b32_e32 v51, 0xffff0000, v40
	v_lshlrev_b32_e32 v52, 16, v40
	v_alignbit_b32 v40, v41, v40, 16
	v_and_b32_e32 v41, 0xffff0000, v41
	v_mul_f32_e32 v41, v46, v41
	v_bfe_u32 v46, v45, 16, 1
	v_add3_u32 v46, v45, v46, s45
	v_and_b32_e32 v46, 0xffff0000, v46
	v_mul_f32_e32 v43, v43, v51
	v_and_b32_e32 v40, 0xffff0000, v40
	v_cndmask_b32_e32 v45, v42, v46, vcc
	v_mul_f32_e32 v40, v45, v40
	v_bfe_u32 v45, v43, 16, 1
	v_mul_f32_e32 v44, v44, v52
	v_add3_u32 v45, v43, v45, s45
	v_cmp_o_f32_e32 vcc, v43, v43
	v_bfe_u32 v43, v40, 16, 1
	v_add3_u32 v43, v40, v43, s45
	v_cmp_o_f32_e64 s[2:3], v40, v40
	v_bfe_u32 v40, v44, 16, 1
	v_add3_u32 v40, v44, v40, s45
	v_and_b32_e32 v45, 0xffff0000, v45
	v_and_b32_e32 v40, 0xffff0000, v40
	v_cmp_o_f32_e64 s[8:9], v44, v44
	v_cndmask_b32_e64 v40, v42, |v40|, s[8:9]
	v_cndmask_b32_e64 v44, v42, |v45|, vcc
	v_max3_f32 v5, v5, v40, v44
	v_bfe_u32 v40, v41, 16, 1
	v_add3_u32 v40, v41, v40, s45
	v_and_b32_e32 v43, 0xffff0000, v43
	v_and_b32_e32 v40, 0xffff0000, v40
	v_cmp_o_f32_e32 vcc, v41, v41
	v_cndmask_b32_e64 v40, v42, |v40|, vcc
	v_cndmask_b32_e64 v41, v42, |v43|, s[2:3]
	v_max3_f32 v5, v5, v41, v40
	v_mov_b32_e32 v40, s31
	v_add_co_u32_e32 v14, vcc, s30, v14
	v_addc_co_u32_e32 v1, vcc, v1, v40, vcc
	v_add_co_u32_e32 v16, vcc, s30, v16
	v_addc_co_u32_e32 v15, vcc, v15, v40, vcc
	;; [unrolled: 2-line block ×12, first 2 shown]
	v_cmp_ge_i64_e32 vcc, v[38:39], v[10:11]
	s_orn2_b64 s[2:3], vcc, exec
	s_branch .LBB66_18
.LBB66_25:
	s_or_b64 exec, exec, s[16:17]
.LBB66_26:
	s_or_b64 exec, exec, s[28:29]
	s_lshr_b32 s11, s44, 6
	v_cvt_f32_u32_e32 v10, s11
	v_lshlrev_b32_e32 v1, 2, v0
	ds_write_b32 v1, v5
	s_sub_i32 s8, 0, s11
	v_rcp_iflag_f32_e32 v5, v10
	s_add_i32 s2, s24, s11
	s_add_i32 s2, s2, -1
	s_ashr_i32 s3, s2, 31
	v_mul_f32_e32 v5, 0x4f7ffffe, v5
	v_cvt_u32_f32_e32 v5, v5
	s_abs_i32 s2, s2
	s_waitcnt lgkmcnt(0)
	s_barrier
	v_readfirstlane_b32 s9, v5
	s_mul_i32 s8, s8, s9
	s_mul_hi_u32 s8, s9, s8
	s_add_i32 s9, s9, s8
	s_mul_hi_u32 s8, s2, s9
	s_mul_i32 s9, s8, s11
	s_sub_i32 s2, s2, s9
	s_add_i32 s9, s8, 1
	s_sub_i32 s16, s2, s11
	s_cmp_ge_u32 s2, s11
	s_cselect_b32 s8, s9, s8
	s_cselect_b32 s2, s16, s2
	s_add_i32 s9, s8, 1
	s_cmp_ge_u32 s2, s11
	s_cselect_b32 s2, s9, s8
	s_xor_b32 s2, s2, s3
	s_sub_i32 s2, s2, s3
	s_ashr_i32 s3, s2, 31
	v_cmp_lt_i64_e64 s[8:9], s[2:3], 1
	s_and_b64 vcc, exec, s[8:9]
	s_cbranch_vccnz .LBB66_48
; %bb.27:
	v_and_b32_e32 v12, 63, v0
	v_add_co_u32_e32 v14, vcc, 32, v12
	v_addc_co_u32_e64 v15, s[8:9], 0, 0, vcc
	v_add_co_u32_e32 v16, vcc, 16, v12
	v_addc_co_u32_e64 v17, s[8:9], 0, 0, vcc
	;; [unrolled: 2-line block ×4, first 2 shown]
	v_add_co_u32_e32 v22, vcc, 2, v12
	v_lshrrev_b32_e32 v10, 6, v0
	v_addc_co_u32_e64 v23, s[8:9], 0, 0, vcc
	v_add_co_u32_e32 v24, vcc, 1, v12
	v_addc_co_u32_e64 v25, s[8:9], 0, 0, vcc
	v_mul_lo_u32 v5, s26, v10
	v_lshlrev_b32_e32 v5, 2, v5
	v_lshlrev_b32_e32 v26, 2, v12
	s_movk_i32 s8, 0x100
	v_mov_b32_e32 v11, 0
	v_add3_u32 v5, v5, v26, s8
	s_mul_i32 s8, s26, s11
	s_ashr_i32 s25, s24, 31
	v_mov_b32_e32 v13, v11
	s_lshl_b32 s36, s8, 2
	s_mov_b64 s[8:9], 0
	v_mov_b32_e32 v36, s11
	s_mov_b64 s[16:17], src_shared_base
	s_branch .LBB66_30
.LBB66_28:                              ;   in Loop: Header=BB66_30 Depth=1
	s_or_b64 exec, exec, s[30:31]
	v_mov_b32_e32 v27, s17
	flat_load_dword v26, v[26:27] glc
	s_waitcnt vmcnt(0)
.LBB66_29:                              ;   in Loop: Header=BB66_30 Depth=1
	s_or_b64 exec, exec, s[28:29]
	s_add_u32 s8, s8, 1
	s_addc_u32 s9, s9, 0
	s_cmp_eq_u64 s[8:9], s[2:3]
	v_add_u32_e32 v5, s36, v5
	s_cbranch_scc1 .LBB66_48
.LBB66_30:                              ; =>This Loop Header: Depth=1
                                        ;     Child Loop BB66_33 Depth 2
	v_mad_u64_u32 v[30:31], s[28:29], s8, v36, v[10:11]
	s_mul_i32 s16, s9, s11
	v_add_u32_e32 v31, s16, v31
	v_cmp_gt_i64_e32 vcc, s[24:25], v[30:31]
	s_and_saveexec_b64 s[28:29], vcc
	s_cbranch_execz .LBB66_29
; %bb.31:                               ;   in Loop: Header=BB66_30 Depth=1
	v_pk_mov_b32 v[32:33], s[26:27], s[26:27] op_sel:[0,1]
	v_mul_lo_u32 v29, v31, s26
	v_mul_lo_u32 v38, v30, s27
	v_mad_u64_u32 v[32:33], s[30:31], v30, s26, v[32:33]
	v_add3_u32 v33, v29, v33, v38
	v_mov_b32_e32 v28, s23
	v_cmp_gt_i64_e32 vcc, s[22:23], v[32:33]
	s_waitcnt lgkmcnt(0)
	v_mad_u64_u32 v[26:27], s[30:31], v30, s26, v[12:13]
	v_cndmask_b32_e32 v33, v28, v33, vcc
	v_mov_b32_e32 v28, s22
	v_add3_u32 v27, v29, v27, v38
	v_cndmask_b32_e32 v32, v28, v32, vcc
	v_add_co_u32_e32 v34, vcc, 64, v26
	v_addc_co_u32_e32 v35, vcc, 0, v27, vcc
	v_cmp_lt_i64_e32 vcc, v[34:35], v[32:33]
	v_lshlrev_b32_e32 v28, 2, v26
	s_and_saveexec_b64 s[30:31], vcc
	s_cbranch_execz .LBB66_34
; %bb.32:                               ;   in Loop: Header=BB66_30 Depth=1
	ds_read_b32 v31, v28
	s_mov_b64 s[34:35], 0
	v_mov_b32_e32 v27, v5
.LBB66_33:                              ;   Parent Loop BB66_30 Depth=1
                                        ; =>  This Inner Loop Header: Depth=2
	ds_read_b32 v39, v27
	v_add_co_u32_e32 v34, vcc, 64, v34
	v_addc_co_u32_e32 v35, vcc, 0, v35, vcc
	s_waitcnt lgkmcnt(1)
	v_max_f32_e32 v31, v31, v31
	v_cmp_ge_i64_e32 vcc, v[34:35], v[32:33]
	s_waitcnt lgkmcnt(0)
	v_max_f32_e32 v39, v39, v39
	v_add_u32_e32 v27, 0x100, v27
	s_or_b64 s[34:35], vcc, s[34:35]
	v_max_f32_e32 v31, v31, v39
	ds_write_b32 v28, v31
	s_andn2_b64 exec, exec, s[34:35]
	s_cbranch_execnz .LBB66_33
.LBB66_34:                              ;   in Loop: Header=BB66_30 Depth=1
	s_or_b64 exec, exec, s[30:31]
	v_mad_u64_u32 v[30:31], s[30:31], v30, s26, 0
	v_add3_u32 v27, v31, v38, v29
	v_sub_co_u32_e32 v30, vcc, v32, v30
	v_subb_co_u32_e32 v31, vcc, v33, v27, vcc
	v_cmp_gt_i64_e32 vcc, 64, v[30:31]
	v_cndmask_b32_e32 v31, 0, v31, vcc
	v_cndmask_b32_e32 v30, 64, v30, vcc
	v_cmp_lt_i64_e32 vcc, v[14:15], v[30:31]
	s_and_saveexec_b64 s[30:31], vcc
	s_cbranch_execnz .LBB66_46
; %bb.35:                               ;   in Loop: Header=BB66_30 Depth=1
	s_or_b64 exec, exec, s[30:31]
	v_cmp_lt_i64_e32 vcc, v[16:17], v[30:31]
	s_and_saveexec_b64 s[30:31], vcc
	s_cbranch_execnz .LBB66_47
.LBB66_36:                              ;   in Loop: Header=BB66_30 Depth=1
	s_or_b64 exec, exec, s[30:31]
	v_cmp_lt_i64_e32 vcc, v[18:19], v[30:31]
	s_and_saveexec_b64 s[30:31], vcc
	s_cbranch_execz .LBB66_38
.LBB66_37:                              ;   in Loop: Header=BB66_30 Depth=1
	v_mov_b32_e32 v29, s17
	v_add_u32_e32 v32, 32, v28
	v_mov_b32_e32 v33, s17
	flat_load_dword v27, v[28:29] glc
	s_waitcnt vmcnt(0)
	flat_load_dword v34, v[32:33] glc
	s_waitcnt vmcnt(0) lgkmcnt(0)
	v_max_f32_e32 v27, v27, v27
	v_max_f32_e32 v32, v34, v34
	v_max_f32_e32 v27, v27, v32
	flat_store_dword v[28:29], v27
	s_waitcnt vmcnt(0)
.LBB66_38:                              ;   in Loop: Header=BB66_30 Depth=1
	s_or_b64 exec, exec, s[30:31]
	v_cmp_ge_i64_e32 vcc, v[20:21], v[30:31]
	s_and_saveexec_b64 s[30:31], vcc
	s_xor_b64 s[30:31], exec, s[30:31]
; %bb.39:                               ;   in Loop: Header=BB66_30 Depth=1
                                        ; implicit-def: $vgpr28
; %bb.40:                               ;   in Loop: Header=BB66_30 Depth=1
	s_andn2_saveexec_b64 s[30:31], s[30:31]
	s_cbranch_execz .LBB66_42
; %bb.41:                               ;   in Loop: Header=BB66_30 Depth=1
	v_mov_b32_e32 v29, s17
	v_add_u32_e32 v32, 16, v28
	v_mov_b32_e32 v33, s17
	flat_load_dword v27, v[28:29] glc
	s_waitcnt vmcnt(0)
	flat_load_dword v34, v[32:33] glc
	s_waitcnt vmcnt(0) lgkmcnt(0)
	v_max_f32_e32 v27, v27, v27
	v_max_f32_e32 v32, v34, v34
	;; [unrolled: 1-line block ×3, first 2 shown]
	flat_store_dword v[28:29], v27
	s_waitcnt vmcnt(0)
.LBB66_42:                              ;   in Loop: Header=BB66_30 Depth=1
	s_or_b64 exec, exec, s[30:31]
	v_cmp_lt_i64_e32 vcc, v[22:23], v[30:31]
	v_lshlrev_b32_e32 v26, 2, v26
	s_and_saveexec_b64 s[30:31], vcc
	s_cbranch_execz .LBB66_44
; %bb.43:                               ;   in Loop: Header=BB66_30 Depth=1
	v_mov_b32_e32 v27, s17
	v_add_u32_e32 v28, 8, v26
	v_mov_b32_e32 v29, s17
	flat_load_dword v32, v[26:27] glc
	s_waitcnt vmcnt(0)
	flat_load_dword v33, v[28:29] glc
	s_waitcnt vmcnt(0) lgkmcnt(0)
	v_max_f32_e32 v28, v32, v32
	v_max_f32_e32 v29, v33, v33
	;; [unrolled: 1-line block ×3, first 2 shown]
	flat_store_dword v[26:27], v28
	s_waitcnt vmcnt(0)
.LBB66_44:                              ;   in Loop: Header=BB66_30 Depth=1
	s_or_b64 exec, exec, s[30:31]
	v_cmp_lt_i64_e32 vcc, v[24:25], v[30:31]
	s_and_saveexec_b64 s[30:31], vcc
	s_cbranch_execz .LBB66_28
; %bb.45:                               ;   in Loop: Header=BB66_30 Depth=1
	v_mov_b32_e32 v27, s17
	v_add_u32_e32 v28, 4, v26
	v_mov_b32_e32 v29, s17
	flat_load_dword v30, v[26:27] glc
	s_waitcnt vmcnt(0)
	flat_load_dword v31, v[28:29] glc
	s_waitcnt vmcnt(0) lgkmcnt(0)
	v_max_f32_e32 v28, v30, v30
	v_max_f32_e32 v29, v31, v31
	;; [unrolled: 1-line block ×3, first 2 shown]
	flat_store_dword v[26:27], v28
	s_waitcnt vmcnt(0)
	s_branch .LBB66_28
.LBB66_46:                              ;   in Loop: Header=BB66_30 Depth=1
	v_mov_b32_e32 v29, s17
	v_add_u32_e32 v32, 0x80, v28
	v_mov_b32_e32 v33, s17
	flat_load_dword v27, v[28:29] glc
	s_waitcnt vmcnt(0)
	flat_load_dword v34, v[32:33] glc
	s_waitcnt vmcnt(0) lgkmcnt(0)
	v_max_f32_e32 v27, v27, v27
	v_max_f32_e32 v32, v34, v34
	;; [unrolled: 1-line block ×3, first 2 shown]
	flat_store_dword v[28:29], v27
	s_waitcnt vmcnt(0)
	s_or_b64 exec, exec, s[30:31]
	v_cmp_lt_i64_e32 vcc, v[16:17], v[30:31]
	s_and_saveexec_b64 s[30:31], vcc
	s_cbranch_execz .LBB66_36
.LBB66_47:                              ;   in Loop: Header=BB66_30 Depth=1
	v_mov_b32_e32 v29, s17
	v_add_u32_e32 v32, 64, v28
	v_mov_b32_e32 v33, s17
	flat_load_dword v27, v[28:29] glc
	s_waitcnt vmcnt(0)
	flat_load_dword v34, v[32:33] glc
	s_waitcnt vmcnt(0) lgkmcnt(0)
	v_max_f32_e32 v27, v27, v27
	v_max_f32_e32 v32, v34, v34
	v_max_f32_e32 v27, v27, v32
	flat_store_dword v[28:29], v27
	s_waitcnt vmcnt(0)
	s_or_b64 exec, exec, s[30:31]
	v_cmp_lt_i64_e32 vcc, v[18:19], v[30:31]
	s_and_saveexec_b64 s[30:31], vcc
	s_cbranch_execnz .LBB66_37
	s_branch .LBB66_38
.LBB66_48:
	s_load_dwordx2 s[8:9], s[4:5], 0x40
	v_cmp_eq_u32_e32 vcc, 0, v4
	v_cmp_lt_i64_e64 s[2:3], v[6:7], v[8:9]
	s_and_b64 s[2:3], vcc, s[2:3]
	s_waitcnt lgkmcnt(0)
	s_barrier
	s_and_saveexec_b64 s[16:17], s[2:3]
	s_cbranch_execz .LBB66_55
; %bb.49:
	s_load_dwordx2 s[2:3], s[4:5], 0x20
	ds_read_b32 v1, v1
	s_waitcnt lgkmcnt(0)
	s_cmp_eq_u64 s[2:3], 0
	s_cbranch_scc1 .LBB66_51
; %bb.50:
	s_load_dword s2, s[2:3], 0x0
	v_max_f32_e32 v1, v1, v1
	s_waitcnt lgkmcnt(0)
	v_max_f32_e64 v4, s2, s2
	v_min_f32_e32 v1, v1, v4
.LBB66_51:
	s_add_u32 s3, s8, s49
	s_addc_u32 s4, s9, 0
	s_add_u32 s22, s3, -1
	s_addc_u32 s23, s4, -1
	s_or_b64 s[4:5], s[22:23], s[8:9]
	s_mov_b32 s2, 0
	s_mov_b32 s3, s5
	s_cmp_lg_u64 s[2:3], 0
	s_mov_b64 s[24:25], -1
	s_cbranch_scc0 .LBB66_164
; %bb.52:
	s_ashr_i32 s2, s9, 31
	s_add_u32 s4, s8, s2
	s_mov_b32 s3, s2
	s_addc_u32 s5, s9, s2
	s_xor_b64 s[26:27], s[4:5], s[2:3]
	v_cvt_f32_u32_e32 v4, s26
	v_cvt_f32_u32_e32 v5, s27
	s_sub_u32 s2, 0, s26
	s_subb_u32 s3, 0, s27
	v_madmk_f32 v4, v5, 0x4f800000, v4
	v_rcp_f32_e32 v4, v4
	v_mul_f32_e32 v4, 0x5f7ffffc, v4
	v_mul_f32_e32 v5, 0x2f800000, v4
	v_trunc_f32_e32 v5, v5
	v_madmk_f32 v4, v5, 0xcf800000, v4
	v_cvt_u32_f32_e32 v5, v5
	v_cvt_u32_f32_e32 v4, v4
	v_readfirstlane_b32 s4, v5
	v_readfirstlane_b32 s5, v4
	s_mul_i32 s11, s2, s4
	s_mul_hi_u32 s29, s2, s5
	s_mul_i32 s28, s3, s5
	s_add_i32 s11, s29, s11
	s_add_i32 s11, s11, s28
	s_mul_i32 s30, s2, s5
	s_mul_hi_u32 s28, s5, s11
	s_mul_i32 s29, s5, s11
	s_mul_hi_u32 s5, s5, s30
	s_add_u32 s5, s5, s29
	s_addc_u32 s28, 0, s28
	s_mul_hi_u32 s31, s4, s30
	s_mul_i32 s30, s4, s30
	s_add_u32 s5, s5, s30
	s_mul_hi_u32 s29, s4, s11
	s_addc_u32 s5, s28, s31
	s_addc_u32 s28, s29, 0
	s_mul_i32 s11, s4, s11
	s_add_u32 s5, s5, s11
	s_addc_u32 s11, 0, s28
	v_add_co_u32_e32 v4, vcc, s5, v4
	s_cmp_lg_u64 vcc, 0
	s_addc_u32 s4, s4, s11
	v_readfirstlane_b32 s11, v4
	s_mul_i32 s5, s2, s4
	s_mul_hi_u32 s28, s2, s11
	s_add_i32 s5, s28, s5
	s_mul_i32 s3, s3, s11
	s_add_i32 s5, s5, s3
	s_mul_i32 s2, s2, s11
	s_mul_hi_u32 s28, s4, s2
	s_mul_i32 s29, s4, s2
	s_mul_i32 s31, s11, s5
	s_mul_hi_u32 s2, s11, s2
	s_mul_hi_u32 s30, s11, s5
	s_add_u32 s2, s2, s31
	s_addc_u32 s11, 0, s30
	s_add_u32 s2, s2, s29
	s_mul_hi_u32 s3, s4, s5
	s_addc_u32 s2, s11, s28
	s_addc_u32 s3, s3, 0
	s_mul_i32 s5, s4, s5
	s_add_u32 s2, s2, s5
	s_addc_u32 s3, 0, s3
	v_add_co_u32_e32 v4, vcc, s2, v4
	s_cmp_lg_u64 vcc, 0
	s_addc_u32 s4, s4, s3
	s_ashr_i32 s28, s23, 31
	s_add_u32 s2, s22, s28
	s_mov_b32 s29, s28
	s_addc_u32 s3, s23, s28
	s_xor_b64 s[30:31], s[2:3], s[28:29]
	v_readfirstlane_b32 s5, v4
	s_mul_i32 s3, s30, s4
	s_mul_hi_u32 s11, s30, s5
	s_mul_hi_u32 s2, s30, s4
	s_add_u32 s3, s11, s3
	s_addc_u32 s2, 0, s2
	s_mul_hi_u32 s29, s31, s5
	s_mul_i32 s5, s31, s5
	s_add_u32 s3, s3, s5
	s_mul_hi_u32 s11, s31, s4
	s_addc_u32 s2, s2, s29
	s_addc_u32 s3, s11, 0
	s_mul_i32 s4, s31, s4
	s_add_u32 s2, s2, s4
	s_addc_u32 s3, 0, s3
	s_mul_i32 s3, s26, s3
	s_mul_hi_u32 s4, s26, s2
	s_add_i32 s3, s4, s3
	s_mul_i32 s4, s27, s2
	s_mul_i32 s2, s26, s2
	s_add_i32 s11, s3, s4
	v_mov_b32_e32 v4, s2
	s_sub_i32 s3, s31, s11
	v_sub_co_u32_e32 v4, vcc, s30, v4
	s_cmp_lg_u64 vcc, 0
	s_subb_u32 s29, s3, s27
	v_subrev_co_u32_e64 v5, s[2:3], s26, v4
	s_cmp_lg_u64 s[2:3], 0
	s_subb_u32 s30, s29, 0
	s_cmp_ge_u32 s30, s27
	s_cselect_b32 s34, -1, 0
	v_cmp_le_u32_e64 s[4:5], s26, v5
	s_cmp_eq_u32 s30, s27
	v_cndmask_b32_e64 v6, 0, -1, s[4:5]
	v_mov_b32_e32 v7, s34
	s_cselect_b64 s[4:5], -1, 0
	s_cmp_lg_u64 s[2:3], 0
	v_cndmask_b32_e64 v6, v7, v6, s[4:5]
	s_subb_u32 s4, s29, s27
	v_subrev_co_u32_e64 v7, s[2:3], s26, v5
	s_cmp_lg_u64 s[2:3], 0
	s_subb_u32 s4, s4, 0
	v_cmp_ne_u32_e64 s[2:3], 0, v6
	v_cndmask_b32_e64 v5, v5, v7, s[2:3]
	v_mov_b32_e32 v6, s30
	v_mov_b32_e32 v7, s4
	s_cmp_lg_u64 vcc, 0
	v_cndmask_b32_e64 v6, v6, v7, s[2:3]
	s_subb_u32 s2, s31, s11
	s_cmp_ge_u32 s2, s27
	s_cselect_b32 s3, -1, 0
	v_cmp_le_u32_e32 vcc, s26, v4
	s_cmp_eq_u32 s2, s27
	v_cndmask_b32_e64 v7, 0, -1, vcc
	v_mov_b32_e32 v8, s3
	s_cselect_b64 vcc, -1, 0
	v_cndmask_b32_e32 v7, v8, v7, vcc
	v_cmp_ne_u32_e32 vcc, 0, v7
	v_mov_b32_e32 v8, s2
	v_cndmask_b32_e32 v4, v4, v5, vcc
	v_cndmask_b32_e32 v6, v8, v6, vcc
	v_xor_b32_e32 v4, s28, v4
	v_xor_b32_e32 v5, s28, v6
	v_mov_b32_e32 v6, s28
	v_subrev_co_u32_e32 v4, vcc, s28, v4
	v_subb_co_u32_e32 v5, vcc, v5, v6, vcc
	s_cbranch_execnz .LBB66_54
.LBB66_53:
	v_cvt_f32_u32_e32 v4, s8
	s_sub_i32 s2, 0, s8
	v_rcp_iflag_f32_e32 v4, v4
	v_mul_f32_e32 v4, 0x4f7ffffe, v4
	v_cvt_u32_f32_e32 v4, v4
	v_mul_lo_u32 v5, s2, v4
	v_mul_hi_u32 v5, v4, v5
	v_add_u32_e32 v4, v4, v5
	v_mul_hi_u32 v4, s22, v4
	v_mul_lo_u32 v4, v4, s8
	v_sub_u32_e32 v4, s22, v4
	v_subrev_u32_e32 v5, s8, v4
	v_cmp_le_u32_e32 vcc, s8, v4
	v_cndmask_b32_e32 v4, v4, v5, vcc
	v_subrev_u32_e32 v5, s8, v4
	v_cmp_le_u32_e32 vcc, s8, v4
	v_cndmask_b32_e32 v4, v4, v5, vcc
	v_mov_b32_e32 v5, 0
.LBB66_54:
	s_mov_b32 s4, 0x43e00000
	v_div_scale_f32 v6, s[2:3], s4, s4, v1
	v_rcp_f32_e32 v7, v6
	v_div_scale_f32 v8, vcc, v1, s4, v1
	v_fma_f32 v9, -v6, v7, 1.0
	v_fmac_f32_e32 v7, v9, v7
	v_mul_f32_e32 v9, v8, v7
	v_fma_f32 v10, -v6, v9, v8
	v_fmac_f32_e32 v9, v10, v7
	v_fma_f32 v6, -v6, v9, v8
	v_div_fmas_f32 v6, v6, v7, v9
	v_div_fixup_f32 v1, v6, s4, v1
	v_mov_b32_e32 v6, s23
	v_sub_co_u32_e32 v4, vcc, s22, v4
	v_subb_co_u32_e32 v5, vcc, v6, v5, vcc
	v_mul_lo_u32 v5, v5, v2
	v_mul_lo_u32 v6, v4, v3
	v_mad_u64_u32 v[2:3], s[2:3], v4, v2, 0
	s_lshl_b64 s[2:3], s[6:7], 2
	v_add3_u32 v3, v3, v6, v5
	s_add_u32 s2, s2, s14
	v_lshlrev_b64 v[2:3], 2, v[2:3]
	s_addc_u32 s3, s3, s15
	v_mov_b32_e32 v4, s3
	v_add_co_u32_e32 v2, vcc, s2, v2
	v_max_f32_e32 v1, 0x36924925, v1
	v_addc_co_u32_e32 v3, vcc, v4, v3, vcc
	global_store_dword v[2:3], v1, off
.LBB66_55:
	s_or_b64 exec, exec, s[16:17]
	s_barrier
	s_and_saveexec_b64 s[2:3], s[0:1]
	s_cbranch_execz .LBB66_163
; %bb.56:
	s_add_u32 s1, s8, s49
	s_addc_u32 s2, s9, 0
	s_add_u32 s4, s1, -1
	s_addc_u32 s5, s2, -1
	s_or_b64 s[2:3], s[4:5], s[8:9]
	s_mov_b32 s0, 0
	s_mov_b32 s1, s3
	s_cmp_lg_u64 s[0:1], 0
	s_mov_b64 s[16:17], -1
	s_cbranch_scc0 .LBB66_165
; %bb.57:
	s_ashr_i32 s0, s9, 31
	s_add_u32 s2, s8, s0
	s_mov_b32 s1, s0
	s_addc_u32 s3, s9, s0
	s_xor_b64 s[22:23], s[2:3], s[0:1]
	v_cvt_f32_u32_e32 v1, s22
	v_cvt_f32_u32_e32 v2, s23
	s_sub_u32 s0, 0, s22
	s_subb_u32 s1, 0, s23
	v_madmk_f32 v1, v2, 0x4f800000, v1
	v_rcp_f32_e32 v1, v1
	v_mul_f32_e32 v1, 0x5f7ffffc, v1
	v_mul_f32_e32 v2, 0x2f800000, v1
	v_trunc_f32_e32 v2, v2
	v_madmk_f32 v1, v2, 0xcf800000, v1
	v_cvt_u32_f32_e32 v2, v2
	v_cvt_u32_f32_e32 v1, v1
	v_readfirstlane_b32 s2, v2
	v_readfirstlane_b32 s3, v1
	s_mul_i32 s9, s0, s2
	s_mul_hi_u32 s24, s0, s3
	s_mul_i32 s11, s1, s3
	s_add_i32 s9, s24, s9
	s_add_i32 s9, s9, s11
	s_mul_i32 s25, s0, s3
	s_mul_hi_u32 s11, s3, s9
	s_mul_i32 s24, s3, s9
	s_mul_hi_u32 s3, s3, s25
	s_add_u32 s3, s3, s24
	s_addc_u32 s11, 0, s11
	s_mul_hi_u32 s26, s2, s25
	s_mul_i32 s25, s2, s25
	s_add_u32 s3, s3, s25
	s_mul_hi_u32 s24, s2, s9
	s_addc_u32 s3, s11, s26
	s_addc_u32 s11, s24, 0
	s_mul_i32 s9, s2, s9
	s_add_u32 s3, s3, s9
	s_addc_u32 s9, 0, s11
	v_add_co_u32_e32 v1, vcc, s3, v1
	s_cmp_lg_u64 vcc, 0
	s_addc_u32 s2, s2, s9
	v_readfirstlane_b32 s9, v1
	s_mul_i32 s3, s0, s2
	s_mul_hi_u32 s11, s0, s9
	s_add_i32 s3, s11, s3
	s_mul_i32 s1, s1, s9
	s_add_i32 s3, s3, s1
	s_mul_i32 s0, s0, s9
	s_mul_hi_u32 s11, s2, s0
	s_mul_i32 s24, s2, s0
	s_mul_i32 s26, s9, s3
	s_mul_hi_u32 s0, s9, s0
	s_mul_hi_u32 s25, s9, s3
	s_add_u32 s0, s0, s26
	s_addc_u32 s9, 0, s25
	s_add_u32 s0, s0, s24
	s_mul_hi_u32 s1, s2, s3
	s_addc_u32 s0, s9, s11
	s_addc_u32 s1, s1, 0
	s_mul_i32 s3, s2, s3
	s_add_u32 s0, s0, s3
	s_addc_u32 s1, 0, s1
	v_add_co_u32_e32 v1, vcc, s0, v1
	s_cmp_lg_u64 vcc, 0
	s_addc_u32 s2, s2, s1
	s_ashr_i32 s24, s5, 31
	s_add_u32 s0, s4, s24
	s_mov_b32 s25, s24
	s_addc_u32 s1, s5, s24
	s_xor_b64 s[26:27], s[0:1], s[24:25]
	v_readfirstlane_b32 s3, v1
	s_mul_i32 s1, s26, s2
	s_mul_hi_u32 s9, s26, s3
	s_mul_hi_u32 s0, s26, s2
	s_add_u32 s1, s9, s1
	s_addc_u32 s0, 0, s0
	s_mul_hi_u32 s11, s27, s3
	s_mul_i32 s3, s27, s3
	s_add_u32 s1, s1, s3
	s_mul_hi_u32 s9, s27, s2
	s_addc_u32 s0, s0, s11
	s_addc_u32 s1, s9, 0
	s_mul_i32 s2, s27, s2
	s_add_u32 s0, s0, s2
	s_addc_u32 s1, 0, s1
	s_mul_i32 s1, s22, s1
	s_mul_hi_u32 s2, s22, s0
	s_add_i32 s1, s2, s1
	s_mul_i32 s2, s23, s0
	s_mul_i32 s0, s22, s0
	s_add_i32 s9, s1, s2
	v_mov_b32_e32 v1, s0
	s_sub_i32 s1, s27, s9
	v_sub_co_u32_e32 v1, vcc, s26, v1
	s_cmp_lg_u64 vcc, 0
	s_subb_u32 s11, s1, s23
	v_subrev_co_u32_e64 v2, s[0:1], s22, v1
	s_cmp_lg_u64 s[0:1], 0
	s_subb_u32 s25, s11, 0
	s_cmp_ge_u32 s25, s23
	s_cselect_b32 s26, -1, 0
	v_cmp_le_u32_e64 s[2:3], s22, v2
	s_cmp_eq_u32 s25, s23
	v_cndmask_b32_e64 v3, 0, -1, s[2:3]
	v_mov_b32_e32 v4, s26
	s_cselect_b64 s[2:3], -1, 0
	s_cmp_lg_u64 s[0:1], 0
	v_cndmask_b32_e64 v3, v4, v3, s[2:3]
	s_subb_u32 s2, s11, s23
	v_subrev_co_u32_e64 v4, s[0:1], s22, v2
	s_cmp_lg_u64 s[0:1], 0
	s_subb_u32 s2, s2, 0
	v_cmp_ne_u32_e64 s[0:1], 0, v3
	v_cndmask_b32_e64 v2, v2, v4, s[0:1]
	v_mov_b32_e32 v3, s25
	v_mov_b32_e32 v4, s2
	s_cmp_lg_u64 vcc, 0
	v_cndmask_b32_e64 v3, v3, v4, s[0:1]
	s_subb_u32 s0, s27, s9
	s_cmp_ge_u32 s0, s23
	s_cselect_b32 s1, -1, 0
	v_cmp_le_u32_e32 vcc, s22, v1
	s_cmp_eq_u32 s0, s23
	v_cndmask_b32_e64 v4, 0, -1, vcc
	v_mov_b32_e32 v5, s1
	s_cselect_b64 vcc, -1, 0
	v_cndmask_b32_e32 v4, v5, v4, vcc
	v_cmp_ne_u32_e32 vcc, 0, v4
	v_mov_b32_e32 v5, s0
	v_cndmask_b32_e32 v1, v1, v2, vcc
	v_cndmask_b32_e32 v3, v5, v3, vcc
	v_xor_b32_e32 v1, s24, v1
	v_xor_b32_e32 v3, s24, v3
	v_mov_b32_e32 v4, s24
	v_subrev_co_u32_e32 v2, vcc, s24, v1
	v_subb_co_u32_e32 v3, vcc, v3, v4, vcc
	s_cbranch_execnz .LBB66_59
.LBB66_58:
	v_cvt_f32_u32_e32 v1, s8
	s_sub_i32 s0, 0, s8
	v_mov_b32_e32 v3, 0
	v_rcp_iflag_f32_e32 v1, v1
	v_mul_f32_e32 v1, 0x4f7ffffe, v1
	v_cvt_u32_f32_e32 v1, v1
	v_mul_lo_u32 v2, s0, v1
	v_mul_hi_u32 v2, v1, v2
	v_add_u32_e32 v1, v1, v2
	v_mul_hi_u32 v1, s4, v1
	v_mul_lo_u32 v1, v1, s8
	v_sub_u32_e32 v1, s4, v1
	v_subrev_u32_e32 v2, s8, v1
	v_cmp_le_u32_e32 vcc, s8, v1
	v_cndmask_b32_e32 v1, v1, v2, vcc
	v_subrev_u32_e32 v2, s8, v1
	v_cmp_le_u32_e32 vcc, s8, v1
	v_cndmask_b32_e32 v2, v1, v2, vcc
.LBB66_59:
	s_add_u32 s11, s12, s20
	s_addc_u32 s16, s13, s21
	s_lshl_b64 s[0:1], s[6:7], 2
	s_add_u32 s14, s14, s0
	s_addc_u32 s15, s15, s1
	v_mov_b32_e32 v1, s5
	v_sub_co_u32_e32 v10, vcc, s4, v2
	v_subb_co_u32_e32 v11, vcc, v1, v3, vcc
	s_mul_i32 s17, s44, 3
	s_lshl_b32 s20, s44, 1
	s_mov_b64 s[0:1], 0
	v_mov_b32_e32 v12, s46
	v_mov_b32_e32 v13, s19
	;; [unrolled: 1-line block ×3, first 2 shown]
	s_movk_i32 s21, 0x7fff
	v_mov_b32_e32 v15, 0x7fc00000
	v_mov_b32_e32 v16, 0x7fc0
	;; [unrolled: 1-line block ×3, first 2 shown]
	s_mov_b32 s22, 0x43f00000
	s_mov_b32 s23, 0x3c7fffff
	;; [unrolled: 1-line block ×4, first 2 shown]
	s_movk_i32 s26, 0x80
	s_movk_i32 s27, 0xff
	v_mov_b32_e32 v1, 0
	s_branch .LBB66_65
.LBB66_60:                              ;   in Loop: Header=BB66_65 Depth=1
	s_or_b64 exec, exec, s[12:13]
.LBB66_61:                              ;   in Loop: Header=BB66_65 Depth=1
	s_or_b64 exec, exec, s[8:9]
	v_and_b32_sdwa v20, v20, s26 dst_sel:DWORD dst_unused:UNUSED_PAD src0_sel:BYTE_3 src1_sel:DWORD
	v_lshlrev_b64 v[8:9], 2, v[0:1]
	v_mov_b32_e32 v0, s16
	v_add_co_u32_e32 v8, vcc, s11, v8
	v_and_or_b32 v4, v4, s27, v20
	v_and_b32_sdwa v18, v18, s26 dst_sel:DWORD dst_unused:UNUSED_PAD src0_sel:BYTE_3 src1_sel:DWORD
	v_addc_co_u32_e32 v9, vcc, v0, v9, vcc
	v_lshlrev_b32_e32 v0, 24, v19
	v_and_b32_e32 v5, 0x80000000, v5
	v_lshlrev_b32_e32 v4, 16, v4
	v_lshrrev_b32_e32 v7, 24, v7
	v_or3_b32 v0, v5, v0, v4
	v_and_or_b32 v3, v3, s27, v18
	v_and_b32_e32 v4, 0xff, v6
	v_lshlrev_b32_e32 v3, 8, v3
	v_and_or_b32 v4, v7, s26, v4
	s_add_i32 s8, s44, s44
	v_or3_b32 v0, v0, v3, v4
	s_add_i32 s8, s8, s44
	global_store_dword v[8:9], v0, off
	v_add_u32_e32 v0, s8, v2
	v_cmp_le_u32_e32 vcc, s10, v0
	s_orn2_b64 s[8:9], vcc, exec
.LBB66_62:                              ;   in Loop: Header=BB66_65 Depth=1
	s_or_b64 exec, exec, s[6:7]
	s_orn2_b64 s[6:7], s[8:9], exec
.LBB66_63:                              ;   in Loop: Header=BB66_65 Depth=1
	s_or_b64 exec, exec, s[4:5]
	s_orn2_b64 s[4:5], s[6:7], exec
.LBB66_64:                              ;   in Loop: Header=BB66_65 Depth=1
	s_or_b64 exec, exec, s[2:3]
	s_and_b64 s[2:3], exec, s[4:5]
	s_or_b64 s[0:1], s[2:3], s[0:1]
	s_andn2_b64 exec, exec, s[0:1]
	s_cbranch_execz .LBB66_163
.LBB66_65:                              ; =>This Inner Loop Header: Depth=1
	v_lshlrev_b64 v[2:3], 3, v[0:1]
	v_add_co_u32_e32 v4, vcc, s33, v2
	v_addc_co_u32_e32 v5, vcc, v12, v3, vcc
	global_load_dwordx2 v[8:9], v[4:5], off
	v_add_co_u32_e32 v4, vcc, s47, v2
	v_addc_co_u32_e32 v5, vcc, v14, v3, vcc
	global_load_dwordx2 v[18:19], v[4:5], off
	v_add_co_u32_e32 v2, vcc, s18, v2
	v_bfe_u32 v21, v0, 5, 25
	v_addc_co_u32_e32 v3, vcc, v13, v3, vcc
	v_mad_u64_u32 v[6:7], s[2:3], v10, v21, 0
	global_load_dwordx2 v[2:3], v[2:3], off
	v_mov_b32_e32 v20, v7
	v_mad_u64_u32 v[20:21], s[2:3], v11, v21, v[20:21]
	v_mov_b32_e32 v7, v20
	v_lshlrev_b64 v[6:7], 2, v[6:7]
	v_add_co_u32_e32 v6, vcc, s14, v6
	v_addc_co_u32_e32 v7, vcc, v17, v7, vcc
	global_load_dword v7, v[6:7], off
	v_mov_b32_e32 v6, 0x7f
	s_waitcnt vmcnt(3)
	v_and_b32_e32 v20, 0xffff0000, v8
	v_lshlrev_b32_e32 v21, 16, v8
	v_alignbit_b32 v8, v9, v8, 16
	v_and_b32_e32 v22, 0xffff0000, v9
	v_and_b32_e32 v25, 0xffff0000, v8
	s_waitcnt vmcnt(2)
	v_and_b32_e32 v9, 0xffff0000, v18
	v_lshlrev_b32_e32 v23, 16, v18
	v_alignbit_b32 v18, v19, v18, 16
	v_and_b32_e32 v19, 0xffff0000, v19
	v_add_f32_e32 v8, v22, v19
	v_add_f32_e32 v9, v20, v9
	v_bfe_u32 v22, v8, 16, 1
	v_add_f32_e32 v21, v21, v23
	v_and_b32_e32 v18, 0xffff0000, v18
	v_bfe_u32 v20, v9, 16, 1
	v_add3_u32 v22, v8, v22, s21
	v_add_f32_e32 v18, v25, v18
	v_bfe_u32 v19, v21, 16, 1
	v_add3_u32 v20, v9, v20, s21
	v_and_b32_e32 v22, 0xffff0000, v22
	v_cmp_o_f32_e32 vcc, v8, v8
	v_mul_f32_e32 v23, v37, v21
	v_add3_u32 v19, v21, v19, s21
	v_bfe_u32 v25, v18, 16, 1
	v_and_b32_e32 v20, 0xffff0000, v20
	v_cndmask_b32_e32 v22, v15, v22, vcc
	v_cmp_o_f32_e32 vcc, v9, v9
	v_bfe_u32 v26, v23, 16, 1
	v_lshrrev_b32_e32 v19, 16, v19
	v_add3_u32 v25, v18, v25, s21
	v_cndmask_b32_e32 v20, v15, v20, vcc
	v_cmp_o_f32_e32 vcc, v21, v21
	v_add3_u32 v26, v23, v26, s21
	v_lshrrev_b32_e32 v25, 16, v25
	v_cndmask_b32_e32 v19, v16, v19, vcc
	v_cmp_o_f32_e32 vcc, v18, v18
	v_and_b32_e32 v21, 0xffff0000, v26
	v_cndmask_b32_e32 v25, v16, v25, vcc
	v_cmp_o_f32_e32 vcc, v23, v23
	s_waitcnt vmcnt(1)
	v_lshlrev_b32_e32 v24, 16, v2
	v_or_b32_e32 v19, v19, v20
	v_cndmask_b32_e32 v23, v15, v21, vcc
	v_or3_b32 v20, v19, 0, 0
	v_mul_f32_e32 v19, v23, v24
	v_or3_b32 v21, 0, v25, v22
	v_bfe_u32 v22, v19, 16, 1
	v_add3_u32 v22, v19, v22, s21
	v_and_b32_e32 v22, 0xffff0000, v22
	v_cmp_o_f32_e32 vcc, v19, v19
	v_cndmask_b32_e32 v19, v15, v22, vcc
	s_waitcnt vmcnt(0)
	v_div_scale_f32 v22, s[2:3], v7, v7, v19
	v_rcp_f32_e32 v23, v22
	global_store_dwordx2 v[4:5], v[20:21], off
	v_div_scale_f32 v4, vcc, v19, v7, v19
	v_fma_f32 v5, -v22, v23, 1.0
	v_fmac_f32_e32 v23, v5, v23
	v_mul_f32_e32 v5, v4, v23
	v_fma_f32 v20, -v22, v5, v4
	v_fmac_f32_e32 v5, v20, v23
	v_fma_f32 v4, -v22, v5, v4
	v_div_fmas_f32 v4, v4, v23, v5
	v_div_fixup_f32 v4, v4, v7, v19
	v_min_f32_e32 v4, 0x43e00000, v4
	v_max_f32_e32 v5, 0xc3e00000, v4
	v_and_b32_e32 v19, 0x7fffffff, v5
	v_cmp_gt_u32_e32 vcc, s22, v19
	v_mov_b32_e32 v4, 0x7f
	s_and_saveexec_b64 s[2:3], vcc
	s_cbranch_execz .LBB66_71
; %bb.66:                               ;   in Loop: Header=BB66_65 Depth=1
	v_cmp_lt_u32_e32 vcc, s23, v19
                                        ; implicit-def: $vgpr4
	s_and_saveexec_b64 s[4:5], vcc
	s_xor_b64 s[4:5], exec, s[4:5]
; %bb.67:                               ;   in Loop: Header=BB66_65 Depth=1
	v_bfe_u32 v4, v5, 20, 1
	v_add3_u32 v4, v5, v4, s24
	v_lshrrev_b32_e32 v4, 20, v4
; %bb.68:                               ;   in Loop: Header=BB66_65 Depth=1
	s_andn2_saveexec_b64 s[4:5], s[4:5]
; %bb.69:                               ;   in Loop: Header=BB66_65 Depth=1
	v_add_f32_e64 v4, |v5|, s25
; %bb.70:                               ;   in Loop: Header=BB66_65 Depth=1
	s_or_b64 exec, exec, s[4:5]
.LBB66_71:                              ;   in Loop: Header=BB66_65 Depth=1
	s_or_b64 exec, exec, s[2:3]
	v_mul_f32_e32 v9, v37, v9
	v_bfe_u32 v20, v9, 16, 1
	v_add3_u32 v20, v9, v20, s21
	v_and_b32_e32 v20, 0xffff0000, v20
	v_cmp_o_f32_e32 vcc, v9, v9
	v_and_b32_e32 v19, 0xffff0000, v2
	v_cndmask_b32_e32 v9, v15, v20, vcc
	v_mul_f32_e32 v9, v9, v19
	v_bfe_u32 v19, v9, 16, 1
	v_add3_u32 v19, v9, v19, s21
	v_and_b32_e32 v19, 0xffff0000, v19
	v_cmp_o_f32_e32 vcc, v9, v9
	v_cndmask_b32_e32 v9, v15, v19, vcc
	v_div_scale_f32 v19, s[2:3], v7, v7, v9
	v_rcp_f32_e32 v20, v19
	v_fma_f32 v21, -v19, v20, 1.0
	v_fmac_f32_e32 v20, v21, v20
	v_div_scale_f32 v21, vcc, v9, v7, v9
	v_mul_f32_e32 v22, v21, v20
	v_fma_f32 v23, -v19, v22, v21
	v_fmac_f32_e32 v22, v23, v20
	v_fma_f32 v19, -v19, v22, v21
	v_div_fmas_f32 v19, v19, v20, v22
	v_div_fixup_f32 v9, v19, v7, v9
	v_min_f32_e32 v9, 0x43e00000, v9
	v_max_f32_e32 v9, 0xc3e00000, v9
	v_and_b32_e32 v19, 0x7fffffff, v9
	v_cmp_gt_u32_e32 vcc, s22, v19
	s_and_saveexec_b64 s[2:3], vcc
	s_cbranch_execz .LBB66_77
; %bb.72:                               ;   in Loop: Header=BB66_65 Depth=1
	v_cmp_lt_u32_e32 vcc, s23, v19
                                        ; implicit-def: $vgpr6
	s_and_saveexec_b64 s[4:5], vcc
	s_xor_b64 s[4:5], exec, s[4:5]
; %bb.73:                               ;   in Loop: Header=BB66_65 Depth=1
	v_bfe_u32 v6, v9, 20, 1
	v_add3_u32 v6, v9, v6, s24
	v_lshrrev_b32_e32 v6, 20, v6
; %bb.74:                               ;   in Loop: Header=BB66_65 Depth=1
	s_andn2_saveexec_b64 s[4:5], s[4:5]
; %bb.75:                               ;   in Loop: Header=BB66_65 Depth=1
	v_add_f32_e64 v6, |v9|, s25
; %bb.76:                               ;   in Loop: Header=BB66_65 Depth=1
	s_or_b64 exec, exec, s[4:5]
.LBB66_77:                              ;   in Loop: Header=BB66_65 Depth=1
	s_or_b64 exec, exec, s[2:3]
	v_mul_f32_e32 v18, v37, v18
	v_bfe_u32 v19, v18, 16, 1
	v_add3_u32 v19, v18, v19, s21
	v_and_b32_e32 v19, 0xffff0000, v19
	v_cmp_o_f32_e32 vcc, v18, v18
	v_alignbit_b32 v2, v3, v2, 16
	v_cndmask_b32_e32 v18, v15, v19, vcc
	v_and_b32_e32 v2, 0xffff0000, v2
	v_mul_f32_e32 v2, v18, v2
	v_bfe_u32 v18, v2, 16, 1
	v_add3_u32 v18, v2, v18, s21
	v_and_b32_e32 v18, 0xffff0000, v18
	v_cmp_o_f32_e32 vcc, v2, v2
	v_cndmask_b32_e32 v2, v15, v18, vcc
	v_div_scale_f32 v18, s[2:3], v7, v7, v2
	v_rcp_f32_e32 v19, v18
	v_fma_f32 v20, -v18, v19, 1.0
	v_fmac_f32_e32 v19, v20, v19
	v_div_scale_f32 v20, vcc, v2, v7, v2
	v_mul_f32_e32 v21, v20, v19
	v_fma_f32 v22, -v18, v21, v20
	v_fmac_f32_e32 v21, v22, v19
	v_fma_f32 v18, -v18, v21, v20
	v_div_fmas_f32 v18, v18, v19, v21
	v_div_fixup_f32 v2, v18, v7, v2
	v_min_f32_e32 v2, 0x43e00000, v2
	v_max_f32_e32 v19, 0xc3e00000, v2
	v_and_b32_e32 v20, 0x7fffffff, v19
	v_cmp_gt_u32_e32 vcc, s22, v20
	v_mov_b32_e32 v18, 0x7f
	v_mov_b32_e32 v2, 0x7f
	s_and_saveexec_b64 s[2:3], vcc
	s_cbranch_execz .LBB66_83
; %bb.78:                               ;   in Loop: Header=BB66_65 Depth=1
	v_cmp_lt_u32_e32 vcc, s23, v20
                                        ; implicit-def: $vgpr2
	s_and_saveexec_b64 s[4:5], vcc
	s_xor_b64 s[4:5], exec, s[4:5]
; %bb.79:                               ;   in Loop: Header=BB66_65 Depth=1
	v_bfe_u32 v2, v19, 20, 1
	v_add3_u32 v2, v19, v2, s24
	v_lshrrev_b32_e32 v2, 20, v2
; %bb.80:                               ;   in Loop: Header=BB66_65 Depth=1
	s_andn2_saveexec_b64 s[4:5], s[4:5]
; %bb.81:                               ;   in Loop: Header=BB66_65 Depth=1
	v_add_f32_e64 v2, |v19|, s25
; %bb.82:                               ;   in Loop: Header=BB66_65 Depth=1
	s_or_b64 exec, exec, s[4:5]
.LBB66_83:                              ;   in Loop: Header=BB66_65 Depth=1
	s_or_b64 exec, exec, s[2:3]
	v_mul_f32_e32 v8, v37, v8
	v_bfe_u32 v20, v8, 16, 1
	v_add3_u32 v20, v8, v20, s21
	v_and_b32_e32 v20, 0xffff0000, v20
	v_cmp_o_f32_e32 vcc, v8, v8
	v_cndmask_b32_e32 v8, v15, v20, vcc
	v_and_b32_e32 v3, 0xffff0000, v3
	v_mul_f32_e32 v3, v8, v3
	v_bfe_u32 v8, v3, 16, 1
	v_add3_u32 v8, v3, v8, s21
	v_and_b32_e32 v8, 0xffff0000, v8
	v_cmp_o_f32_e32 vcc, v3, v3
	v_cndmask_b32_e32 v3, v15, v8, vcc
	v_div_scale_f32 v8, s[2:3], v7, v7, v3
	v_rcp_f32_e32 v20, v8
	v_fma_f32 v21, -v8, v20, 1.0
	v_fmac_f32_e32 v20, v21, v20
	v_div_scale_f32 v21, vcc, v3, v7, v3
	v_mul_f32_e32 v22, v21, v20
	v_fma_f32 v23, -v8, v22, v21
	v_fmac_f32_e32 v22, v23, v20
	v_fma_f32 v8, -v8, v22, v21
	v_div_fmas_f32 v8, v8, v20, v22
	v_div_fixup_f32 v3, v8, v7, v3
	v_min_f32_e32 v3, 0x43e00000, v3
	v_max_f32_e32 v3, 0xc3e00000, v3
	v_and_b32_e32 v7, 0x7fffffff, v3
	v_cmp_gt_u32_e32 vcc, s22, v7
	s_and_saveexec_b64 s[2:3], vcc
	s_cbranch_execz .LBB66_89
; %bb.84:                               ;   in Loop: Header=BB66_65 Depth=1
	v_cmp_lt_u32_e32 vcc, s23, v7
                                        ; implicit-def: $vgpr18
	s_and_saveexec_b64 s[4:5], vcc
	s_xor_b64 s[4:5], exec, s[4:5]
; %bb.85:                               ;   in Loop: Header=BB66_65 Depth=1
	v_bfe_u32 v7, v3, 20, 1
	v_add3_u32 v7, v3, v7, s24
	v_lshrrev_b32_e32 v18, 20, v7
; %bb.86:                               ;   in Loop: Header=BB66_65 Depth=1
	s_andn2_saveexec_b64 s[4:5], s[4:5]
; %bb.87:                               ;   in Loop: Header=BB66_65 Depth=1
	v_add_f32_e64 v18, |v3|, s25
; %bb.88:                               ;   in Loop: Header=BB66_65 Depth=1
	s_or_b64 exec, exec, s[4:5]
.LBB66_89:                              ;   in Loop: Header=BB66_65 Depth=1
	s_or_b64 exec, exec, s[2:3]
	v_and_b32_sdwa v7, v19, s26 dst_sel:DWORD dst_unused:UNUSED_PAD src0_sel:BYTE_3 src1_sel:DWORD
	v_and_or_b32 v2, v2, s27, v7
	v_and_b32_sdwa v19, v9, s26 dst_sel:DWORD dst_unused:UNUSED_PAD src0_sel:BYTE_3 src1_sel:DWORD
	v_lshlrev_b32_e32 v18, 24, v18
	v_and_b32_e32 v3, 0x80000000, v3
	v_lshlrev_b32_e32 v2, 16, v2
	v_lshrrev_b32_e32 v5, 24, v5
	v_lshlrev_b64 v[8:9], 2, v[0:1]
	v_or3_b32 v2, v3, v18, v2
	v_and_or_b32 v3, v6, s27, v19
	v_and_b32_e32 v4, 0xff, v4
	v_mov_b32_e32 v20, s16
	v_add_co_u32_e32 v8, vcc, s11, v8
	v_lshlrev_b32_e32 v3, 8, v3
	v_and_or_b32 v4, v5, s26, v4
	v_addc_co_u32_e32 v9, vcc, v20, v9, vcc
	v_or3_b32 v2, v2, v3, v4
	global_store_dword v[8:9], v2, off
	v_add_u32_e32 v2, s44, v0
	v_cmp_gt_u32_e32 vcc, s10, v2
	s_mov_b64 s[4:5], -1
	s_and_saveexec_b64 s[2:3], vcc
	s_cbranch_execz .LBB66_64
; %bb.90:                               ;   in Loop: Header=BB66_65 Depth=1
	v_mov_b32_e32 v3, v1
	v_lshlrev_b64 v[4:5], 3, v[2:3]
	v_mov_b32_e32 v7, s46
	v_add_co_u32_e32 v6, vcc, s33, v4
	v_addc_co_u32_e32 v7, vcc, v7, v5, vcc
	global_load_dwordx2 v[18:19], v[6:7], off
	v_mov_b32_e32 v7, s48
	v_add_co_u32_e32 v6, vcc, s47, v4
	v_addc_co_u32_e32 v7, vcc, v7, v5, vcc
	global_load_dwordx2 v[20:21], v[6:7], off
	v_mov_b32_e32 v8, s19
	v_add_co_u32_e32 v4, vcc, s18, v4
	v_bfe_u32 v23, v2, 5, 25
	v_addc_co_u32_e32 v5, vcc, v8, v5, vcc
	v_mad_u64_u32 v[8:9], s[4:5], v10, v23, 0
	global_load_dwordx2 v[4:5], v[4:5], off
	v_mov_b32_e32 v22, v9
	v_mad_u64_u32 v[22:23], s[4:5], v11, v23, v[22:23]
	v_mov_b32_e32 v9, v22
	v_lshlrev_b64 v[8:9], 2, v[8:9]
	v_mov_b32_e32 v24, s15
	v_add_co_u32_e32 v8, vcc, s14, v8
	v_addc_co_u32_e32 v9, vcc, v24, v9, vcc
	global_load_dword v9, v[8:9], off
	v_mov_b32_e32 v8, 0x7f
	s_waitcnt vmcnt(3)
	v_and_b32_e32 v22, 0xffff0000, v18
	v_lshlrev_b32_e32 v23, 16, v18
	v_alignbit_b32 v18, v19, v18, 16
	v_and_b32_e32 v24, 0xffff0000, v19
	v_and_b32_e32 v27, 0xffff0000, v18
	s_waitcnt vmcnt(2)
	v_and_b32_e32 v19, 0xffff0000, v20
	v_lshlrev_b32_e32 v25, 16, v20
	v_alignbit_b32 v20, v21, v20, 16
	v_and_b32_e32 v21, 0xffff0000, v21
	v_add_f32_e32 v18, v24, v21
	v_add_f32_e32 v19, v22, v19
	v_bfe_u32 v24, v18, 16, 1
	v_add_f32_e32 v23, v23, v25
	v_and_b32_e32 v20, 0xffff0000, v20
	v_bfe_u32 v22, v19, 16, 1
	v_add3_u32 v24, v18, v24, s21
	v_add_f32_e32 v20, v27, v20
	v_bfe_u32 v21, v23, 16, 1
	v_add3_u32 v22, v19, v22, s21
	v_and_b32_e32 v24, 0xffff0000, v24
	v_cmp_o_f32_e32 vcc, v18, v18
	v_mul_f32_e32 v25, v37, v23
	v_add3_u32 v21, v23, v21, s21
	v_bfe_u32 v27, v20, 16, 1
	v_and_b32_e32 v22, 0xffff0000, v22
	v_cndmask_b32_e32 v24, v15, v24, vcc
	v_cmp_o_f32_e32 vcc, v19, v19
	v_bfe_u32 v28, v25, 16, 1
	v_lshrrev_b32_e32 v21, 16, v21
	v_add3_u32 v27, v20, v27, s21
	v_cndmask_b32_e32 v22, v15, v22, vcc
	v_cmp_o_f32_e32 vcc, v23, v23
	v_add3_u32 v28, v25, v28, s21
	v_lshrrev_b32_e32 v27, 16, v27
	v_cndmask_b32_e32 v21, v16, v21, vcc
	v_cmp_o_f32_e32 vcc, v20, v20
	v_and_b32_e32 v23, 0xffff0000, v28
	v_cndmask_b32_e32 v27, v16, v27, vcc
	v_cmp_o_f32_e32 vcc, v25, v25
	s_waitcnt vmcnt(1)
	v_lshlrev_b32_e32 v26, 16, v4
	v_or_b32_e32 v21, v21, v22
	v_cndmask_b32_e32 v25, v15, v23, vcc
	v_or3_b32 v22, v21, 0, 0
	v_mul_f32_e32 v21, v25, v26
	v_or3_b32 v23, 0, v27, v24
	v_bfe_u32 v24, v21, 16, 1
	v_add3_u32 v24, v21, v24, s21
	v_and_b32_e32 v24, 0xffff0000, v24
	v_cmp_o_f32_e32 vcc, v21, v21
	v_cndmask_b32_e32 v21, v15, v24, vcc
	s_waitcnt vmcnt(0)
	v_div_scale_f32 v24, s[4:5], v9, v9, v21
	v_rcp_f32_e32 v25, v24
	global_store_dwordx2 v[6:7], v[22:23], off
	v_div_scale_f32 v6, vcc, v21, v9, v21
	v_fma_f32 v7, -v24, v25, 1.0
	v_fmac_f32_e32 v25, v7, v25
	v_mul_f32_e32 v7, v6, v25
	v_fma_f32 v22, -v24, v7, v6
	v_fmac_f32_e32 v7, v22, v25
	v_fma_f32 v6, -v24, v7, v6
	v_div_fmas_f32 v6, v6, v25, v7
	v_div_fixup_f32 v6, v6, v9, v21
	v_min_f32_e32 v6, 0x43e00000, v6
	v_max_f32_e32 v7, 0xc3e00000, v6
	v_and_b32_e32 v21, 0x7fffffff, v7
	v_cmp_gt_u32_e32 vcc, s22, v21
	v_mov_b32_e32 v6, 0x7f
	s_and_saveexec_b64 s[4:5], vcc
	s_cbranch_execz .LBB66_96
; %bb.91:                               ;   in Loop: Header=BB66_65 Depth=1
	v_cmp_lt_u32_e32 vcc, s23, v21
                                        ; implicit-def: $vgpr6
	s_and_saveexec_b64 s[6:7], vcc
	s_xor_b64 s[6:7], exec, s[6:7]
; %bb.92:                               ;   in Loop: Header=BB66_65 Depth=1
	v_bfe_u32 v6, v7, 20, 1
	v_add3_u32 v6, v7, v6, s24
	v_lshrrev_b32_e32 v6, 20, v6
; %bb.93:                               ;   in Loop: Header=BB66_65 Depth=1
	s_andn2_saveexec_b64 s[6:7], s[6:7]
; %bb.94:                               ;   in Loop: Header=BB66_65 Depth=1
	v_add_f32_e64 v6, |v7|, s25
; %bb.95:                               ;   in Loop: Header=BB66_65 Depth=1
	s_or_b64 exec, exec, s[6:7]
.LBB66_96:                              ;   in Loop: Header=BB66_65 Depth=1
	s_or_b64 exec, exec, s[4:5]
	v_mul_f32_e32 v19, v37, v19
	v_bfe_u32 v22, v19, 16, 1
	v_add3_u32 v22, v19, v22, s21
	v_and_b32_e32 v22, 0xffff0000, v22
	v_cmp_o_f32_e32 vcc, v19, v19
	v_and_b32_e32 v21, 0xffff0000, v4
	v_cndmask_b32_e32 v19, v15, v22, vcc
	v_mul_f32_e32 v19, v19, v21
	v_bfe_u32 v21, v19, 16, 1
	v_add3_u32 v21, v19, v21, s21
	v_and_b32_e32 v21, 0xffff0000, v21
	v_cmp_o_f32_e32 vcc, v19, v19
	v_cndmask_b32_e32 v19, v15, v21, vcc
	v_div_scale_f32 v21, s[4:5], v9, v9, v19
	v_rcp_f32_e32 v22, v21
	v_fma_f32 v23, -v21, v22, 1.0
	v_fmac_f32_e32 v22, v23, v22
	v_div_scale_f32 v23, vcc, v19, v9, v19
	v_mul_f32_e32 v24, v23, v22
	v_fma_f32 v25, -v21, v24, v23
	v_fmac_f32_e32 v24, v25, v22
	v_fma_f32 v21, -v21, v24, v23
	v_div_fmas_f32 v21, v21, v22, v24
	v_div_fixup_f32 v19, v21, v9, v19
	v_min_f32_e32 v19, 0x43e00000, v19
	v_max_f32_e32 v19, 0xc3e00000, v19
	v_and_b32_e32 v21, 0x7fffffff, v19
	v_cmp_gt_u32_e32 vcc, s22, v21
	s_and_saveexec_b64 s[4:5], vcc
	s_cbranch_execz .LBB66_102
; %bb.97:                               ;   in Loop: Header=BB66_65 Depth=1
	v_cmp_lt_u32_e32 vcc, s23, v21
                                        ; implicit-def: $vgpr8
	s_and_saveexec_b64 s[6:7], vcc
	s_xor_b64 s[6:7], exec, s[6:7]
; %bb.98:                               ;   in Loop: Header=BB66_65 Depth=1
	v_bfe_u32 v8, v19, 20, 1
	v_add3_u32 v8, v19, v8, s24
	v_lshrrev_b32_e32 v8, 20, v8
; %bb.99:                               ;   in Loop: Header=BB66_65 Depth=1
	s_andn2_saveexec_b64 s[6:7], s[6:7]
; %bb.100:                              ;   in Loop: Header=BB66_65 Depth=1
	v_add_f32_e64 v8, |v19|, s25
; %bb.101:                              ;   in Loop: Header=BB66_65 Depth=1
	s_or_b64 exec, exec, s[6:7]
.LBB66_102:                             ;   in Loop: Header=BB66_65 Depth=1
	s_or_b64 exec, exec, s[4:5]
	v_mul_f32_e32 v20, v37, v20
	v_bfe_u32 v21, v20, 16, 1
	v_add3_u32 v21, v20, v21, s21
	v_and_b32_e32 v21, 0xffff0000, v21
	v_cmp_o_f32_e32 vcc, v20, v20
	v_alignbit_b32 v4, v5, v4, 16
	v_cndmask_b32_e32 v20, v15, v21, vcc
	v_and_b32_e32 v4, 0xffff0000, v4
	v_mul_f32_e32 v4, v20, v4
	v_bfe_u32 v20, v4, 16, 1
	v_add3_u32 v20, v4, v20, s21
	v_and_b32_e32 v20, 0xffff0000, v20
	v_cmp_o_f32_e32 vcc, v4, v4
	v_cndmask_b32_e32 v4, v15, v20, vcc
	v_div_scale_f32 v20, s[4:5], v9, v9, v4
	v_rcp_f32_e32 v21, v20
	v_fma_f32 v22, -v20, v21, 1.0
	v_fmac_f32_e32 v21, v22, v21
	v_div_scale_f32 v22, vcc, v4, v9, v4
	v_mul_f32_e32 v23, v22, v21
	v_fma_f32 v24, -v20, v23, v22
	v_fmac_f32_e32 v23, v24, v21
	v_fma_f32 v20, -v20, v23, v22
	v_div_fmas_f32 v20, v20, v21, v23
	v_div_fixup_f32 v4, v20, v9, v4
	v_min_f32_e32 v4, 0x43e00000, v4
	v_max_f32_e32 v21, 0xc3e00000, v4
	v_and_b32_e32 v22, 0x7fffffff, v21
	v_cmp_gt_u32_e32 vcc, s22, v22
	v_mov_b32_e32 v20, 0x7f
	v_mov_b32_e32 v4, 0x7f
	s_and_saveexec_b64 s[4:5], vcc
	s_cbranch_execz .LBB66_108
; %bb.103:                              ;   in Loop: Header=BB66_65 Depth=1
	v_cmp_lt_u32_e32 vcc, s23, v22
                                        ; implicit-def: $vgpr4
	s_and_saveexec_b64 s[6:7], vcc
	s_xor_b64 s[6:7], exec, s[6:7]
; %bb.104:                              ;   in Loop: Header=BB66_65 Depth=1
	v_bfe_u32 v4, v21, 20, 1
	v_add3_u32 v4, v21, v4, s24
	v_lshrrev_b32_e32 v4, 20, v4
; %bb.105:                              ;   in Loop: Header=BB66_65 Depth=1
	s_andn2_saveexec_b64 s[6:7], s[6:7]
; %bb.106:                              ;   in Loop: Header=BB66_65 Depth=1
	v_add_f32_e64 v4, |v21|, s25
; %bb.107:                              ;   in Loop: Header=BB66_65 Depth=1
	s_or_b64 exec, exec, s[6:7]
.LBB66_108:                             ;   in Loop: Header=BB66_65 Depth=1
	s_or_b64 exec, exec, s[4:5]
	v_mul_f32_e32 v18, v37, v18
	v_bfe_u32 v22, v18, 16, 1
	v_add3_u32 v22, v18, v22, s21
	v_and_b32_e32 v22, 0xffff0000, v22
	v_cmp_o_f32_e32 vcc, v18, v18
	v_cndmask_b32_e32 v18, v15, v22, vcc
	v_and_b32_e32 v5, 0xffff0000, v5
	v_mul_f32_e32 v5, v18, v5
	v_bfe_u32 v18, v5, 16, 1
	v_add3_u32 v18, v5, v18, s21
	v_and_b32_e32 v18, 0xffff0000, v18
	v_cmp_o_f32_e32 vcc, v5, v5
	v_cndmask_b32_e32 v5, v15, v18, vcc
	v_div_scale_f32 v18, s[4:5], v9, v9, v5
	v_rcp_f32_e32 v22, v18
	v_fma_f32 v23, -v18, v22, 1.0
	v_fmac_f32_e32 v22, v23, v22
	v_div_scale_f32 v23, vcc, v5, v9, v5
	v_mul_f32_e32 v24, v23, v22
	v_fma_f32 v25, -v18, v24, v23
	v_fmac_f32_e32 v24, v25, v22
	v_fma_f32 v18, -v18, v24, v23
	v_div_fmas_f32 v18, v18, v22, v24
	v_div_fixup_f32 v5, v18, v9, v5
	v_min_f32_e32 v5, 0x43e00000, v5
	v_max_f32_e32 v5, 0xc3e00000, v5
	v_and_b32_e32 v9, 0x7fffffff, v5
	v_cmp_gt_u32_e32 vcc, s22, v9
	s_and_saveexec_b64 s[4:5], vcc
	s_cbranch_execz .LBB66_114
; %bb.109:                              ;   in Loop: Header=BB66_65 Depth=1
	v_cmp_lt_u32_e32 vcc, s23, v9
                                        ; implicit-def: $vgpr20
	s_and_saveexec_b64 s[6:7], vcc
	s_xor_b64 s[6:7], exec, s[6:7]
; %bb.110:                              ;   in Loop: Header=BB66_65 Depth=1
	v_bfe_u32 v9, v5, 20, 1
	v_add3_u32 v9, v5, v9, s24
	v_lshrrev_b32_e32 v20, 20, v9
; %bb.111:                              ;   in Loop: Header=BB66_65 Depth=1
	s_andn2_saveexec_b64 s[6:7], s[6:7]
; %bb.112:                              ;   in Loop: Header=BB66_65 Depth=1
	v_add_f32_e64 v20, |v5|, s25
; %bb.113:                              ;   in Loop: Header=BB66_65 Depth=1
	s_or_b64 exec, exec, s[6:7]
.LBB66_114:                             ;   in Loop: Header=BB66_65 Depth=1
	s_or_b64 exec, exec, s[4:5]
	v_and_b32_sdwa v9, v21, s26 dst_sel:DWORD dst_unused:UNUSED_PAD src0_sel:BYTE_3 src1_sel:DWORD
	v_and_b32_sdwa v21, v19, s26 dst_sel:DWORD dst_unused:UNUSED_PAD src0_sel:BYTE_3 src1_sel:DWORD
	v_lshlrev_b64 v[18:19], 2, v[2:3]
	v_mov_b32_e32 v3, s16
	v_add_co_u32_e32 v18, vcc, s11, v18
	v_and_or_b32 v4, v4, s27, v9
	v_addc_co_u32_e32 v19, vcc, v3, v19, vcc
	v_lshlrev_b32_e32 v3, 24, v20
	v_and_b32_e32 v5, 0x80000000, v5
	v_lshlrev_b32_e32 v4, 16, v4
	v_lshrrev_b32_e32 v7, 24, v7
	v_or3_b32 v3, v5, v3, v4
	v_and_or_b32 v4, v8, s27, v21
	v_and_b32_e32 v5, 0xff, v6
	v_lshlrev_b32_e32 v4, 8, v4
	v_and_or_b32 v5, v7, s26, v5
	v_or3_b32 v3, v3, v4, v5
	v_add_u32_e32 v4, s20, v0
	v_cmp_gt_u32_e32 vcc, s10, v4
	s_mov_b64 s[6:7], -1
	global_store_dword v[18:19], v3, off
	s_and_saveexec_b64 s[4:5], vcc
	s_cbranch_execz .LBB66_63
; %bb.115:                              ;   in Loop: Header=BB66_65 Depth=1
	v_mov_b32_e32 v5, v1
	v_lshlrev_b64 v[6:7], 3, v[4:5]
	v_mov_b32_e32 v3, s46
	v_add_co_u32_e32 v8, vcc, s33, v6
	v_addc_co_u32_e32 v9, vcc, v3, v7, vcc
	global_load_dwordx2 v[20:21], v[8:9], off
	v_mov_b32_e32 v9, s48
	v_add_co_u32_e32 v8, vcc, s47, v6
	v_addc_co_u32_e32 v9, vcc, v9, v7, vcc
	global_load_dwordx2 v[22:23], v[8:9], off
	v_mov_b32_e32 v3, s19
	v_add_co_u32_e32 v6, vcc, s18, v6
	v_addc_co_u32_e32 v7, vcc, v3, v7, vcc
	v_bfe_u32 v3, v4, 5, 25
	v_mad_u64_u32 v[18:19], s[6:7], v10, v3, 0
	global_load_dwordx2 v[6:7], v[6:7], off
	v_mov_b32_e32 v24, v19
	v_mad_u64_u32 v[24:25], s[6:7], v11, v3, v[24:25]
	v_mov_b32_e32 v19, v24
	v_lshlrev_b64 v[18:19], 2, v[18:19]
	v_mov_b32_e32 v26, s15
	v_add_co_u32_e32 v18, vcc, s14, v18
	v_addc_co_u32_e32 v19, vcc, v26, v19, vcc
	global_load_dword v18, v[18:19], off
	v_mov_b32_e32 v3, 0x7f
	s_waitcnt vmcnt(3)
	v_and_b32_e32 v19, 0xffff0000, v20
	v_lshlrev_b32_e32 v24, 16, v20
	v_alignbit_b32 v20, v21, v20, 16
	v_and_b32_e32 v21, 0xffff0000, v21
	v_and_b32_e32 v28, 0xffff0000, v20
	s_waitcnt vmcnt(2)
	v_and_b32_e32 v25, 0xffff0000, v22
	v_lshlrev_b32_e32 v26, 16, v22
	v_alignbit_b32 v22, v23, v22, 16
	v_and_b32_e32 v23, 0xffff0000, v23
	v_add_f32_e32 v20, v19, v25
	v_add_f32_e32 v19, v21, v23
	v_bfe_u32 v25, v19, 16, 1
	v_add_f32_e32 v24, v24, v26
	v_and_b32_e32 v22, 0xffff0000, v22
	v_bfe_u32 v23, v20, 16, 1
	v_add3_u32 v25, v19, v25, s21
	v_add_f32_e32 v21, v28, v22
	v_bfe_u32 v22, v24, 16, 1
	v_add3_u32 v23, v20, v23, s21
	v_and_b32_e32 v25, 0xffff0000, v25
	v_cmp_o_f32_e32 vcc, v19, v19
	v_mul_f32_e32 v26, v37, v24
	v_add3_u32 v22, v24, v22, s21
	v_bfe_u32 v28, v21, 16, 1
	v_and_b32_e32 v23, 0xffff0000, v23
	v_cndmask_b32_e32 v25, v15, v25, vcc
	v_cmp_o_f32_e32 vcc, v20, v20
	v_bfe_u32 v29, v26, 16, 1
	v_lshrrev_b32_e32 v22, 16, v22
	v_add3_u32 v28, v21, v28, s21
	v_cndmask_b32_e32 v23, v15, v23, vcc
	v_cmp_o_f32_e32 vcc, v24, v24
	v_add3_u32 v29, v26, v29, s21
	v_lshrrev_b32_e32 v28, 16, v28
	v_cndmask_b32_e32 v22, v16, v22, vcc
	v_cmp_o_f32_e32 vcc, v21, v21
	v_and_b32_e32 v24, 0xffff0000, v29
	v_cndmask_b32_e32 v28, v16, v28, vcc
	v_cmp_o_f32_e32 vcc, v26, v26
	s_waitcnt vmcnt(1)
	v_lshlrev_b32_e32 v27, 16, v6
	v_cndmask_b32_e32 v24, v15, v24, vcc
	v_mul_f32_e32 v24, v24, v27
	v_or_b32_e32 v22, v22, v23
	v_or3_b32 v23, 0, v28, v25
	v_bfe_u32 v25, v24, 16, 1
	v_add3_u32 v25, v24, v25, s21
	v_and_b32_e32 v25, 0xffff0000, v25
	v_cmp_o_f32_e32 vcc, v24, v24
	v_cndmask_b32_e32 v24, v15, v25, vcc
	s_waitcnt vmcnt(0)
	v_div_scale_f32 v25, s[6:7], v18, v18, v24
	v_rcp_f32_e32 v26, v25
	v_or3_b32 v22, v22, 0, 0
	global_store_dwordx2 v[8:9], v[22:23], off
	v_div_scale_f32 v8, vcc, v24, v18, v24
	v_fma_f32 v9, -v25, v26, 1.0
	v_fmac_f32_e32 v26, v9, v26
	v_mul_f32_e32 v9, v8, v26
	v_fma_f32 v22, -v25, v9, v8
	v_fmac_f32_e32 v9, v22, v26
	v_fma_f32 v8, -v25, v9, v8
	v_div_fmas_f32 v8, v8, v26, v9
	v_div_fixup_f32 v8, v8, v18, v24
	v_min_f32_e32 v8, 0x43e00000, v8
	v_max_f32_e32 v9, 0xc3e00000, v8
	v_and_b32_e32 v22, 0x7fffffff, v9
	v_cmp_gt_u32_e32 vcc, s22, v22
	v_mov_b32_e32 v8, 0x7f
	s_and_saveexec_b64 s[6:7], vcc
	s_cbranch_execz .LBB66_121
; %bb.116:                              ;   in Loop: Header=BB66_65 Depth=1
	v_cmp_lt_u32_e32 vcc, s23, v22
                                        ; implicit-def: $vgpr8
	s_and_saveexec_b64 s[8:9], vcc
	s_xor_b64 s[8:9], exec, s[8:9]
; %bb.117:                              ;   in Loop: Header=BB66_65 Depth=1
	v_bfe_u32 v8, v9, 20, 1
	v_add3_u32 v8, v9, v8, s24
	v_lshrrev_b32_e32 v8, 20, v8
; %bb.118:                              ;   in Loop: Header=BB66_65 Depth=1
	s_andn2_saveexec_b64 s[8:9], s[8:9]
; %bb.119:                              ;   in Loop: Header=BB66_65 Depth=1
	v_add_f32_e64 v8, |v9|, s25
; %bb.120:                              ;   in Loop: Header=BB66_65 Depth=1
	s_or_b64 exec, exec, s[8:9]
.LBB66_121:                             ;   in Loop: Header=BB66_65 Depth=1
	s_or_b64 exec, exec, s[6:7]
	v_mul_f32_e32 v20, v37, v20
	v_bfe_u32 v23, v20, 16, 1
	v_add3_u32 v23, v20, v23, s21
	v_and_b32_e32 v23, 0xffff0000, v23
	v_cmp_o_f32_e32 vcc, v20, v20
	v_and_b32_e32 v22, 0xffff0000, v6
	v_cndmask_b32_e32 v20, v15, v23, vcc
	v_mul_f32_e32 v20, v20, v22
	v_bfe_u32 v22, v20, 16, 1
	v_add3_u32 v22, v20, v22, s21
	v_and_b32_e32 v22, 0xffff0000, v22
	v_cmp_o_f32_e32 vcc, v20, v20
	v_cndmask_b32_e32 v20, v15, v22, vcc
	v_div_scale_f32 v22, s[6:7], v18, v18, v20
	v_rcp_f32_e32 v23, v22
	v_fma_f32 v24, -v22, v23, 1.0
	v_fmac_f32_e32 v23, v24, v23
	v_div_scale_f32 v24, vcc, v20, v18, v20
	v_mul_f32_e32 v25, v24, v23
	v_fma_f32 v26, -v22, v25, v24
	v_fmac_f32_e32 v25, v26, v23
	v_fma_f32 v22, -v22, v25, v24
	v_div_fmas_f32 v22, v22, v23, v25
	v_div_fixup_f32 v20, v22, v18, v20
	v_min_f32_e32 v20, 0x43e00000, v20
	v_max_f32_e32 v20, 0xc3e00000, v20
	v_and_b32_e32 v22, 0x7fffffff, v20
	v_cmp_gt_u32_e32 vcc, s22, v22
	s_and_saveexec_b64 s[6:7], vcc
	s_cbranch_execz .LBB66_127
; %bb.122:                              ;   in Loop: Header=BB66_65 Depth=1
	v_cmp_lt_u32_e32 vcc, s23, v22
                                        ; implicit-def: $vgpr3
	s_and_saveexec_b64 s[8:9], vcc
	s_xor_b64 s[8:9], exec, s[8:9]
; %bb.123:                              ;   in Loop: Header=BB66_65 Depth=1
	v_bfe_u32 v3, v20, 20, 1
	v_add3_u32 v3, v20, v3, s24
	v_lshrrev_b32_e32 v3, 20, v3
; %bb.124:                              ;   in Loop: Header=BB66_65 Depth=1
	s_andn2_saveexec_b64 s[8:9], s[8:9]
; %bb.125:                              ;   in Loop: Header=BB66_65 Depth=1
	v_add_f32_e64 v3, |v20|, s25
; %bb.126:                              ;   in Loop: Header=BB66_65 Depth=1
	s_or_b64 exec, exec, s[8:9]
.LBB66_127:                             ;   in Loop: Header=BB66_65 Depth=1
	s_or_b64 exec, exec, s[6:7]
	v_mul_f32_e32 v21, v37, v21
	v_bfe_u32 v22, v21, 16, 1
	v_add3_u32 v22, v21, v22, s21
	v_and_b32_e32 v22, 0xffff0000, v22
	v_cmp_o_f32_e32 vcc, v21, v21
	v_alignbit_b32 v6, v7, v6, 16
	v_cndmask_b32_e32 v21, v15, v22, vcc
	v_and_b32_e32 v6, 0xffff0000, v6
	v_mul_f32_e32 v6, v21, v6
	v_bfe_u32 v21, v6, 16, 1
	v_add3_u32 v21, v6, v21, s21
	v_and_b32_e32 v21, 0xffff0000, v21
	v_cmp_o_f32_e32 vcc, v6, v6
	v_cndmask_b32_e32 v6, v15, v21, vcc
	v_div_scale_f32 v21, s[6:7], v18, v18, v6
	v_rcp_f32_e32 v22, v21
	v_fma_f32 v23, -v21, v22, 1.0
	v_fmac_f32_e32 v22, v23, v22
	v_div_scale_f32 v23, vcc, v6, v18, v6
	v_mul_f32_e32 v24, v23, v22
	v_fma_f32 v25, -v21, v24, v23
	v_fmac_f32_e32 v24, v25, v22
	v_fma_f32 v21, -v21, v24, v23
	v_div_fmas_f32 v21, v21, v22, v24
	v_div_fixup_f32 v6, v21, v18, v6
	v_min_f32_e32 v6, 0x43e00000, v6
	v_max_f32_e32 v22, 0xc3e00000, v6
	v_and_b32_e32 v23, 0x7fffffff, v22
	v_cmp_gt_u32_e32 vcc, s22, v23
	v_mov_b32_e32 v21, 0x7f
	v_mov_b32_e32 v6, 0x7f
	s_and_saveexec_b64 s[6:7], vcc
	s_cbranch_execz .LBB66_133
; %bb.128:                              ;   in Loop: Header=BB66_65 Depth=1
	v_cmp_lt_u32_e32 vcc, s23, v23
                                        ; implicit-def: $vgpr6
	s_and_saveexec_b64 s[8:9], vcc
	s_xor_b64 s[8:9], exec, s[8:9]
; %bb.129:                              ;   in Loop: Header=BB66_65 Depth=1
	v_bfe_u32 v6, v22, 20, 1
	v_add3_u32 v6, v22, v6, s24
	v_lshrrev_b32_e32 v6, 20, v6
; %bb.130:                              ;   in Loop: Header=BB66_65 Depth=1
	s_andn2_saveexec_b64 s[8:9], s[8:9]
; %bb.131:                              ;   in Loop: Header=BB66_65 Depth=1
	v_add_f32_e64 v6, |v22|, s25
; %bb.132:                              ;   in Loop: Header=BB66_65 Depth=1
	s_or_b64 exec, exec, s[8:9]
.LBB66_133:                             ;   in Loop: Header=BB66_65 Depth=1
	s_or_b64 exec, exec, s[6:7]
	v_mul_f32_e32 v19, v37, v19
	v_bfe_u32 v23, v19, 16, 1
	v_add3_u32 v23, v19, v23, s21
	v_and_b32_e32 v23, 0xffff0000, v23
	v_cmp_o_f32_e32 vcc, v19, v19
	v_cndmask_b32_e32 v19, v15, v23, vcc
	v_and_b32_e32 v7, 0xffff0000, v7
	v_mul_f32_e32 v7, v19, v7
	v_bfe_u32 v19, v7, 16, 1
	v_add3_u32 v19, v7, v19, s21
	v_and_b32_e32 v19, 0xffff0000, v19
	v_cmp_o_f32_e32 vcc, v7, v7
	v_cndmask_b32_e32 v7, v15, v19, vcc
	v_div_scale_f32 v19, s[6:7], v18, v18, v7
	v_rcp_f32_e32 v23, v19
	v_fma_f32 v24, -v19, v23, 1.0
	v_fmac_f32_e32 v23, v24, v23
	v_div_scale_f32 v24, vcc, v7, v18, v7
	v_mul_f32_e32 v25, v24, v23
	v_fma_f32 v26, -v19, v25, v24
	v_fmac_f32_e32 v25, v26, v23
	v_fma_f32 v19, -v19, v25, v24
	v_div_fmas_f32 v19, v19, v23, v25
	v_div_fixup_f32 v7, v19, v18, v7
	v_min_f32_e32 v7, 0x43e00000, v7
	v_max_f32_e32 v7, 0xc3e00000, v7
	v_and_b32_e32 v18, 0x7fffffff, v7
	v_cmp_gt_u32_e32 vcc, s22, v18
	s_and_saveexec_b64 s[6:7], vcc
	s_cbranch_execz .LBB66_139
; %bb.134:                              ;   in Loop: Header=BB66_65 Depth=1
	v_cmp_lt_u32_e32 vcc, s23, v18
                                        ; implicit-def: $vgpr21
	s_and_saveexec_b64 s[8:9], vcc
	s_xor_b64 s[8:9], exec, s[8:9]
; %bb.135:                              ;   in Loop: Header=BB66_65 Depth=1
	v_bfe_u32 v18, v7, 20, 1
	v_add3_u32 v18, v7, v18, s24
	v_lshrrev_b32_e32 v21, 20, v18
; %bb.136:                              ;   in Loop: Header=BB66_65 Depth=1
	s_andn2_saveexec_b64 s[8:9], s[8:9]
; %bb.137:                              ;   in Loop: Header=BB66_65 Depth=1
	v_add_f32_e64 v21, |v7|, s25
; %bb.138:                              ;   in Loop: Header=BB66_65 Depth=1
	s_or_b64 exec, exec, s[8:9]
.LBB66_139:                             ;   in Loop: Header=BB66_65 Depth=1
	s_or_b64 exec, exec, s[6:7]
	v_and_b32_sdwa v18, v22, s26 dst_sel:DWORD dst_unused:UNUSED_PAD src0_sel:BYTE_3 src1_sel:DWORD
	v_lshlrev_b64 v[4:5], 2, v[4:5]
	v_and_b32_sdwa v19, v20, s26 dst_sel:DWORD dst_unused:UNUSED_PAD src0_sel:BYTE_3 src1_sel:DWORD
	v_mov_b32_e32 v20, s16
	v_add_co_u32_e32 v4, vcc, s11, v4
	v_and_or_b32 v6, v6, s27, v18
	v_addc_co_u32_e32 v5, vcc, v20, v5, vcc
	v_lshlrev_b32_e32 v20, 24, v21
	v_and_b32_e32 v7, 0x80000000, v7
	v_lshlrev_b32_e32 v6, 16, v6
	v_lshrrev_b32_e32 v9, 24, v9
	v_or3_b32 v6, v7, v20, v6
	v_and_or_b32 v3, v3, s27, v19
	v_and_b32_e32 v7, 0xff, v8
	v_lshlrev_b32_e32 v3, 8, v3
	v_and_or_b32 v7, v9, s26, v7
	v_add_u32_e32 v0, s17, v0
	v_or3_b32 v3, v6, v3, v7
	v_cmp_gt_u32_e32 vcc, s10, v0
	s_mov_b64 s[8:9], -1
	global_store_dword v[4:5], v3, off
	s_and_saveexec_b64 s[6:7], vcc
	s_cbranch_execz .LBB66_62
; %bb.140:                              ;   in Loop: Header=BB66_65 Depth=1
	v_lshlrev_b64 v[4:5], 3, v[0:1]
	v_mov_b32_e32 v3, s46
	v_add_co_u32_e32 v6, vcc, s33, v4
	v_addc_co_u32_e32 v7, vcc, v3, v5, vcc
	global_load_dwordx2 v[18:19], v[6:7], off
	v_mov_b32_e32 v7, s48
	v_add_co_u32_e32 v6, vcc, s47, v4
	v_addc_co_u32_e32 v7, vcc, v7, v5, vcc
	global_load_dwordx2 v[20:21], v[6:7], off
	v_mov_b32_e32 v3, s19
	v_add_co_u32_e32 v4, vcc, s18, v4
	v_addc_co_u32_e32 v5, vcc, v3, v5, vcc
	v_bfe_u32 v3, v0, 5, 25
	v_mad_u64_u32 v[8:9], s[8:9], v10, v3, 0
	global_load_dwordx2 v[4:5], v[4:5], off
	v_mov_b32_e32 v22, v9
	v_mad_u64_u32 v[22:23], s[8:9], v11, v3, v[22:23]
	v_mov_b32_e32 v9, v22
	v_lshlrev_b64 v[8:9], 2, v[8:9]
	v_mov_b32_e32 v24, s15
	v_add_co_u32_e32 v8, vcc, s14, v8
	v_addc_co_u32_e32 v9, vcc, v24, v9, vcc
	global_load_dword v8, v[8:9], off
	v_mov_b32_e32 v3, 0x7f
	s_waitcnt vmcnt(3)
	v_and_b32_e32 v9, 0xffff0000, v18
	v_lshlrev_b32_e32 v22, 16, v18
	v_alignbit_b32 v18, v19, v18, 16
	v_and_b32_e32 v19, 0xffff0000, v19
	v_and_b32_e32 v26, 0xffff0000, v18
	s_waitcnt vmcnt(2)
	v_and_b32_e32 v23, 0xffff0000, v20
	v_lshlrev_b32_e32 v24, 16, v20
	v_alignbit_b32 v20, v21, v20, 16
	v_and_b32_e32 v21, 0xffff0000, v21
	v_add_f32_e32 v18, v9, v23
	v_add_f32_e32 v9, v19, v21
	v_bfe_u32 v23, v9, 16, 1
	v_add_f32_e32 v22, v22, v24
	v_and_b32_e32 v20, 0xffff0000, v20
	v_bfe_u32 v21, v18, 16, 1
	v_add3_u32 v23, v9, v23, s21
	v_add_f32_e32 v19, v26, v20
	v_bfe_u32 v20, v22, 16, 1
	v_add3_u32 v21, v18, v21, s21
	v_and_b32_e32 v23, 0xffff0000, v23
	v_cmp_o_f32_e32 vcc, v9, v9
	v_mul_f32_e32 v24, v37, v22
	v_add3_u32 v20, v22, v20, s21
	v_bfe_u32 v26, v19, 16, 1
	v_and_b32_e32 v21, 0xffff0000, v21
	v_cndmask_b32_e32 v23, v15, v23, vcc
	v_cmp_o_f32_e32 vcc, v18, v18
	v_bfe_u32 v27, v24, 16, 1
	v_lshrrev_b32_e32 v20, 16, v20
	v_add3_u32 v26, v19, v26, s21
	v_cndmask_b32_e32 v21, v15, v21, vcc
	v_cmp_o_f32_e32 vcc, v22, v22
	v_add3_u32 v27, v24, v27, s21
	v_lshrrev_b32_e32 v26, 16, v26
	v_cndmask_b32_e32 v20, v16, v20, vcc
	v_cmp_o_f32_e32 vcc, v19, v19
	v_and_b32_e32 v22, 0xffff0000, v27
	v_cndmask_b32_e32 v26, v16, v26, vcc
	v_cmp_o_f32_e32 vcc, v24, v24
	s_waitcnt vmcnt(1)
	v_lshlrev_b32_e32 v25, 16, v4
	v_cndmask_b32_e32 v22, v15, v22, vcc
	v_mul_f32_e32 v22, v22, v25
	v_or_b32_e32 v20, v20, v21
	v_or3_b32 v21, 0, v26, v23
	v_bfe_u32 v23, v22, 16, 1
	v_add3_u32 v23, v22, v23, s21
	v_and_b32_e32 v23, 0xffff0000, v23
	v_cmp_o_f32_e32 vcc, v22, v22
	v_cndmask_b32_e32 v22, v15, v23, vcc
	s_waitcnt vmcnt(0)
	v_div_scale_f32 v23, s[8:9], v8, v8, v22
	v_rcp_f32_e32 v24, v23
	v_or3_b32 v20, v20, 0, 0
	global_store_dwordx2 v[6:7], v[20:21], off
	v_div_scale_f32 v6, vcc, v22, v8, v22
	v_fma_f32 v7, -v23, v24, 1.0
	v_fmac_f32_e32 v24, v7, v24
	v_mul_f32_e32 v7, v6, v24
	v_fma_f32 v20, -v23, v7, v6
	v_fmac_f32_e32 v7, v20, v24
	v_fma_f32 v6, -v23, v7, v6
	v_div_fmas_f32 v6, v6, v24, v7
	v_div_fixup_f32 v6, v6, v8, v22
	v_min_f32_e32 v6, 0x43e00000, v6
	v_max_f32_e32 v7, 0xc3e00000, v6
	v_and_b32_e32 v20, 0x7fffffff, v7
	v_cmp_gt_u32_e32 vcc, s22, v20
	v_mov_b32_e32 v6, 0x7f
	s_and_saveexec_b64 s[8:9], vcc
	s_cbranch_execz .LBB66_146
; %bb.141:                              ;   in Loop: Header=BB66_65 Depth=1
	v_cmp_lt_u32_e32 vcc, s23, v20
                                        ; implicit-def: $vgpr6
	s_and_saveexec_b64 s[12:13], vcc
	s_xor_b64 s[12:13], exec, s[12:13]
; %bb.142:                              ;   in Loop: Header=BB66_65 Depth=1
	v_bfe_u32 v6, v7, 20, 1
	v_add3_u32 v6, v7, v6, s24
	v_lshrrev_b32_e32 v6, 20, v6
; %bb.143:                              ;   in Loop: Header=BB66_65 Depth=1
	s_andn2_saveexec_b64 s[12:13], s[12:13]
; %bb.144:                              ;   in Loop: Header=BB66_65 Depth=1
	v_add_f32_e64 v6, |v7|, s25
; %bb.145:                              ;   in Loop: Header=BB66_65 Depth=1
	s_or_b64 exec, exec, s[12:13]
.LBB66_146:                             ;   in Loop: Header=BB66_65 Depth=1
	s_or_b64 exec, exec, s[8:9]
	v_mul_f32_e32 v18, v37, v18
	v_bfe_u32 v21, v18, 16, 1
	v_add3_u32 v21, v18, v21, s21
	v_and_b32_e32 v21, 0xffff0000, v21
	v_cmp_o_f32_e32 vcc, v18, v18
	v_and_b32_e32 v20, 0xffff0000, v4
	v_cndmask_b32_e32 v18, v15, v21, vcc
	v_mul_f32_e32 v18, v18, v20
	v_bfe_u32 v20, v18, 16, 1
	v_add3_u32 v20, v18, v20, s21
	v_and_b32_e32 v20, 0xffff0000, v20
	v_cmp_o_f32_e32 vcc, v18, v18
	v_cndmask_b32_e32 v18, v15, v20, vcc
	v_div_scale_f32 v20, s[8:9], v8, v8, v18
	v_rcp_f32_e32 v21, v20
	v_fma_f32 v22, -v20, v21, 1.0
	v_fmac_f32_e32 v21, v22, v21
	v_div_scale_f32 v22, vcc, v18, v8, v18
	v_mul_f32_e32 v23, v22, v21
	v_fma_f32 v24, -v20, v23, v22
	v_fmac_f32_e32 v23, v24, v21
	v_fma_f32 v20, -v20, v23, v22
	v_div_fmas_f32 v20, v20, v21, v23
	v_div_fixup_f32 v18, v20, v8, v18
	v_min_f32_e32 v18, 0x43e00000, v18
	v_max_f32_e32 v18, 0xc3e00000, v18
	v_and_b32_e32 v20, 0x7fffffff, v18
	v_cmp_gt_u32_e32 vcc, s22, v20
	s_and_saveexec_b64 s[8:9], vcc
	s_cbranch_execz .LBB66_152
; %bb.147:                              ;   in Loop: Header=BB66_65 Depth=1
	v_cmp_lt_u32_e32 vcc, s23, v20
                                        ; implicit-def: $vgpr3
	s_and_saveexec_b64 s[12:13], vcc
	s_xor_b64 s[12:13], exec, s[12:13]
; %bb.148:                              ;   in Loop: Header=BB66_65 Depth=1
	v_bfe_u32 v3, v18, 20, 1
	v_add3_u32 v3, v18, v3, s24
	v_lshrrev_b32_e32 v3, 20, v3
; %bb.149:                              ;   in Loop: Header=BB66_65 Depth=1
	s_andn2_saveexec_b64 s[12:13], s[12:13]
; %bb.150:                              ;   in Loop: Header=BB66_65 Depth=1
	v_add_f32_e64 v3, |v18|, s25
; %bb.151:                              ;   in Loop: Header=BB66_65 Depth=1
	s_or_b64 exec, exec, s[12:13]
.LBB66_152:                             ;   in Loop: Header=BB66_65 Depth=1
	s_or_b64 exec, exec, s[8:9]
	v_mul_f32_e32 v19, v37, v19
	v_bfe_u32 v20, v19, 16, 1
	v_add3_u32 v20, v19, v20, s21
	v_and_b32_e32 v20, 0xffff0000, v20
	v_cmp_o_f32_e32 vcc, v19, v19
	v_alignbit_b32 v4, v5, v4, 16
	v_cndmask_b32_e32 v19, v15, v20, vcc
	v_and_b32_e32 v4, 0xffff0000, v4
	v_mul_f32_e32 v4, v19, v4
	v_bfe_u32 v19, v4, 16, 1
	v_add3_u32 v19, v4, v19, s21
	v_and_b32_e32 v19, 0xffff0000, v19
	v_cmp_o_f32_e32 vcc, v4, v4
	v_cndmask_b32_e32 v4, v15, v19, vcc
	v_div_scale_f32 v19, s[8:9], v8, v8, v4
	v_rcp_f32_e32 v20, v19
	v_fma_f32 v21, -v19, v20, 1.0
	v_fmac_f32_e32 v20, v21, v20
	v_div_scale_f32 v21, vcc, v4, v8, v4
	v_mul_f32_e32 v22, v21, v20
	v_fma_f32 v23, -v19, v22, v21
	v_fmac_f32_e32 v22, v23, v20
	v_fma_f32 v19, -v19, v22, v21
	v_div_fmas_f32 v19, v19, v20, v22
	v_div_fixup_f32 v4, v19, v8, v4
	v_min_f32_e32 v4, 0x43e00000, v4
	v_max_f32_e32 v20, 0xc3e00000, v4
	v_and_b32_e32 v21, 0x7fffffff, v20
	v_cmp_gt_u32_e32 vcc, s22, v21
	v_mov_b32_e32 v19, 0x7f
	v_mov_b32_e32 v4, 0x7f
	s_and_saveexec_b64 s[8:9], vcc
	s_cbranch_execz .LBB66_158
; %bb.153:                              ;   in Loop: Header=BB66_65 Depth=1
	v_cmp_lt_u32_e32 vcc, s23, v21
                                        ; implicit-def: $vgpr4
	s_and_saveexec_b64 s[12:13], vcc
	s_xor_b64 s[12:13], exec, s[12:13]
; %bb.154:                              ;   in Loop: Header=BB66_65 Depth=1
	v_bfe_u32 v4, v20, 20, 1
	v_add3_u32 v4, v20, v4, s24
	v_lshrrev_b32_e32 v4, 20, v4
; %bb.155:                              ;   in Loop: Header=BB66_65 Depth=1
	s_andn2_saveexec_b64 s[12:13], s[12:13]
; %bb.156:                              ;   in Loop: Header=BB66_65 Depth=1
	v_add_f32_e64 v4, |v20|, s25
; %bb.157:                              ;   in Loop: Header=BB66_65 Depth=1
	s_or_b64 exec, exec, s[12:13]
.LBB66_158:                             ;   in Loop: Header=BB66_65 Depth=1
	s_or_b64 exec, exec, s[8:9]
	v_mul_f32_e32 v9, v37, v9
	v_bfe_u32 v21, v9, 16, 1
	v_add3_u32 v21, v9, v21, s21
	v_and_b32_e32 v21, 0xffff0000, v21
	v_cmp_o_f32_e32 vcc, v9, v9
	v_cndmask_b32_e32 v9, v15, v21, vcc
	v_and_b32_e32 v5, 0xffff0000, v5
	v_mul_f32_e32 v5, v9, v5
	v_bfe_u32 v9, v5, 16, 1
	v_add3_u32 v9, v5, v9, s21
	v_and_b32_e32 v9, 0xffff0000, v9
	v_cmp_o_f32_e32 vcc, v5, v5
	v_cndmask_b32_e32 v5, v15, v9, vcc
	v_div_scale_f32 v9, s[8:9], v8, v8, v5
	v_rcp_f32_e32 v21, v9
	v_fma_f32 v22, -v9, v21, 1.0
	v_fmac_f32_e32 v21, v22, v21
	v_div_scale_f32 v22, vcc, v5, v8, v5
	v_mul_f32_e32 v23, v22, v21
	v_fma_f32 v24, -v9, v23, v22
	v_fmac_f32_e32 v23, v24, v21
	v_fma_f32 v9, -v9, v23, v22
	v_div_fmas_f32 v9, v9, v21, v23
	v_div_fixup_f32 v5, v9, v8, v5
	v_min_f32_e32 v5, 0x43e00000, v5
	v_max_f32_e32 v5, 0xc3e00000, v5
	v_and_b32_e32 v8, 0x7fffffff, v5
	v_cmp_gt_u32_e32 vcc, s22, v8
	s_and_saveexec_b64 s[8:9], vcc
	s_cbranch_execz .LBB66_61
; %bb.159:                              ;   in Loop: Header=BB66_65 Depth=1
	v_cmp_lt_u32_e32 vcc, s23, v8
                                        ; implicit-def: $vgpr19
	s_and_saveexec_b64 s[12:13], vcc
	s_xor_b64 s[12:13], exec, s[12:13]
; %bb.160:                              ;   in Loop: Header=BB66_65 Depth=1
	v_bfe_u32 v8, v5, 20, 1
	v_add3_u32 v8, v5, v8, s24
	v_lshrrev_b32_e32 v19, 20, v8
; %bb.161:                              ;   in Loop: Header=BB66_65 Depth=1
	s_andn2_saveexec_b64 s[12:13], s[12:13]
	s_cbranch_execz .LBB66_60
; %bb.162:                              ;   in Loop: Header=BB66_65 Depth=1
	v_add_f32_e64 v19, |v5|, s25
	s_branch .LBB66_60
.LBB66_163:
	s_endpgm
.LBB66_164:
                                        ; implicit-def: $vgpr4_vgpr5
	s_andn2_b64 vcc, exec, s[24:25]
	s_cbranch_vccz .LBB66_53
	s_branch .LBB66_54
.LBB66_165:
                                        ; implicit-def: $vgpr2_vgpr3
	s_andn2_b64 vcc, exec, s[16:17]
	s_cbranch_vccz .LBB66_58
	s_branch .LBB66_59
	.section	.rodata,"a",@progbits
	.p2align	6, 0x0
	.amdhsa_kernel _ZN4vllm31rms_norm_per_block_quant_kernelIN3c108BFloat16ENS1_13Float8_e4m3fnELb1ELb1ELi128EEEvPT0_PfPKT_S9_PKffiiPS7_l
		.amdhsa_group_segment_fixed_size 4164
		.amdhsa_private_segment_fixed_size 0
		.amdhsa_kernarg_size 328
		.amdhsa_user_sgpr_count 6
		.amdhsa_user_sgpr_private_segment_buffer 1
		.amdhsa_user_sgpr_dispatch_ptr 0
		.amdhsa_user_sgpr_queue_ptr 0
		.amdhsa_user_sgpr_kernarg_segment_ptr 1
		.amdhsa_user_sgpr_dispatch_id 0
		.amdhsa_user_sgpr_flat_scratch_init 0
		.amdhsa_user_sgpr_kernarg_preload_length 0
		.amdhsa_user_sgpr_kernarg_preload_offset 0
		.amdhsa_user_sgpr_private_segment_size 0
		.amdhsa_uses_dynamic_stack 0
		.amdhsa_system_sgpr_private_segment_wavefront_offset 0
		.amdhsa_system_sgpr_workgroup_id_x 1
		.amdhsa_system_sgpr_workgroup_id_y 0
		.amdhsa_system_sgpr_workgroup_id_z 0
		.amdhsa_system_sgpr_workgroup_info 0
		.amdhsa_system_vgpr_workitem_id 0
		.amdhsa_next_free_vgpr 55
		.amdhsa_next_free_sgpr 50
		.amdhsa_accum_offset 56
		.amdhsa_reserve_vcc 1
		.amdhsa_reserve_flat_scratch 0
		.amdhsa_float_round_mode_32 0
		.amdhsa_float_round_mode_16_64 0
		.amdhsa_float_denorm_mode_32 3
		.amdhsa_float_denorm_mode_16_64 3
		.amdhsa_dx10_clamp 1
		.amdhsa_ieee_mode 1
		.amdhsa_fp16_overflow 0
		.amdhsa_tg_split 0
		.amdhsa_exception_fp_ieee_invalid_op 0
		.amdhsa_exception_fp_denorm_src 0
		.amdhsa_exception_fp_ieee_div_zero 0
		.amdhsa_exception_fp_ieee_overflow 0
		.amdhsa_exception_fp_ieee_underflow 0
		.amdhsa_exception_fp_ieee_inexact 0
		.amdhsa_exception_int_div_zero 0
	.end_amdhsa_kernel
	.section	.text._ZN4vllm31rms_norm_per_block_quant_kernelIN3c108BFloat16ENS1_13Float8_e4m3fnELb1ELb1ELi128EEEvPT0_PfPKT_S9_PKffiiPS7_l,"axG",@progbits,_ZN4vllm31rms_norm_per_block_quant_kernelIN3c108BFloat16ENS1_13Float8_e4m3fnELb1ELb1ELi128EEEvPT0_PfPKT_S9_PKffiiPS7_l,comdat
.Lfunc_end66:
	.size	_ZN4vllm31rms_norm_per_block_quant_kernelIN3c108BFloat16ENS1_13Float8_e4m3fnELb1ELb1ELi128EEEvPT0_PfPKT_S9_PKffiiPS7_l, .Lfunc_end66-_ZN4vllm31rms_norm_per_block_quant_kernelIN3c108BFloat16ENS1_13Float8_e4m3fnELb1ELb1ELi128EEEvPT0_PfPKT_S9_PKffiiPS7_l
                                        ; -- End function
	.section	.AMDGPU.csdata,"",@progbits
; Kernel info:
; codeLenInByte = 14048
; NumSgprs: 54
; NumVgprs: 55
; NumAgprs: 0
; TotalNumVgprs: 55
; ScratchSize: 0
; MemoryBound: 0
; FloatMode: 240
; IeeeMode: 1
; LDSByteSize: 4164 bytes/workgroup (compile time only)
; SGPRBlocks: 6
; VGPRBlocks: 6
; NumSGPRsForWavesPerEU: 54
; NumVGPRsForWavesPerEU: 55
; AccumOffset: 56
; Occupancy: 8
; WaveLimiterHint : 0
; COMPUTE_PGM_RSRC2:SCRATCH_EN: 0
; COMPUTE_PGM_RSRC2:USER_SGPR: 6
; COMPUTE_PGM_RSRC2:TRAP_HANDLER: 0
; COMPUTE_PGM_RSRC2:TGID_X_EN: 1
; COMPUTE_PGM_RSRC2:TGID_Y_EN: 0
; COMPUTE_PGM_RSRC2:TGID_Z_EN: 0
; COMPUTE_PGM_RSRC2:TIDIG_COMP_CNT: 0
; COMPUTE_PGM_RSRC3_GFX90A:ACCUM_OFFSET: 13
; COMPUTE_PGM_RSRC3_GFX90A:TG_SPLIT: 0
	.section	.text._ZN4vllm31rms_norm_per_block_quant_kernelIN3c108BFloat16ENS1_15Float8_e4m3fnuzELb1ELb1ELi128EEEvPT0_PfPKT_S9_PKffiiPS7_l,"axG",@progbits,_ZN4vllm31rms_norm_per_block_quant_kernelIN3c108BFloat16ENS1_15Float8_e4m3fnuzELb1ELb1ELi128EEEvPT0_PfPKT_S9_PKffiiPS7_l,comdat
	.protected	_ZN4vllm31rms_norm_per_block_quant_kernelIN3c108BFloat16ENS1_15Float8_e4m3fnuzELb1ELb1ELi128EEEvPT0_PfPKT_S9_PKffiiPS7_l ; -- Begin function _ZN4vllm31rms_norm_per_block_quant_kernelIN3c108BFloat16ENS1_15Float8_e4m3fnuzELb1ELb1ELi128EEEvPT0_PfPKT_S9_PKffiiPS7_l
	.globl	_ZN4vllm31rms_norm_per_block_quant_kernelIN3c108BFloat16ENS1_15Float8_e4m3fnuzELb1ELb1ELi128EEEvPT0_PfPKT_S9_PKffiiPS7_l
	.p2align	8
	.type	_ZN4vllm31rms_norm_per_block_quant_kernelIN3c108BFloat16ENS1_15Float8_e4m3fnuzELb1ELb1ELi128EEEvPT0_PfPKT_S9_PKffiiPS7_l,@function
_ZN4vllm31rms_norm_per_block_quant_kernelIN3c108BFloat16ENS1_15Float8_e4m3fnuzELb1ELb1ELi128EEEvPT0_PfPKT_S9_PKffiiPS7_l: ; @_ZN4vllm31rms_norm_per_block_quant_kernelIN3c108BFloat16ENS1_15Float8_e4m3fnuzELb1ELb1ELi128EEEvPT0_PfPKT_S9_PKffiiPS7_l
; %bb.0:
	s_load_dwordx4 s[8:11], s[4:5], 0x28
	s_load_dwordx8 s[12:19], s[4:5], 0x0
	s_load_dwordx2 s[34:35], s[4:5], 0x38
	s_load_dword s49, s[4:5], 0x48
	s_mov_b32 s7, 0
	s_waitcnt lgkmcnt(0)
	s_ashr_i32 s0, s10, 31
	s_mul_hi_u32 s1, s10, s6
	s_mul_i32 s0, s0, s6
	s_ashr_i32 s23, s9, 31
	s_add_i32 s1, s1, s0
	s_mul_i32 s0, s10, s6
	s_mul_hi_u32 s2, s9, s6
	s_mul_i32 s3, s23, s6
	s_add_i32 s21, s2, s3
	s_lshl_b64 s[30:31], s[0:1], 1
	s_mul_i32 s20, s9, s6
	s_add_u32 s33, s16, s30
	s_addc_u32 s46, s17, s31
	s_lshl_b64 s[36:37], s[20:21], 1
	s_add_u32 s47, s34, s36
	s_addc_u32 s48, s35, s37
	s_ashr_i32 s10, s9, 2
	s_add_u32 s26, s4, 0x48
	s_mov_b32 s22, s9
	v_cmp_gt_u32_e64 s[0:1], s10, v0
	s_addc_u32 s27, s5, 0
	v_mov_b32_e32 v1, 0
	s_and_saveexec_b64 s[2:3], s[0:1]
	s_cbranch_execz .LBB67_10
; %bb.1:
	s_cmp_lt_u32 s6, s49
	s_cselect_b32 s9, 12, 18
	s_add_u32 s24, s26, s9
	s_addc_u32 s25, s27, 0
	v_mov_b32_e32 v3, 0
	global_load_ushort v8, v3, s[24:25]
	s_mov_b64 s[24:25], 0
	v_mov_b32_e32 v9, s46
	v_mov_b32_e32 v10, s48
	;; [unrolled: 1-line block ×3, first 2 shown]
                                        ; implicit-def: $sgpr28_sgpr29
	s_waitcnt vmcnt(0)
	v_add_u32_e32 v1, v8, v8
	v_mul_lo_u32 v11, v8, 3
	v_lshlrev_b32_e32 v12, 1, v8
	v_add_u32_e32 v13, v1, v8
	v_mov_b32_e32 v1, v3
	s_branch .LBB67_5
.LBB67_2:                               ;   in Loop: Header=BB67_5 Depth=1
	s_or_b64 exec, exec, s[42:43]
	s_orn2_b64 s[42:43], s[44:45], exec
.LBB67_3:                               ;   in Loop: Header=BB67_5 Depth=1
	s_or_b64 exec, exec, s[40:41]
	s_andn2_b64 s[28:29], s[28:29], exec
	s_and_b64 s[40:41], s[42:43], exec
	s_or_b64 s[28:29], s[28:29], s[40:41]
.LBB67_4:                               ;   in Loop: Header=BB67_5 Depth=1
	s_or_b64 exec, exec, s[38:39]
	s_and_b64 s[38:39], exec, s[28:29]
	s_or_b64 s[24:25], s[38:39], s[24:25]
	s_andn2_b64 exec, exec, s[24:25]
	s_cbranch_execz .LBB67_9
.LBB67_5:                               ; =>This Inner Loop Header: Depth=1
	v_lshlrev_b64 v[4:5], 3, v[2:3]
	v_add_co_u32_e32 v6, vcc, s33, v4
	v_addc_co_u32_e32 v7, vcc, v9, v5, vcc
	v_add_co_u32_e32 v4, vcc, s47, v4
	v_addc_co_u32_e32 v5, vcc, v10, v5, vcc
	global_load_dwordx2 v[6:7], v[6:7], off
	s_or_b64 s[28:29], s[28:29], exec
	global_load_dwordx2 v[14:15], v[4:5], off
	v_add_u32_e32 v4, v2, v8
	v_cmp_gt_u32_e32 vcc, s10, v4
	s_waitcnt vmcnt(1)
	v_lshlrev_b32_e32 v16, 16, v6
	v_and_b32_e32 v5, 0xffff0000, v6
	s_waitcnt vmcnt(0)
	v_lshlrev_b32_e32 v18, 16, v14
	v_alignbit_b32 v6, v7, v6, 16
	v_and_b32_e32 v17, 0xffff0000, v14
	v_alignbit_b32 v14, v15, v14, 16
	v_add_f32_e32 v16, v16, v18
	v_and_b32_e32 v6, 0xffff0000, v6
	v_add_f32_e32 v5, v5, v17
	v_and_b32_e32 v14, 0xffff0000, v14
	v_fmac_f32_e32 v1, v16, v16
	v_and_b32_e32 v7, 0xffff0000, v7
	v_and_b32_e32 v15, 0xffff0000, v15
	v_add_f32_e32 v6, v6, v14
	v_fmac_f32_e32 v1, v5, v5
	v_add_f32_e32 v7, v7, v15
	v_fmac_f32_e32 v1, v6, v6
	v_fmac_f32_e32 v1, v7, v7
	s_and_saveexec_b64 s[38:39], vcc
	s_cbranch_execz .LBB67_4
; %bb.6:                                ;   in Loop: Header=BB67_5 Depth=1
	v_mov_b32_e32 v5, v3
	v_lshlrev_b64 v[6:7], 3, v[4:5]
	v_add_co_u32_e32 v14, vcc, s33, v6
	v_addc_co_u32_e32 v15, vcc, v9, v7, vcc
	v_add_co_u32_e32 v6, vcc, s47, v6
	v_addc_co_u32_e32 v7, vcc, v10, v7, vcc
	global_load_dwordx2 v[14:15], v[14:15], off
	s_mov_b64 s[42:43], -1
	global_load_dwordx2 v[16:17], v[6:7], off
	v_add_u32_e32 v6, v12, v2
	v_cmp_gt_u32_e32 vcc, s10, v6
	s_waitcnt vmcnt(1)
	v_lshlrev_b32_e32 v7, 16, v14
	v_and_b32_e32 v5, 0xffff0000, v14
	s_waitcnt vmcnt(0)
	v_lshlrev_b32_e32 v19, 16, v16
	v_alignbit_b32 v14, v15, v14, 16
	v_and_b32_e32 v18, 0xffff0000, v16
	v_alignbit_b32 v16, v17, v16, 16
	v_add_f32_e32 v7, v7, v19
	v_and_b32_e32 v14, 0xffff0000, v14
	v_add_f32_e32 v5, v5, v18
	v_and_b32_e32 v16, 0xffff0000, v16
	v_fmac_f32_e32 v1, v7, v7
	v_and_b32_e32 v15, 0xffff0000, v15
	v_and_b32_e32 v17, 0xffff0000, v17
	v_add_f32_e32 v14, v14, v16
	v_fmac_f32_e32 v1, v5, v5
	v_add_f32_e32 v15, v15, v17
	v_fmac_f32_e32 v1, v14, v14
	v_fmac_f32_e32 v1, v15, v15
	s_and_saveexec_b64 s[40:41], vcc
	s_cbranch_execz .LBB67_3
; %bb.7:                                ;   in Loop: Header=BB67_5 Depth=1
	v_mov_b32_e32 v7, v3
	v_lshlrev_b64 v[6:7], 3, v[6:7]
	v_add_co_u32_e32 v14, vcc, s33, v6
	v_addc_co_u32_e32 v15, vcc, v9, v7, vcc
	v_add_co_u32_e32 v6, vcc, s47, v6
	v_addc_co_u32_e32 v7, vcc, v10, v7, vcc
	global_load_dwordx2 v[14:15], v[14:15], off
	v_add_u32_e32 v2, v11, v2
	global_load_dwordx2 v[6:7], v[6:7], off
	v_cmp_gt_u32_e32 vcc, s10, v2
	s_mov_b64 s[44:45], -1
	s_waitcnt vmcnt(1)
	v_lshlrev_b32_e32 v16, 16, v14
	v_and_b32_e32 v5, 0xffff0000, v14
	s_waitcnt vmcnt(0)
	v_lshlrev_b32_e32 v18, 16, v6
	v_alignbit_b32 v14, v15, v14, 16
	v_and_b32_e32 v17, 0xffff0000, v6
	v_alignbit_b32 v6, v7, v6, 16
	v_add_f32_e32 v16, v16, v18
	v_and_b32_e32 v14, 0xffff0000, v14
	v_add_f32_e32 v5, v5, v17
	v_and_b32_e32 v6, 0xffff0000, v6
	v_fmac_f32_e32 v1, v16, v16
	v_and_b32_e32 v15, 0xffff0000, v15
	v_and_b32_e32 v7, 0xffff0000, v7
	v_add_f32_e32 v6, v14, v6
	v_fmac_f32_e32 v1, v5, v5
	v_add_f32_e32 v7, v15, v7
	v_fmac_f32_e32 v1, v6, v6
	v_fmac_f32_e32 v1, v7, v7
	s_and_saveexec_b64 s[42:43], vcc
	s_xor_b64 s[42:43], exec, s[42:43]
	s_cbranch_execz .LBB67_2
; %bb.8:                                ;   in Loop: Header=BB67_5 Depth=1
	v_lshlrev_b64 v[6:7], 3, v[2:3]
	v_mov_b32_e32 v2, s46
	v_add_co_u32_e32 v14, vcc, s33, v6
	v_addc_co_u32_e32 v15, vcc, v2, v7, vcc
	v_mov_b32_e32 v2, s48
	v_add_co_u32_e32 v6, vcc, s47, v6
	v_addc_co_u32_e32 v7, vcc, v2, v7, vcc
	global_load_dwordx2 v[14:15], v[14:15], off
	v_add_u32_e32 v2, v13, v4
	global_load_dwordx2 v[6:7], v[6:7], off
	v_cmp_le_u32_e32 vcc, s10, v2
	s_orn2_b64 s[44:45], vcc, exec
	s_waitcnt vmcnt(1)
	v_lshlrev_b32_e32 v5, 16, v14
	v_and_b32_e32 v4, 0xffff0000, v14
	s_waitcnt vmcnt(0)
	v_lshlrev_b32_e32 v17, 16, v6
	v_alignbit_b32 v14, v15, v14, 16
	v_and_b32_e32 v16, 0xffff0000, v6
	v_alignbit_b32 v6, v7, v6, 16
	v_add_f32_e32 v5, v5, v17
	v_and_b32_e32 v14, 0xffff0000, v14
	v_add_f32_e32 v4, v4, v16
	v_and_b32_e32 v6, 0xffff0000, v6
	v_fmac_f32_e32 v1, v5, v5
	v_and_b32_e32 v15, 0xffff0000, v15
	v_and_b32_e32 v7, 0xffff0000, v7
	v_add_f32_e32 v6, v14, v6
	v_fmac_f32_e32 v1, v4, v4
	v_add_f32_e32 v7, v15, v7
	v_fmac_f32_e32 v1, v6, v6
	v_fmac_f32_e32 v1, v7, v7
	s_branch .LBB67_2
.LBB67_9:
	s_or_b64 exec, exec, s[24:25]
.LBB67_10:
	s_or_b64 exec, exec, s[2:3]
	v_mbcnt_lo_u32_b32 v2, -1, 0
	v_mbcnt_hi_u32_b32 v2, -1, v2
	v_and_b32_e32 v3, 63, v2
	v_cmp_ne_u32_e32 vcc, 63, v3
	s_load_dword s2, s[26:27], 0xc
	v_addc_co_u32_e32 v4, vcc, 0, v2, vcc
	v_lshlrev_b32_e32 v4, 2, v4
	ds_bpermute_b32 v4, v4, v1
	s_waitcnt lgkmcnt(0)
	s_and_b32 s9, s2, 0xffff
	v_and_b32_e32 v5, 0x3c0, v0
	v_sub_u32_e64 v5, s9, v5 clamp
	v_add_u32_e32 v6, 1, v2
	v_add_f32_e32 v4, v1, v4
	v_cmp_lt_u32_e32 vcc, v6, v5
	v_cndmask_b32_e32 v1, v1, v4, vcc
	v_cmp_gt_u32_e32 vcc, 62, v3
	v_cndmask_b32_e64 v4, 0, 1, vcc
	v_lshlrev_b32_e32 v4, 1, v4
	v_add_lshl_u32 v4, v4, v2, 2
	ds_bpermute_b32 v4, v4, v1
	v_add_u32_e32 v6, 2, v2
	v_cmp_lt_u32_e32 vcc, v6, v5
	v_add_u32_e32 v6, 4, v2
	s_waitcnt lgkmcnt(0)
	v_add_f32_e32 v4, v1, v4
	v_cndmask_b32_e32 v1, v1, v4, vcc
	v_cmp_gt_u32_e32 vcc, 60, v3
	v_cndmask_b32_e64 v4, 0, 1, vcc
	v_lshlrev_b32_e32 v4, 2, v4
	v_add_lshl_u32 v4, v4, v2, 2
	ds_bpermute_b32 v4, v4, v1
	v_cmp_lt_u32_e32 vcc, v6, v5
	v_add_u32_e32 v6, 8, v2
	s_waitcnt lgkmcnt(0)
	v_add_f32_e32 v4, v1, v4
	v_cndmask_b32_e32 v1, v1, v4, vcc
	v_cmp_gt_u32_e32 vcc, 56, v3
	v_cndmask_b32_e64 v4, 0, 1, vcc
	v_lshlrev_b32_e32 v4, 3, v4
	v_add_lshl_u32 v4, v4, v2, 2
	ds_bpermute_b32 v4, v4, v1
	;; [unrolled: 10-line block ×3, first 2 shown]
	v_cmp_lt_u32_e32 vcc, v6, v5
	s_waitcnt lgkmcnt(0)
	v_add_f32_e32 v4, v1, v4
	v_cndmask_b32_e32 v1, v1, v4, vcc
	v_cmp_gt_u32_e32 vcc, 32, v3
	v_cndmask_b32_e64 v3, 0, 1, vcc
	v_lshlrev_b32_e32 v3, 5, v3
	v_add_lshl_u32 v3, v3, v2, 2
	ds_bpermute_b32 v3, v3, v1
	v_add_u32_e32 v4, 32, v2
	v_cmp_lt_u32_e32 vcc, v4, v5
	s_waitcnt lgkmcnt(0)
	v_add_f32_e32 v3, v1, v3
	v_cndmask_b32_e32 v1, v1, v3, vcc
	v_cmp_eq_u32_e32 vcc, 0, v2
	s_and_saveexec_b64 s[2:3], vcc
	s_cbranch_execz .LBB67_12
; %bb.11:
	v_lshrrev_b32_e32 v3, 4, v0
	v_and_b32_e32 v3, 60, v3
	ds_write_b32 v3, v1 offset:4096
.LBB67_12:
	s_or_b64 exec, exec, s[2:3]
	v_cmp_gt_u32_e32 vcc, 16, v0
	s_waitcnt lgkmcnt(0)
	s_barrier
	s_and_saveexec_b64 s[24:25], vcc
	s_cbranch_execz .LBB67_14
; %bb.13:
	v_lshlrev_b32_e32 v1, 2, v2
	ds_read_b32 v1, v1 offset:4096
	v_and_b32_e32 v3, 15, v2
	v_cmp_ne_u32_e32 vcc, 15, v3
	v_addc_co_u32_e32 v4, vcc, 0, v2, vcc
	v_lshlrev_b32_e32 v4, 2, v4
	s_waitcnt lgkmcnt(0)
	ds_bpermute_b32 v4, v4, v1
	s_add_i32 s9, s9, 63
	s_lshr_b32 s9, s9, 6
	v_add_u32_e32 v5, 1, v3
	v_cmp_gt_u32_e64 s[2:3], 14, v3
	v_cmp_gt_u32_e32 vcc, s9, v5
	v_cndmask_b32_e64 v5, 0, 1, s[2:3]
	s_waitcnt lgkmcnt(0)
	v_add_f32_e32 v4, v1, v4
	v_lshlrev_b32_e32 v5, 1, v5
	v_cndmask_b32_e32 v4, v1, v4, vcc
	v_add_lshl_u32 v5, v5, v2, 2
	ds_bpermute_b32 v5, v5, v4
	v_add_u32_e32 v6, 2, v3
	v_cmp_gt_u32_e64 s[2:3], s9, v6
	v_add_u32_e32 v6, 4, v3
	s_waitcnt lgkmcnt(0)
	v_add_f32_e32 v5, v4, v5
	v_cndmask_b32_e64 v4, v4, v5, s[2:3]
	v_cmp_gt_u32_e64 s[2:3], 12, v3
	v_cndmask_b32_e64 v5, 0, 1, s[2:3]
	v_lshlrev_b32_e32 v5, 2, v5
	v_add_lshl_u32 v5, v5, v2, 2
	ds_bpermute_b32 v5, v5, v4
	v_cmp_gt_u32_e64 s[2:3], s9, v6
	s_waitcnt lgkmcnt(0)
	v_add_f32_e32 v5, v4, v5
	v_cndmask_b32_e64 v4, v4, v5, s[2:3]
	v_cmp_gt_u32_e64 s[2:3], 8, v3
	v_cndmask_b32_e64 v5, 0, 1, s[2:3]
	v_lshlrev_b32_e32 v5, 3, v5
	v_add_lshl_u32 v2, v5, v2, 2
	ds_bpermute_b32 v2, v2, v4
	v_add_u32_e32 v3, 8, v3
	v_cmp_gt_u32_e64 s[2:3], s9, v3
	s_waitcnt lgkmcnt(0)
	v_add_f32_e32 v2, v4, v2
	v_cndmask_b32_e64 v2, v4, v2, s[2:3]
	v_cndmask_b32_e32 v1, v1, v2, vcc
.LBB67_14:
	s_or_b64 exec, exec, s[24:25]
	v_cmp_eq_u32_e32 vcc, 0, v0
	s_and_saveexec_b64 s[2:3], vcc
	s_cbranch_execz .LBB67_16
; %bb.15:
	v_cvt_f32_i32_e32 v2, s22
	s_mov_b32 s9, 0x800000
	v_div_scale_f32 v3, s[24:25], v2, v2, v1
	v_rcp_f32_e32 v4, v3
	v_div_scale_f32 v5, vcc, v1, v2, v1
	v_fma_f32 v6, -v3, v4, 1.0
	v_fmac_f32_e32 v4, v6, v4
	v_mul_f32_e32 v6, v5, v4
	v_fma_f32 v7, -v3, v6, v5
	v_fmac_f32_e32 v6, v7, v4
	v_fma_f32 v3, -v3, v6, v5
	v_div_fmas_f32 v3, v3, v4, v6
	v_div_fixup_f32 v1, v3, v2, v1
	v_add_f32_e32 v1, s8, v1
	v_mul_f32_e32 v2, 0x4b800000, v1
	v_cmp_gt_f32_e32 vcc, s9, v1
	v_cndmask_b32_e32 v1, v1, v2, vcc
	v_rsq_f32_e32 v1, v1
	v_mul_f32_e32 v2, 0x45800000, v1
	v_cndmask_b32_e32 v1, v1, v2, vcc
	v_mov_b32_e32 v2, 0
	ds_write_b32 v2, v1 offset:4160
.LBB67_16:
	s_or_b64 exec, exec, s[2:3]
	s_ashr_i32 s2, s22, 31
	s_lshr_b32 s2, s2, 25
	s_add_i32 s8, s22, s2
	s_ashr_i32 s24, s8, 7
	s_cmp_lt_u32 s6, s49
	s_cselect_b32 s2, 12, 18
	s_add_u32 s2, s26, s2
	v_mov_b32_e32 v5, 0
	s_addc_u32 s3, s27, 0
	s_waitcnt lgkmcnt(0)
	s_barrier
	global_load_ushort v1, v5, s[2:3]
	ds_read_b32 v37, v5 offset:4160
	s_abs_i32 s2, s24
	v_cvt_f32_u32_e32 v2, s2
	s_ashr_i32 s3, s8, 31
	s_sub_i32 s8, 0, s2
	v_mov_b32_e32 v10, s10
	v_rcp_iflag_f32_e32 v2, v2
	v_mul_f32_e32 v2, 0x4f7ffffe, v2
	v_cvt_u32_f32_e32 v2, v2
	v_readfirstlane_b32 s9, v2
	s_mul_i32 s8, s8, s9
	s_mul_hi_u32 s8, s9, s8
	s_add_i32 s9, s9, s8
	s_waitcnt vmcnt(0)
	v_readfirstlane_b32 s44, v1
	s_mul_hi_u32 s8, s44, s9
	s_mul_i32 s9, s8, s2
	s_sub_i32 s9, s44, s9
	s_add_i32 s11, s8, 1
	s_sub_i32 s25, s9, s2
	s_cmp_ge_u32 s9, s2
	s_cselect_b32 s8, s11, s8
	s_cselect_b32 s9, s25, s9
	s_add_i32 s11, s8, 1
	s_cmp_ge_u32 s9, s2
	s_cselect_b32 s2, s11, s8
	s_xor_b32 s2, s2, s3
	s_sub_i32 s26, s2, s3
	s_abs_i32 s2, s26
	v_cvt_f32_u32_e32 v1, s2
	s_sub_i32 s3, 0, s2
	s_ashr_i32 s27, s26, 31
	s_ashr_i32 s11, s10, 31
	v_rcp_iflag_f32_e32 v1, v1
	v_mov_b32_e32 v11, s11
	v_mul_f32_e32 v1, 0x4f7ffffe, v1
	v_cvt_u32_f32_e32 v1, v1
	v_mul_lo_u32 v2, s3, v1
	v_mul_hi_u32 v2, v1, v2
	v_add_u32_e32 v1, v1, v2
	v_mul_hi_u32 v1, v0, v1
	v_mul_lo_u32 v2, v1, s2
	v_sub_u32_e32 v2, v0, v2
	v_add_u32_e32 v3, 1, v1
	v_cmp_le_u32_e32 vcc, s2, v2
	v_cndmask_b32_e32 v1, v1, v3, vcc
	v_subrev_u32_e32 v3, s2, v2
	v_cndmask_b32_e32 v2, v2, v3, vcc
	v_add_u32_e32 v3, 1, v1
	v_cmp_le_u32_e32 vcc, s2, v2
	v_cndmask_b32_e32 v1, v1, v3, vcc
	v_xor_b32_e32 v1, s27, v1
	v_subrev_u32_e32 v2, s27, v1
	v_mul_lo_u32 v1, v2, s26
	v_ashrrev_i32_e32 v3, 31, v2
	v_sub_u32_e32 v4, v0, v1
	v_lshlrev_b64 v[8:9], 5, v[2:3]
	v_add_co_u32_e32 v6, vcc, v8, v4
	v_addc_co_u32_e32 v7, vcc, 0, v9, vcc
	v_add_co_u32_e32 v8, vcc, 32, v8
	v_addc_co_u32_e32 v9, vcc, 0, v9, vcc
	v_cmp_gt_i64_e32 vcc, s[10:11], v[8:9]
	v_cndmask_b32_e32 v8, v10, v8, vcc
	v_cndmask_b32_e32 v9, v11, v9, vcc
	v_ashrrev_i32_e32 v11, 31, v8
	v_mov_b32_e32 v10, v8
	v_cmp_lt_i64_e32 vcc, v[6:7], v[10:11]
	s_and_saveexec_b64 s[28:29], vcc
	s_cbranch_execz .LBB67_26
; %bb.17:
	v_lshlrev_b64 v[30:31], 8, v[2:3]
	s_mul_i32 s25, s26, 24
	v_lshlrev_b64 v[12:13], 3, v[4:5]
	v_mov_b32_e32 v1, s31
	v_add_co_u32_e32 v5, vcc, s30, v30
	s_mul_hi_i32 s11, s26, 24
	s_add_u32 s2, s16, s25
	v_addc_co_u32_e32 v19, vcc, v1, v31, vcc
	s_addc_u32 s3, s17, s11
	v_mov_b32_e32 v1, s3
	v_add_co_u32_e32 v14, vcc, s2, v5
	s_lshl_b64 s[30:31], s[26:27], 5
	s_lshl_b64 s[2:3], s[26:27], 4
	s_add_u32 s8, s16, s2
	v_addc_co_u32_e32 v1, vcc, v1, v19, vcc
	s_addc_u32 s9, s17, s3
	v_mov_b32_e32 v15, s9
	v_add_co_u32_e32 v16, vcc, s8, v5
	s_lshl_b64 s[8:9], s[26:27], 3
	s_add_u32 s38, s16, s8
	v_addc_co_u32_e32 v15, vcc, v15, v19, vcc
	s_addc_u32 s39, s17, s9
	v_mov_b32_e32 v17, s39
	v_add_co_u32_e32 v18, vcc, s38, v5
	v_addc_co_u32_e32 v17, vcc, v17, v19, vcc
	v_mov_b32_e32 v21, s17
	v_add_co_u32_e32 v20, vcc, s16, v5
	s_add_u32 s16, s18, s25
	v_addc_co_u32_e32 v19, vcc, v21, v19, vcc
	s_addc_u32 s17, s19, s11
	v_mov_b32_e32 v5, s17
	v_add_co_u32_e32 v22, vcc, s16, v30
	s_add_u32 s16, s18, s2
	v_addc_co_u32_e32 v21, vcc, v5, v31, vcc
	s_addc_u32 s17, s19, s3
	;; [unrolled: 5-line block ×3, first 2 shown]
	v_mov_b32_e32 v5, s17
	v_add_co_u32_e32 v26, vcc, s16, v30
	v_addc_co_u32_e32 v25, vcc, v5, v31, vcc
	v_mov_b32_e32 v5, s19
	v_add_co_u32_e32 v28, vcc, s18, v30
	v_addc_co_u32_e32 v27, vcc, v5, v31, vcc
	v_mov_b32_e32 v5, s37
	v_add_co_u32_e32 v35, vcc, s36, v30
	s_add_u32 s16, s34, s25
	v_addc_co_u32_e32 v5, vcc, v5, v31, vcc
	s_addc_u32 s11, s35, s11
	v_mov_b32_e32 v29, s11
	v_add_co_u32_e32 v30, vcc, s16, v35
	s_add_u32 s2, s34, s2
	v_addc_co_u32_e32 v29, vcc, v29, v5, vcc
	s_addc_u32 s3, s35, s3
	;; [unrolled: 5-line block ×3, first 2 shown]
	v_mov_b32_e32 v33, s3
	v_add_co_u32_e32 v34, vcc, s2, v35
	v_addc_co_u32_e32 v33, vcc, v33, v5, vcc
	v_mov_b32_e32 v38, s35
	v_add_co_u32_e32 v36, vcc, s34, v35
	v_addc_co_u32_e32 v35, vcc, v38, v5, vcc
	s_mul_hi_i32 s11, s26, 3
	s_mul_i32 s25, s26, 3
	s_lshl_b64 s[34:35], s[26:27], 1
	s_mov_b64 s[16:17], 0
	v_mov_b32_e32 v5, 0
	s_movk_i32 s45, 0x7fff
	v_mov_b32_e32 v42, 0x7fc00000
	v_pk_mov_b32 v[38:39], v[6:7], v[6:7] op_sel:[0,1]
                                        ; implicit-def: $sgpr36_sgpr37
	s_branch .LBB67_21
.LBB67_18:                              ;   in Loop: Header=BB67_21 Depth=1
	s_or_b64 exec, exec, s[42:43]
	s_orn2_b64 s[2:3], s[2:3], exec
.LBB67_19:                              ;   in Loop: Header=BB67_21 Depth=1
	s_or_b64 exec, exec, s[40:41]
	s_andn2_b64 s[8:9], s[36:37], exec
	s_and_b64 s[2:3], s[2:3], exec
	s_or_b64 s[36:37], s[8:9], s[2:3]
.LBB67_20:                              ;   in Loop: Header=BB67_21 Depth=1
	s_or_b64 exec, exec, s[38:39]
	s_and_b64 s[2:3], exec, s[36:37]
	s_or_b64 s[16:17], s[2:3], s[16:17]
	s_andn2_b64 exec, exec, s[16:17]
	s_cbranch_execz .LBB67_25
.LBB67_21:                              ; =>This Inner Loop Header: Depth=1
	v_add_co_u32_e32 v40, vcc, v20, v12
	v_addc_co_u32_e32 v41, vcc, v19, v13, vcc
	global_load_dwordx2 v[44:45], v[40:41], off
	v_add_co_u32_e32 v40, vcc, v28, v12
	v_addc_co_u32_e32 v41, vcc, v27, v13, vcc
	global_load_dwordx2 v[46:47], v[40:41], off
	;; [unrolled: 3-line block ×3, first 2 shown]
	v_mov_b32_e32 v41, s27
	v_add_co_u32_e32 v40, vcc, s26, v38
	v_addc_co_u32_e32 v41, vcc, v39, v41, vcc
	v_cmp_lt_i64_e32 vcc, v[40:41], v[10:11]
	s_or_b64 s[36:37], s[36:37], exec
	s_waitcnt vmcnt(2)
	v_and_b32_e32 v43, 0xffff0000, v44
	v_lshlrev_b32_e32 v51, 16, v44
	v_alignbit_b32 v44, v45, v44, 16
	v_and_b32_e32 v44, 0xffff0000, v44
	v_and_b32_e32 v45, 0xffff0000, v45
	s_waitcnt vmcnt(1)
	v_lshlrev_b32_e32 v54, 16, v46
	v_and_b32_e32 v50, 0xffff0000, v46
	v_alignbit_b32 v46, v47, v46, 16
	v_and_b32_e32 v47, 0xffff0000, v47
	v_and_b32_e32 v46, 0xffff0000, v46
	s_waitcnt vmcnt(0)
	v_and_b32_e32 v52, 0xffff0000, v48
	v_lshlrev_b32_e32 v53, 16, v48
	v_alignbit_b32 v48, v49, v48, 16
	v_add_f32_e32 v51, v51, v53
	v_and_b32_e32 v48, 0xffff0000, v48
	v_and_b32_e32 v49, 0xffff0000, v49
	v_add_f32_e32 v43, v43, v52
	v_add_f32_e32 v44, v44, v48
	s_waitcnt lgkmcnt(0)
	v_mul_f32_e32 v48, v37, v51
	v_add_f32_e32 v45, v45, v49
	v_mul_f32_e32 v43, v37, v43
	v_bfe_u32 v49, v48, 16, 1
	v_mul_f32_e32 v45, v37, v45
	v_bfe_u32 v51, v43, 16, 1
	v_add3_u32 v49, v48, v49, s45
	v_bfe_u32 v52, v45, 16, 1
	v_add3_u32 v51, v43, v51, s45
	v_and_b32_e32 v49, 0xffff0000, v49
	v_cmp_o_f32_e64 s[2:3], v48, v48
	v_mul_f32_e32 v44, v37, v44
	v_add3_u32 v52, v45, v52, s45
	v_and_b32_e32 v51, 0xffff0000, v51
	v_cndmask_b32_e64 v48, v42, v49, s[2:3]
	v_cmp_o_f32_e64 s[2:3], v43, v43
	v_bfe_u32 v53, v44, 16, 1
	v_and_b32_e32 v52, 0xffff0000, v52
	v_cndmask_b32_e64 v43, v42, v51, s[2:3]
	v_cmp_o_f32_e64 s[2:3], v45, v45
	v_add3_u32 v53, v44, v53, s45
	v_cndmask_b32_e64 v45, v42, v52, s[2:3]
	v_mul_f32_e32 v48, v48, v54
	v_and_b32_e32 v49, 0xffff0000, v53
	v_mul_f32_e32 v43, v43, v50
	v_cmp_o_f32_e64 s[2:3], v44, v44
	v_mul_f32_e32 v45, v45, v47
	v_bfe_u32 v47, v48, 16, 1
	v_cndmask_b32_e64 v44, v42, v49, s[2:3]
	v_bfe_u32 v49, v43, 16, 1
	v_add3_u32 v47, v48, v47, s45
	v_mul_f32_e32 v44, v44, v46
	v_bfe_u32 v46, v45, 16, 1
	v_add3_u32 v49, v43, v49, s45
	v_and_b32_e32 v47, 0xffff0000, v47
	v_cmp_o_f32_e64 s[2:3], v48, v48
	v_bfe_u32 v50, v44, 16, 1
	v_add3_u32 v46, v45, v46, s45
	v_and_b32_e32 v49, 0xffff0000, v49
	v_cndmask_b32_e64 v47, v42, |v47|, s[2:3]
	v_cmp_o_f32_e64 s[2:3], v43, v43
	v_add3_u32 v50, v44, v50, s45
	v_and_b32_e32 v46, 0xffff0000, v46
	v_cndmask_b32_e64 v43, v42, |v49|, s[2:3]
	v_cmp_o_f32_e64 s[2:3], v45, v45
	v_and_b32_e32 v48, 0xffff0000, v50
	v_cndmask_b32_e64 v45, v42, |v46|, s[2:3]
	v_cmp_o_f32_e64 s[2:3], v44, v44
	v_max3_f32 v5, v5, v47, v43
	v_cndmask_b32_e64 v43, v42, |v48|, s[2:3]
	v_max3_f32 v5, v5, v43, v45
	s_and_saveexec_b64 s[38:39], vcc
	s_cbranch_execz .LBB67_20
; %bb.22:                               ;   in Loop: Header=BB67_21 Depth=1
	v_add_co_u32_e32 v44, vcc, v18, v12
	v_addc_co_u32_e32 v45, vcc, v17, v13, vcc
	v_add_co_u32_e32 v46, vcc, v26, v12
	v_addc_co_u32_e32 v47, vcc, v25, v13, vcc
	;; [unrolled: 2-line block ×3, first 2 shown]
	global_load_dwordx2 v[44:45], v[44:45], off
	v_mov_b32_e32 v43, s35
	global_load_dwordx2 v[48:49], v[48:49], off
	v_add_co_u32_e32 v50, vcc, s34, v38
	global_load_dwordx2 v[46:47], v[46:47], off
	v_addc_co_u32_e32 v51, vcc, v43, v39, vcc
	v_cmp_lt_i64_e32 vcc, v[50:51], v[10:11]
	s_waitcnt vmcnt(2)
	v_and_b32_e32 v43, 0xffff0000, v44
	v_lshlrev_b32_e32 v51, 16, v44
	v_alignbit_b32 v44, v45, v44, 16
	s_waitcnt vmcnt(1)
	v_and_b32_e32 v52, 0xffff0000, v48
	v_lshlrev_b32_e32 v53, 16, v48
	v_alignbit_b32 v48, v49, v48, 16
	v_and_b32_e32 v44, 0xffff0000, v44
	v_add_f32_e32 v51, v51, v53
	v_and_b32_e32 v48, 0xffff0000, v48
	v_and_b32_e32 v45, 0xffff0000, v45
	;; [unrolled: 1-line block ×3, first 2 shown]
	v_add_f32_e32 v43, v43, v52
	v_add_f32_e32 v44, v44, v48
	v_mul_f32_e32 v48, v37, v51
	v_add_f32_e32 v45, v45, v49
	v_mul_f32_e32 v43, v37, v43
	v_bfe_u32 v49, v48, 16, 1
	v_mul_f32_e32 v45, v37, v45
	v_bfe_u32 v51, v43, 16, 1
	v_add3_u32 v49, v48, v49, s45
	v_bfe_u32 v52, v45, 16, 1
	v_add3_u32 v51, v43, v51, s45
	v_and_b32_e32 v49, 0xffff0000, v49
	v_cmp_o_f32_e64 s[2:3], v48, v48
	v_mul_f32_e32 v44, v37, v44
	v_add3_u32 v52, v45, v52, s45
	v_and_b32_e32 v51, 0xffff0000, v51
	v_cndmask_b32_e64 v48, v42, v49, s[2:3]
	v_cmp_o_f32_e64 s[2:3], v43, v43
	s_waitcnt vmcnt(0)
	v_lshlrev_b32_e32 v54, 16, v46
	v_bfe_u32 v53, v44, 16, 1
	v_and_b32_e32 v52, 0xffff0000, v52
	v_cndmask_b32_e64 v43, v42, v51, s[2:3]
	v_cmp_o_f32_e64 s[2:3], v45, v45
	v_and_b32_e32 v50, 0xffff0000, v46
	v_alignbit_b32 v46, v47, v46, 16
	v_and_b32_e32 v47, 0xffff0000, v47
	v_add3_u32 v53, v44, v53, s45
	v_cndmask_b32_e64 v45, v42, v52, s[2:3]
	v_mul_f32_e32 v48, v48, v54
	v_and_b32_e32 v49, 0xffff0000, v53
	v_mul_f32_e32 v43, v43, v50
	v_cmp_o_f32_e64 s[2:3], v44, v44
	v_mul_f32_e32 v45, v45, v47
	v_bfe_u32 v47, v48, 16, 1
	v_and_b32_e32 v46, 0xffff0000, v46
	v_cndmask_b32_e64 v44, v42, v49, s[2:3]
	v_bfe_u32 v49, v43, 16, 1
	v_add3_u32 v47, v48, v47, s45
	v_mul_f32_e32 v44, v44, v46
	v_bfe_u32 v46, v45, 16, 1
	v_add3_u32 v49, v43, v49, s45
	v_and_b32_e32 v47, 0xffff0000, v47
	v_cmp_o_f32_e64 s[2:3], v48, v48
	v_bfe_u32 v50, v44, 16, 1
	v_add3_u32 v46, v45, v46, s45
	v_and_b32_e32 v49, 0xffff0000, v49
	v_cndmask_b32_e64 v47, v42, |v47|, s[2:3]
	v_cmp_o_f32_e64 s[2:3], v43, v43
	v_add3_u32 v50, v44, v50, s45
	v_and_b32_e32 v46, 0xffff0000, v46
	v_cndmask_b32_e64 v43, v42, |v49|, s[2:3]
	v_cmp_o_f32_e64 s[2:3], v45, v45
	v_and_b32_e32 v48, 0xffff0000, v50
	v_cndmask_b32_e64 v45, v42, |v46|, s[2:3]
	v_cmp_o_f32_e64 s[2:3], v44, v44
	v_max3_f32 v5, v5, v47, v43
	v_cndmask_b32_e64 v43, v42, |v48|, s[2:3]
	v_max3_f32 v5, v5, v43, v45
	s_mov_b64 s[2:3], -1
	s_and_saveexec_b64 s[40:41], vcc
	s_cbranch_execz .LBB67_19
; %bb.23:                               ;   in Loop: Header=BB67_21 Depth=1
	v_add_co_u32_e32 v44, vcc, v16, v12
	v_addc_co_u32_e32 v45, vcc, v15, v13, vcc
	v_add_co_u32_e32 v46, vcc, v24, v12
	v_addc_co_u32_e32 v47, vcc, v23, v13, vcc
	v_add_co_u32_e32 v48, vcc, v32, v12
	v_addc_co_u32_e32 v49, vcc, v31, v13, vcc
	global_load_dwordx2 v[44:45], v[44:45], off
	v_mov_b32_e32 v43, s11
	global_load_dwordx2 v[48:49], v[48:49], off
	v_add_co_u32_e32 v38, vcc, s25, v38
	global_load_dwordx2 v[46:47], v[46:47], off
	v_addc_co_u32_e32 v39, vcc, v43, v39, vcc
	v_cmp_lt_i64_e32 vcc, v[38:39], v[10:11]
	s_waitcnt vmcnt(2)
	v_lshlrev_b32_e32 v43, 16, v44
	v_and_b32_e32 v38, 0xffff0000, v44
	s_waitcnt vmcnt(1)
	v_lshlrev_b32_e32 v51, 16, v48
	v_alignbit_b32 v44, v45, v44, 16
	v_and_b32_e32 v50, 0xffff0000, v48
	v_alignbit_b32 v48, v49, v48, 16
	v_add_f32_e32 v43, v43, v51
	v_and_b32_e32 v45, 0xffff0000, v45
	v_and_b32_e32 v49, 0xffff0000, v49
	;; [unrolled: 1-line block ×3, first 2 shown]
	v_add_f32_e32 v38, v38, v50
	v_and_b32_e32 v48, 0xffff0000, v48
	v_mul_f32_e32 v43, v37, v43
	v_add_f32_e32 v45, v45, v49
	v_add_f32_e32 v44, v44, v48
	v_mul_f32_e32 v38, v37, v38
	v_bfe_u32 v48, v43, 16, 1
	v_mul_f32_e32 v45, v37, v45
	v_bfe_u32 v49, v38, 16, 1
	v_add3_u32 v48, v43, v48, s45
	v_bfe_u32 v50, v45, 16, 1
	v_add3_u32 v49, v38, v49, s45
	v_and_b32_e32 v48, 0xffff0000, v48
	v_cmp_o_f32_e64 s[2:3], v43, v43
	v_mul_f32_e32 v44, v37, v44
	v_add3_u32 v50, v45, v50, s45
	v_and_b32_e32 v49, 0xffff0000, v49
	v_cndmask_b32_e64 v43, v42, v48, s[2:3]
	v_cmp_o_f32_e64 s[2:3], v38, v38
	s_waitcnt vmcnt(0)
	v_lshlrev_b32_e32 v52, 16, v46
	v_bfe_u32 v51, v44, 16, 1
	v_and_b32_e32 v50, 0xffff0000, v50
	v_cndmask_b32_e64 v38, v42, v49, s[2:3]
	v_cmp_o_f32_e64 s[2:3], v45, v45
	v_and_b32_e32 v39, 0xffff0000, v46
	v_alignbit_b32 v46, v47, v46, 16
	v_and_b32_e32 v47, 0xffff0000, v47
	v_add3_u32 v51, v44, v51, s45
	v_cndmask_b32_e64 v45, v42, v50, s[2:3]
	v_mul_f32_e32 v43, v43, v52
	v_and_b32_e32 v48, 0xffff0000, v51
	v_mul_f32_e32 v38, v38, v39
	v_cmp_o_f32_e64 s[2:3], v44, v44
	v_mul_f32_e32 v44, v45, v47
	v_bfe_u32 v45, v43, 16, 1
	v_and_b32_e32 v46, 0xffff0000, v46
	v_cndmask_b32_e64 v39, v42, v48, s[2:3]
	v_bfe_u32 v47, v38, 16, 1
	v_add3_u32 v45, v43, v45, s45
	v_mul_f32_e32 v39, v39, v46
	v_bfe_u32 v46, v44, 16, 1
	v_add3_u32 v47, v38, v47, s45
	v_and_b32_e32 v45, 0xffff0000, v45
	v_cmp_o_f32_e64 s[2:3], v43, v43
	v_bfe_u32 v48, v39, 16, 1
	v_add3_u32 v46, v44, v46, s45
	v_and_b32_e32 v47, 0xffff0000, v47
	v_cndmask_b32_e64 v43, v42, |v45|, s[2:3]
	v_cmp_o_f32_e64 s[2:3], v38, v38
	v_add3_u32 v48, v39, v48, s45
	v_and_b32_e32 v46, 0xffff0000, v46
	v_cndmask_b32_e64 v38, v42, |v47|, s[2:3]
	v_cmp_o_f32_e64 s[2:3], v44, v44
	v_and_b32_e32 v45, 0xffff0000, v48
	v_cndmask_b32_e64 v44, v42, |v46|, s[2:3]
	v_cmp_o_f32_e64 s[2:3], v39, v39
	v_max3_f32 v5, v5, v43, v38
	v_cndmask_b32_e64 v38, v42, |v45|, s[2:3]
	v_max3_f32 v5, v5, v38, v44
	s_mov_b64 s[2:3], -1
                                        ; implicit-def: $vgpr38_vgpr39
	s_and_saveexec_b64 s[8:9], vcc
	s_xor_b64 s[42:43], exec, s[8:9]
	s_cbranch_execz .LBB67_18
; %bb.24:                               ;   in Loop: Header=BB67_21 Depth=1
	s_add_u32 s2, s26, s26
	s_addc_u32 s3, s27, s27
	s_add_u32 s2, s2, s26
	s_addc_u32 s3, s3, s27
	v_mov_b32_e32 v39, s3
	v_add_co_u32_e32 v38, vcc, s2, v40
	v_addc_co_u32_e32 v39, vcc, v39, v41, vcc
	v_add_co_u32_e32 v40, vcc, v14, v12
	v_addc_co_u32_e32 v41, vcc, v1, v13, vcc
	global_load_dwordx2 v[40:41], v[40:41], off
	s_waitcnt vmcnt(0)
	v_and_b32_e32 v43, 0xffff0000, v40
	v_lshlrev_b32_e32 v44, 16, v40
	v_alignbit_b32 v45, v41, v40, 16
	v_add_co_u32_e32 v40, vcc, v30, v12
	v_and_b32_e32 v46, 0xffff0000, v41
	v_addc_co_u32_e32 v41, vcc, v29, v13, vcc
	global_load_dwordx2 v[40:41], v[40:41], off
	v_and_b32_e32 v45, 0xffff0000, v45
	s_waitcnt vmcnt(0)
	v_and_b32_e32 v47, 0xffff0000, v40
	v_lshlrev_b32_e32 v48, 16, v40
	v_alignbit_b32 v49, v41, v40, 16
	v_add_co_u32_e32 v40, vcc, v22, v12
	v_and_b32_e32 v50, 0xffff0000, v41
	v_addc_co_u32_e32 v41, vcc, v21, v13, vcc
	global_load_dwordx2 v[40:41], v[40:41], off
	v_add_f32_e32 v44, v44, v48
	v_add_f32_e32 v43, v43, v47
	v_and_b32_e32 v47, 0xffff0000, v49
	v_mul_f32_e32 v44, v37, v44
	v_add_f32_e32 v45, v45, v47
	v_bfe_u32 v47, v44, 16, 1
	v_add3_u32 v47, v44, v47, s45
	v_and_b32_e32 v47, 0xffff0000, v47
	v_cmp_o_f32_e32 vcc, v44, v44
	v_mul_f32_e32 v43, v37, v43
	v_cndmask_b32_e32 v44, v42, v47, vcc
	v_bfe_u32 v47, v43, 16, 1
	v_add_f32_e32 v46, v46, v50
	v_add3_u32 v47, v43, v47, s45
	v_and_b32_e32 v47, 0xffff0000, v47
	v_cmp_o_f32_e32 vcc, v43, v43
	v_mul_f32_e32 v46, v37, v46
	v_cndmask_b32_e32 v43, v42, v47, vcc
	v_bfe_u32 v47, v46, 16, 1
	v_add3_u32 v47, v46, v47, s45
	v_and_b32_e32 v47, 0xffff0000, v47
	v_cmp_o_f32_e32 vcc, v46, v46
	v_cndmask_b32_e32 v46, v42, v47, vcc
	v_mul_f32_e32 v45, v37, v45
	v_cmp_o_f32_e32 vcc, v45, v45
	s_waitcnt vmcnt(0)
	v_and_b32_e32 v51, 0xffff0000, v40
	v_lshlrev_b32_e32 v52, 16, v40
	v_alignbit_b32 v40, v41, v40, 16
	v_and_b32_e32 v41, 0xffff0000, v41
	v_mul_f32_e32 v41, v46, v41
	v_bfe_u32 v46, v45, 16, 1
	v_add3_u32 v46, v45, v46, s45
	v_and_b32_e32 v46, 0xffff0000, v46
	v_mul_f32_e32 v43, v43, v51
	v_and_b32_e32 v40, 0xffff0000, v40
	v_cndmask_b32_e32 v45, v42, v46, vcc
	v_mul_f32_e32 v40, v45, v40
	v_bfe_u32 v45, v43, 16, 1
	v_mul_f32_e32 v44, v44, v52
	v_add3_u32 v45, v43, v45, s45
	v_cmp_o_f32_e32 vcc, v43, v43
	v_bfe_u32 v43, v40, 16, 1
	v_add3_u32 v43, v40, v43, s45
	v_cmp_o_f32_e64 s[2:3], v40, v40
	v_bfe_u32 v40, v44, 16, 1
	v_add3_u32 v40, v44, v40, s45
	v_and_b32_e32 v45, 0xffff0000, v45
	v_and_b32_e32 v40, 0xffff0000, v40
	v_cmp_o_f32_e64 s[8:9], v44, v44
	v_cndmask_b32_e64 v40, v42, |v40|, s[8:9]
	v_cndmask_b32_e64 v44, v42, |v45|, vcc
	v_max3_f32 v5, v5, v40, v44
	v_bfe_u32 v40, v41, 16, 1
	v_add3_u32 v40, v41, v40, s45
	v_and_b32_e32 v43, 0xffff0000, v43
	v_and_b32_e32 v40, 0xffff0000, v40
	v_cmp_o_f32_e32 vcc, v41, v41
	v_cndmask_b32_e64 v40, v42, |v40|, vcc
	v_cndmask_b32_e64 v41, v42, |v43|, s[2:3]
	v_max3_f32 v5, v5, v41, v40
	v_mov_b32_e32 v40, s31
	v_add_co_u32_e32 v14, vcc, s30, v14
	v_addc_co_u32_e32 v1, vcc, v1, v40, vcc
	v_add_co_u32_e32 v16, vcc, s30, v16
	v_addc_co_u32_e32 v15, vcc, v15, v40, vcc
	;; [unrolled: 2-line block ×12, first 2 shown]
	v_cmp_ge_i64_e32 vcc, v[38:39], v[10:11]
	s_orn2_b64 s[2:3], vcc, exec
	s_branch .LBB67_18
.LBB67_25:
	s_or_b64 exec, exec, s[16:17]
.LBB67_26:
	s_or_b64 exec, exec, s[28:29]
	s_lshr_b32 s11, s44, 6
	v_cvt_f32_u32_e32 v10, s11
	v_lshlrev_b32_e32 v1, 2, v0
	ds_write_b32 v1, v5
	s_sub_i32 s8, 0, s11
	v_rcp_iflag_f32_e32 v5, v10
	s_add_i32 s2, s24, s11
	s_add_i32 s2, s2, -1
	s_ashr_i32 s3, s2, 31
	v_mul_f32_e32 v5, 0x4f7ffffe, v5
	v_cvt_u32_f32_e32 v5, v5
	s_abs_i32 s2, s2
	s_waitcnt lgkmcnt(0)
	s_barrier
	v_readfirstlane_b32 s9, v5
	s_mul_i32 s8, s8, s9
	s_mul_hi_u32 s8, s9, s8
	s_add_i32 s9, s9, s8
	s_mul_hi_u32 s8, s2, s9
	s_mul_i32 s9, s8, s11
	s_sub_i32 s2, s2, s9
	s_add_i32 s9, s8, 1
	s_sub_i32 s16, s2, s11
	s_cmp_ge_u32 s2, s11
	s_cselect_b32 s8, s9, s8
	s_cselect_b32 s2, s16, s2
	s_add_i32 s9, s8, 1
	s_cmp_ge_u32 s2, s11
	s_cselect_b32 s2, s9, s8
	s_xor_b32 s2, s2, s3
	s_sub_i32 s2, s2, s3
	s_ashr_i32 s3, s2, 31
	v_cmp_lt_i64_e64 s[8:9], s[2:3], 1
	s_and_b64 vcc, exec, s[8:9]
	s_cbranch_vccnz .LBB67_48
; %bb.27:
	v_and_b32_e32 v12, 63, v0
	v_add_co_u32_e32 v14, vcc, 32, v12
	v_addc_co_u32_e64 v15, s[8:9], 0, 0, vcc
	v_add_co_u32_e32 v16, vcc, 16, v12
	v_addc_co_u32_e64 v17, s[8:9], 0, 0, vcc
	;; [unrolled: 2-line block ×4, first 2 shown]
	v_add_co_u32_e32 v22, vcc, 2, v12
	v_lshrrev_b32_e32 v10, 6, v0
	v_addc_co_u32_e64 v23, s[8:9], 0, 0, vcc
	v_add_co_u32_e32 v24, vcc, 1, v12
	v_addc_co_u32_e64 v25, s[8:9], 0, 0, vcc
	v_mul_lo_u32 v5, s26, v10
	v_lshlrev_b32_e32 v5, 2, v5
	v_lshlrev_b32_e32 v26, 2, v12
	s_movk_i32 s8, 0x100
	v_mov_b32_e32 v11, 0
	v_add3_u32 v5, v5, v26, s8
	s_mul_i32 s8, s26, s11
	s_ashr_i32 s25, s24, 31
	v_mov_b32_e32 v13, v11
	s_lshl_b32 s36, s8, 2
	s_mov_b64 s[8:9], 0
	v_mov_b32_e32 v36, s11
	s_mov_b64 s[16:17], src_shared_base
	s_branch .LBB67_30
.LBB67_28:                              ;   in Loop: Header=BB67_30 Depth=1
	s_or_b64 exec, exec, s[30:31]
	v_mov_b32_e32 v27, s17
	flat_load_dword v26, v[26:27] glc
	s_waitcnt vmcnt(0)
.LBB67_29:                              ;   in Loop: Header=BB67_30 Depth=1
	s_or_b64 exec, exec, s[28:29]
	s_add_u32 s8, s8, 1
	s_addc_u32 s9, s9, 0
	s_cmp_eq_u64 s[8:9], s[2:3]
	v_add_u32_e32 v5, s36, v5
	s_cbranch_scc1 .LBB67_48
.LBB67_30:                              ; =>This Loop Header: Depth=1
                                        ;     Child Loop BB67_33 Depth 2
	v_mad_u64_u32 v[30:31], s[28:29], s8, v36, v[10:11]
	s_mul_i32 s16, s9, s11
	v_add_u32_e32 v31, s16, v31
	v_cmp_gt_i64_e32 vcc, s[24:25], v[30:31]
	s_and_saveexec_b64 s[28:29], vcc
	s_cbranch_execz .LBB67_29
; %bb.31:                               ;   in Loop: Header=BB67_30 Depth=1
	v_pk_mov_b32 v[32:33], s[26:27], s[26:27] op_sel:[0,1]
	v_mul_lo_u32 v29, v31, s26
	v_mul_lo_u32 v38, v30, s27
	v_mad_u64_u32 v[32:33], s[30:31], v30, s26, v[32:33]
	v_add3_u32 v33, v29, v33, v38
	v_mov_b32_e32 v28, s23
	v_cmp_gt_i64_e32 vcc, s[22:23], v[32:33]
	s_waitcnt lgkmcnt(0)
	v_mad_u64_u32 v[26:27], s[30:31], v30, s26, v[12:13]
	v_cndmask_b32_e32 v33, v28, v33, vcc
	v_mov_b32_e32 v28, s22
	v_add3_u32 v27, v29, v27, v38
	v_cndmask_b32_e32 v32, v28, v32, vcc
	v_add_co_u32_e32 v34, vcc, 64, v26
	v_addc_co_u32_e32 v35, vcc, 0, v27, vcc
	v_cmp_lt_i64_e32 vcc, v[34:35], v[32:33]
	v_lshlrev_b32_e32 v28, 2, v26
	s_and_saveexec_b64 s[30:31], vcc
	s_cbranch_execz .LBB67_34
; %bb.32:                               ;   in Loop: Header=BB67_30 Depth=1
	ds_read_b32 v31, v28
	s_mov_b64 s[34:35], 0
	v_mov_b32_e32 v27, v5
.LBB67_33:                              ;   Parent Loop BB67_30 Depth=1
                                        ; =>  This Inner Loop Header: Depth=2
	ds_read_b32 v39, v27
	v_add_co_u32_e32 v34, vcc, 64, v34
	v_addc_co_u32_e32 v35, vcc, 0, v35, vcc
	s_waitcnt lgkmcnt(1)
	v_max_f32_e32 v31, v31, v31
	v_cmp_ge_i64_e32 vcc, v[34:35], v[32:33]
	s_waitcnt lgkmcnt(0)
	v_max_f32_e32 v39, v39, v39
	v_add_u32_e32 v27, 0x100, v27
	s_or_b64 s[34:35], vcc, s[34:35]
	v_max_f32_e32 v31, v31, v39
	ds_write_b32 v28, v31
	s_andn2_b64 exec, exec, s[34:35]
	s_cbranch_execnz .LBB67_33
.LBB67_34:                              ;   in Loop: Header=BB67_30 Depth=1
	s_or_b64 exec, exec, s[30:31]
	v_mad_u64_u32 v[30:31], s[30:31], v30, s26, 0
	v_add3_u32 v27, v31, v38, v29
	v_sub_co_u32_e32 v30, vcc, v32, v30
	v_subb_co_u32_e32 v31, vcc, v33, v27, vcc
	v_cmp_gt_i64_e32 vcc, 64, v[30:31]
	v_cndmask_b32_e32 v31, 0, v31, vcc
	v_cndmask_b32_e32 v30, 64, v30, vcc
	v_cmp_lt_i64_e32 vcc, v[14:15], v[30:31]
	s_and_saveexec_b64 s[30:31], vcc
	s_cbranch_execnz .LBB67_46
; %bb.35:                               ;   in Loop: Header=BB67_30 Depth=1
	s_or_b64 exec, exec, s[30:31]
	v_cmp_lt_i64_e32 vcc, v[16:17], v[30:31]
	s_and_saveexec_b64 s[30:31], vcc
	s_cbranch_execnz .LBB67_47
.LBB67_36:                              ;   in Loop: Header=BB67_30 Depth=1
	s_or_b64 exec, exec, s[30:31]
	v_cmp_lt_i64_e32 vcc, v[18:19], v[30:31]
	s_and_saveexec_b64 s[30:31], vcc
	s_cbranch_execz .LBB67_38
.LBB67_37:                              ;   in Loop: Header=BB67_30 Depth=1
	v_mov_b32_e32 v29, s17
	v_add_u32_e32 v32, 32, v28
	v_mov_b32_e32 v33, s17
	flat_load_dword v27, v[28:29] glc
	s_waitcnt vmcnt(0)
	flat_load_dword v34, v[32:33] glc
	s_waitcnt vmcnt(0) lgkmcnt(0)
	v_max_f32_e32 v27, v27, v27
	v_max_f32_e32 v32, v34, v34
	;; [unrolled: 1-line block ×3, first 2 shown]
	flat_store_dword v[28:29], v27
	s_waitcnt vmcnt(0)
.LBB67_38:                              ;   in Loop: Header=BB67_30 Depth=1
	s_or_b64 exec, exec, s[30:31]
	v_cmp_ge_i64_e32 vcc, v[20:21], v[30:31]
	s_and_saveexec_b64 s[30:31], vcc
	s_xor_b64 s[30:31], exec, s[30:31]
; %bb.39:                               ;   in Loop: Header=BB67_30 Depth=1
                                        ; implicit-def: $vgpr28
; %bb.40:                               ;   in Loop: Header=BB67_30 Depth=1
	s_andn2_saveexec_b64 s[30:31], s[30:31]
	s_cbranch_execz .LBB67_42
; %bb.41:                               ;   in Loop: Header=BB67_30 Depth=1
	v_mov_b32_e32 v29, s17
	v_add_u32_e32 v32, 16, v28
	v_mov_b32_e32 v33, s17
	flat_load_dword v27, v[28:29] glc
	s_waitcnt vmcnt(0)
	flat_load_dword v34, v[32:33] glc
	s_waitcnt vmcnt(0) lgkmcnt(0)
	v_max_f32_e32 v27, v27, v27
	v_max_f32_e32 v32, v34, v34
	;; [unrolled: 1-line block ×3, first 2 shown]
	flat_store_dword v[28:29], v27
	s_waitcnt vmcnt(0)
.LBB67_42:                              ;   in Loop: Header=BB67_30 Depth=1
	s_or_b64 exec, exec, s[30:31]
	v_cmp_lt_i64_e32 vcc, v[22:23], v[30:31]
	v_lshlrev_b32_e32 v26, 2, v26
	s_and_saveexec_b64 s[30:31], vcc
	s_cbranch_execz .LBB67_44
; %bb.43:                               ;   in Loop: Header=BB67_30 Depth=1
	v_mov_b32_e32 v27, s17
	v_add_u32_e32 v28, 8, v26
	v_mov_b32_e32 v29, s17
	flat_load_dword v32, v[26:27] glc
	s_waitcnt vmcnt(0)
	flat_load_dword v33, v[28:29] glc
	s_waitcnt vmcnt(0) lgkmcnt(0)
	v_max_f32_e32 v28, v32, v32
	v_max_f32_e32 v29, v33, v33
	;; [unrolled: 1-line block ×3, first 2 shown]
	flat_store_dword v[26:27], v28
	s_waitcnt vmcnt(0)
.LBB67_44:                              ;   in Loop: Header=BB67_30 Depth=1
	s_or_b64 exec, exec, s[30:31]
	v_cmp_lt_i64_e32 vcc, v[24:25], v[30:31]
	s_and_saveexec_b64 s[30:31], vcc
	s_cbranch_execz .LBB67_28
; %bb.45:                               ;   in Loop: Header=BB67_30 Depth=1
	v_mov_b32_e32 v27, s17
	v_add_u32_e32 v28, 4, v26
	v_mov_b32_e32 v29, s17
	flat_load_dword v30, v[26:27] glc
	s_waitcnt vmcnt(0)
	flat_load_dword v31, v[28:29] glc
	s_waitcnt vmcnt(0) lgkmcnt(0)
	v_max_f32_e32 v28, v30, v30
	v_max_f32_e32 v29, v31, v31
	v_max_f32_e32 v28, v28, v29
	flat_store_dword v[26:27], v28
	s_waitcnt vmcnt(0)
	s_branch .LBB67_28
.LBB67_46:                              ;   in Loop: Header=BB67_30 Depth=1
	v_mov_b32_e32 v29, s17
	v_add_u32_e32 v32, 0x80, v28
	v_mov_b32_e32 v33, s17
	flat_load_dword v27, v[28:29] glc
	s_waitcnt vmcnt(0)
	flat_load_dword v34, v[32:33] glc
	s_waitcnt vmcnt(0) lgkmcnt(0)
	v_max_f32_e32 v27, v27, v27
	v_max_f32_e32 v32, v34, v34
	;; [unrolled: 1-line block ×3, first 2 shown]
	flat_store_dword v[28:29], v27
	s_waitcnt vmcnt(0)
	s_or_b64 exec, exec, s[30:31]
	v_cmp_lt_i64_e32 vcc, v[16:17], v[30:31]
	s_and_saveexec_b64 s[30:31], vcc
	s_cbranch_execz .LBB67_36
.LBB67_47:                              ;   in Loop: Header=BB67_30 Depth=1
	v_mov_b32_e32 v29, s17
	v_add_u32_e32 v32, 64, v28
	v_mov_b32_e32 v33, s17
	flat_load_dword v27, v[28:29] glc
	s_waitcnt vmcnt(0)
	flat_load_dword v34, v[32:33] glc
	s_waitcnt vmcnt(0) lgkmcnt(0)
	v_max_f32_e32 v27, v27, v27
	v_max_f32_e32 v32, v34, v34
	;; [unrolled: 1-line block ×3, first 2 shown]
	flat_store_dword v[28:29], v27
	s_waitcnt vmcnt(0)
	s_or_b64 exec, exec, s[30:31]
	v_cmp_lt_i64_e32 vcc, v[18:19], v[30:31]
	s_and_saveexec_b64 s[30:31], vcc
	s_cbranch_execnz .LBB67_37
	s_branch .LBB67_38
.LBB67_48:
	s_load_dwordx2 s[8:9], s[4:5], 0x40
	v_cmp_eq_u32_e32 vcc, 0, v4
	v_cmp_lt_i64_e64 s[2:3], v[6:7], v[8:9]
	s_and_b64 s[2:3], vcc, s[2:3]
	s_waitcnt lgkmcnt(0)
	s_barrier
	s_and_saveexec_b64 s[16:17], s[2:3]
	s_cbranch_execz .LBB67_55
; %bb.49:
	s_load_dwordx2 s[2:3], s[4:5], 0x20
	ds_read_b32 v1, v1
	s_waitcnt lgkmcnt(0)
	s_cmp_eq_u64 s[2:3], 0
	s_cbranch_scc1 .LBB67_51
; %bb.50:
	s_load_dword s2, s[2:3], 0x0
	v_max_f32_e32 v1, v1, v1
	s_waitcnt lgkmcnt(0)
	v_max_f32_e64 v4, s2, s2
	v_min_f32_e32 v1, v1, v4
.LBB67_51:
	s_add_u32 s3, s8, s49
	s_addc_u32 s4, s9, 0
	s_add_u32 s22, s3, -1
	s_addc_u32 s23, s4, -1
	s_or_b64 s[4:5], s[22:23], s[8:9]
	s_mov_b32 s2, 0
	s_mov_b32 s3, s5
	s_cmp_lg_u64 s[2:3], 0
	s_mov_b64 s[24:25], -1
	s_cbranch_scc0 .LBB67_196
; %bb.52:
	s_ashr_i32 s2, s9, 31
	s_add_u32 s4, s8, s2
	s_mov_b32 s3, s2
	s_addc_u32 s5, s9, s2
	s_xor_b64 s[26:27], s[4:5], s[2:3]
	v_cvt_f32_u32_e32 v4, s26
	v_cvt_f32_u32_e32 v5, s27
	s_sub_u32 s2, 0, s26
	s_subb_u32 s3, 0, s27
	v_madmk_f32 v4, v5, 0x4f800000, v4
	v_rcp_f32_e32 v4, v4
	v_mul_f32_e32 v4, 0x5f7ffffc, v4
	v_mul_f32_e32 v5, 0x2f800000, v4
	v_trunc_f32_e32 v5, v5
	v_madmk_f32 v4, v5, 0xcf800000, v4
	v_cvt_u32_f32_e32 v5, v5
	v_cvt_u32_f32_e32 v4, v4
	v_readfirstlane_b32 s4, v5
	v_readfirstlane_b32 s5, v4
	s_mul_i32 s11, s2, s4
	s_mul_hi_u32 s29, s2, s5
	s_mul_i32 s28, s3, s5
	s_add_i32 s11, s29, s11
	s_add_i32 s11, s11, s28
	s_mul_i32 s30, s2, s5
	s_mul_hi_u32 s28, s5, s11
	s_mul_i32 s29, s5, s11
	s_mul_hi_u32 s5, s5, s30
	s_add_u32 s5, s5, s29
	s_addc_u32 s28, 0, s28
	s_mul_hi_u32 s31, s4, s30
	s_mul_i32 s30, s4, s30
	s_add_u32 s5, s5, s30
	s_mul_hi_u32 s29, s4, s11
	s_addc_u32 s5, s28, s31
	s_addc_u32 s28, s29, 0
	s_mul_i32 s11, s4, s11
	s_add_u32 s5, s5, s11
	s_addc_u32 s11, 0, s28
	v_add_co_u32_e32 v4, vcc, s5, v4
	s_cmp_lg_u64 vcc, 0
	s_addc_u32 s4, s4, s11
	v_readfirstlane_b32 s11, v4
	s_mul_i32 s5, s2, s4
	s_mul_hi_u32 s28, s2, s11
	s_add_i32 s5, s28, s5
	s_mul_i32 s3, s3, s11
	s_add_i32 s5, s5, s3
	s_mul_i32 s2, s2, s11
	s_mul_hi_u32 s28, s4, s2
	s_mul_i32 s29, s4, s2
	s_mul_i32 s31, s11, s5
	s_mul_hi_u32 s2, s11, s2
	s_mul_hi_u32 s30, s11, s5
	s_add_u32 s2, s2, s31
	s_addc_u32 s11, 0, s30
	s_add_u32 s2, s2, s29
	s_mul_hi_u32 s3, s4, s5
	s_addc_u32 s2, s11, s28
	s_addc_u32 s3, s3, 0
	s_mul_i32 s5, s4, s5
	s_add_u32 s2, s2, s5
	s_addc_u32 s3, 0, s3
	v_add_co_u32_e32 v4, vcc, s2, v4
	s_cmp_lg_u64 vcc, 0
	s_addc_u32 s4, s4, s3
	s_ashr_i32 s28, s23, 31
	s_add_u32 s2, s22, s28
	s_mov_b32 s29, s28
	s_addc_u32 s3, s23, s28
	s_xor_b64 s[30:31], s[2:3], s[28:29]
	v_readfirstlane_b32 s5, v4
	s_mul_i32 s3, s30, s4
	s_mul_hi_u32 s11, s30, s5
	s_mul_hi_u32 s2, s30, s4
	s_add_u32 s3, s11, s3
	s_addc_u32 s2, 0, s2
	s_mul_hi_u32 s29, s31, s5
	s_mul_i32 s5, s31, s5
	s_add_u32 s3, s3, s5
	s_mul_hi_u32 s11, s31, s4
	s_addc_u32 s2, s2, s29
	s_addc_u32 s3, s11, 0
	s_mul_i32 s4, s31, s4
	s_add_u32 s2, s2, s4
	s_addc_u32 s3, 0, s3
	s_mul_i32 s3, s26, s3
	s_mul_hi_u32 s4, s26, s2
	s_add_i32 s3, s4, s3
	s_mul_i32 s4, s27, s2
	s_mul_i32 s2, s26, s2
	s_add_i32 s11, s3, s4
	v_mov_b32_e32 v4, s2
	s_sub_i32 s3, s31, s11
	v_sub_co_u32_e32 v4, vcc, s30, v4
	s_cmp_lg_u64 vcc, 0
	s_subb_u32 s29, s3, s27
	v_subrev_co_u32_e64 v5, s[2:3], s26, v4
	s_cmp_lg_u64 s[2:3], 0
	s_subb_u32 s30, s29, 0
	s_cmp_ge_u32 s30, s27
	s_cselect_b32 s34, -1, 0
	v_cmp_le_u32_e64 s[4:5], s26, v5
	s_cmp_eq_u32 s30, s27
	v_cndmask_b32_e64 v6, 0, -1, s[4:5]
	v_mov_b32_e32 v7, s34
	s_cselect_b64 s[4:5], -1, 0
	s_cmp_lg_u64 s[2:3], 0
	v_cndmask_b32_e64 v6, v7, v6, s[4:5]
	s_subb_u32 s4, s29, s27
	v_subrev_co_u32_e64 v7, s[2:3], s26, v5
	s_cmp_lg_u64 s[2:3], 0
	s_subb_u32 s4, s4, 0
	v_cmp_ne_u32_e64 s[2:3], 0, v6
	v_cndmask_b32_e64 v5, v5, v7, s[2:3]
	v_mov_b32_e32 v6, s30
	v_mov_b32_e32 v7, s4
	s_cmp_lg_u64 vcc, 0
	v_cndmask_b32_e64 v6, v6, v7, s[2:3]
	s_subb_u32 s2, s31, s11
	s_cmp_ge_u32 s2, s27
	s_cselect_b32 s3, -1, 0
	v_cmp_le_u32_e32 vcc, s26, v4
	s_cmp_eq_u32 s2, s27
	v_cndmask_b32_e64 v7, 0, -1, vcc
	v_mov_b32_e32 v8, s3
	s_cselect_b64 vcc, -1, 0
	v_cndmask_b32_e32 v7, v8, v7, vcc
	v_cmp_ne_u32_e32 vcc, 0, v7
	v_mov_b32_e32 v8, s2
	v_cndmask_b32_e32 v4, v4, v5, vcc
	v_cndmask_b32_e32 v6, v8, v6, vcc
	v_xor_b32_e32 v4, s28, v4
	v_xor_b32_e32 v5, s28, v6
	v_mov_b32_e32 v6, s28
	v_subrev_co_u32_e32 v4, vcc, s28, v4
	v_subb_co_u32_e32 v5, vcc, v5, v6, vcc
	s_cbranch_execnz .LBB67_54
.LBB67_53:
	v_cvt_f32_u32_e32 v4, s8
	s_sub_i32 s2, 0, s8
	v_rcp_iflag_f32_e32 v4, v4
	v_mul_f32_e32 v4, 0x4f7ffffe, v4
	v_cvt_u32_f32_e32 v4, v4
	v_mul_lo_u32 v5, s2, v4
	v_mul_hi_u32 v5, v4, v5
	v_add_u32_e32 v4, v4, v5
	v_mul_hi_u32 v4, s22, v4
	v_mul_lo_u32 v4, v4, s8
	v_sub_u32_e32 v4, s22, v4
	v_subrev_u32_e32 v5, s8, v4
	v_cmp_le_u32_e32 vcc, s8, v4
	v_cndmask_b32_e32 v4, v4, v5, vcc
	v_subrev_u32_e32 v5, s8, v4
	v_cmp_le_u32_e32 vcc, s8, v4
	v_cndmask_b32_e32 v4, v4, v5, vcc
	v_mov_b32_e32 v5, 0
.LBB67_54:
	s_mov_b32 s4, 0x43600000
	v_div_scale_f32 v6, s[2:3], s4, s4, v1
	v_rcp_f32_e32 v7, v6
	v_div_scale_f32 v8, vcc, v1, s4, v1
	v_fma_f32 v9, -v6, v7, 1.0
	v_fmac_f32_e32 v7, v9, v7
	v_mul_f32_e32 v9, v8, v7
	v_fma_f32 v10, -v6, v9, v8
	v_fmac_f32_e32 v9, v10, v7
	v_fma_f32 v6, -v6, v9, v8
	v_div_fmas_f32 v6, v6, v7, v9
	v_div_fixup_f32 v1, v6, s4, v1
	v_mov_b32_e32 v6, s23
	v_sub_co_u32_e32 v4, vcc, s22, v4
	v_subb_co_u32_e32 v5, vcc, v6, v5, vcc
	v_mul_lo_u32 v5, v5, v2
	v_mul_lo_u32 v6, v4, v3
	v_mad_u64_u32 v[2:3], s[2:3], v4, v2, 0
	s_lshl_b64 s[2:3], s[6:7], 2
	v_add3_u32 v3, v3, v6, v5
	s_add_u32 s2, s2, s14
	v_lshlrev_b64 v[2:3], 2, v[2:3]
	s_addc_u32 s3, s3, s15
	v_mov_b32_e32 v4, s3
	v_add_co_u32_e32 v2, vcc, s2, v2
	v_max_f32_e32 v1, 0x37124925, v1
	v_addc_co_u32_e32 v3, vcc, v4, v3, vcc
	global_store_dword v[2:3], v1, off
.LBB67_55:
	s_or_b64 exec, exec, s[16:17]
	s_barrier
	s_and_saveexec_b64 s[2:3], s[0:1]
	s_cbranch_execz .LBB67_195
; %bb.56:
	s_add_u32 s1, s8, s49
	s_addc_u32 s2, s9, 0
	s_add_u32 s4, s1, -1
	s_addc_u32 s5, s2, -1
	s_or_b64 s[2:3], s[4:5], s[8:9]
	s_mov_b32 s0, 0
	s_mov_b32 s1, s3
	s_cmp_lg_u64 s[0:1], 0
	s_mov_b64 s[16:17], -1
	s_cbranch_scc0 .LBB67_197
; %bb.57:
	s_ashr_i32 s0, s9, 31
	s_add_u32 s2, s8, s0
	s_mov_b32 s1, s0
	s_addc_u32 s3, s9, s0
	s_xor_b64 s[22:23], s[2:3], s[0:1]
	v_cvt_f32_u32_e32 v1, s22
	v_cvt_f32_u32_e32 v2, s23
	s_sub_u32 s0, 0, s22
	s_subb_u32 s1, 0, s23
	v_madmk_f32 v1, v2, 0x4f800000, v1
	v_rcp_f32_e32 v1, v1
	v_mul_f32_e32 v1, 0x5f7ffffc, v1
	v_mul_f32_e32 v2, 0x2f800000, v1
	v_trunc_f32_e32 v2, v2
	v_madmk_f32 v1, v2, 0xcf800000, v1
	v_cvt_u32_f32_e32 v2, v2
	v_cvt_u32_f32_e32 v1, v1
	v_readfirstlane_b32 s2, v2
	v_readfirstlane_b32 s3, v1
	s_mul_i32 s9, s0, s2
	s_mul_hi_u32 s24, s0, s3
	s_mul_i32 s11, s1, s3
	s_add_i32 s9, s24, s9
	s_add_i32 s9, s9, s11
	s_mul_i32 s25, s0, s3
	s_mul_hi_u32 s11, s3, s9
	s_mul_i32 s24, s3, s9
	s_mul_hi_u32 s3, s3, s25
	s_add_u32 s3, s3, s24
	s_addc_u32 s11, 0, s11
	s_mul_hi_u32 s26, s2, s25
	s_mul_i32 s25, s2, s25
	s_add_u32 s3, s3, s25
	s_mul_hi_u32 s24, s2, s9
	s_addc_u32 s3, s11, s26
	s_addc_u32 s11, s24, 0
	s_mul_i32 s9, s2, s9
	s_add_u32 s3, s3, s9
	s_addc_u32 s9, 0, s11
	v_add_co_u32_e32 v1, vcc, s3, v1
	s_cmp_lg_u64 vcc, 0
	s_addc_u32 s2, s2, s9
	v_readfirstlane_b32 s9, v1
	s_mul_i32 s3, s0, s2
	s_mul_hi_u32 s11, s0, s9
	s_add_i32 s3, s11, s3
	s_mul_i32 s1, s1, s9
	s_add_i32 s3, s3, s1
	s_mul_i32 s0, s0, s9
	s_mul_hi_u32 s11, s2, s0
	s_mul_i32 s24, s2, s0
	s_mul_i32 s26, s9, s3
	s_mul_hi_u32 s0, s9, s0
	s_mul_hi_u32 s25, s9, s3
	s_add_u32 s0, s0, s26
	s_addc_u32 s9, 0, s25
	s_add_u32 s0, s0, s24
	s_mul_hi_u32 s1, s2, s3
	s_addc_u32 s0, s9, s11
	s_addc_u32 s1, s1, 0
	s_mul_i32 s3, s2, s3
	s_add_u32 s0, s0, s3
	s_addc_u32 s1, 0, s1
	v_add_co_u32_e32 v1, vcc, s0, v1
	s_cmp_lg_u64 vcc, 0
	s_addc_u32 s2, s2, s1
	s_ashr_i32 s24, s5, 31
	s_add_u32 s0, s4, s24
	s_mov_b32 s25, s24
	s_addc_u32 s1, s5, s24
	s_xor_b64 s[26:27], s[0:1], s[24:25]
	v_readfirstlane_b32 s3, v1
	s_mul_i32 s1, s26, s2
	s_mul_hi_u32 s9, s26, s3
	s_mul_hi_u32 s0, s26, s2
	s_add_u32 s1, s9, s1
	s_addc_u32 s0, 0, s0
	s_mul_hi_u32 s11, s27, s3
	s_mul_i32 s3, s27, s3
	s_add_u32 s1, s1, s3
	s_mul_hi_u32 s9, s27, s2
	s_addc_u32 s0, s0, s11
	s_addc_u32 s1, s9, 0
	s_mul_i32 s2, s27, s2
	s_add_u32 s0, s0, s2
	s_addc_u32 s1, 0, s1
	s_mul_i32 s1, s22, s1
	s_mul_hi_u32 s2, s22, s0
	s_add_i32 s1, s2, s1
	s_mul_i32 s2, s23, s0
	s_mul_i32 s0, s22, s0
	s_add_i32 s9, s1, s2
	v_mov_b32_e32 v1, s0
	s_sub_i32 s1, s27, s9
	v_sub_co_u32_e32 v1, vcc, s26, v1
	s_cmp_lg_u64 vcc, 0
	s_subb_u32 s11, s1, s23
	v_subrev_co_u32_e64 v2, s[0:1], s22, v1
	s_cmp_lg_u64 s[0:1], 0
	s_subb_u32 s25, s11, 0
	s_cmp_ge_u32 s25, s23
	s_cselect_b32 s26, -1, 0
	v_cmp_le_u32_e64 s[2:3], s22, v2
	s_cmp_eq_u32 s25, s23
	v_cndmask_b32_e64 v3, 0, -1, s[2:3]
	v_mov_b32_e32 v4, s26
	s_cselect_b64 s[2:3], -1, 0
	s_cmp_lg_u64 s[0:1], 0
	v_cndmask_b32_e64 v3, v4, v3, s[2:3]
	s_subb_u32 s2, s11, s23
	v_subrev_co_u32_e64 v4, s[0:1], s22, v2
	s_cmp_lg_u64 s[0:1], 0
	s_subb_u32 s2, s2, 0
	v_cmp_ne_u32_e64 s[0:1], 0, v3
	v_cndmask_b32_e64 v2, v2, v4, s[0:1]
	v_mov_b32_e32 v3, s25
	v_mov_b32_e32 v4, s2
	s_cmp_lg_u64 vcc, 0
	v_cndmask_b32_e64 v3, v3, v4, s[0:1]
	s_subb_u32 s0, s27, s9
	s_cmp_ge_u32 s0, s23
	s_cselect_b32 s1, -1, 0
	v_cmp_le_u32_e32 vcc, s22, v1
	s_cmp_eq_u32 s0, s23
	v_cndmask_b32_e64 v4, 0, -1, vcc
	v_mov_b32_e32 v5, s1
	s_cselect_b64 vcc, -1, 0
	v_cndmask_b32_e32 v4, v5, v4, vcc
	v_cmp_ne_u32_e32 vcc, 0, v4
	v_mov_b32_e32 v5, s0
	v_cndmask_b32_e32 v1, v1, v2, vcc
	v_cndmask_b32_e32 v3, v5, v3, vcc
	v_xor_b32_e32 v1, s24, v1
	v_xor_b32_e32 v3, s24, v3
	v_mov_b32_e32 v4, s24
	v_subrev_co_u32_e32 v2, vcc, s24, v1
	v_subb_co_u32_e32 v3, vcc, v3, v4, vcc
	s_cbranch_execnz .LBB67_59
.LBB67_58:
	v_cvt_f32_u32_e32 v1, s8
	s_sub_i32 s0, 0, s8
	v_mov_b32_e32 v3, 0
	v_rcp_iflag_f32_e32 v1, v1
	v_mul_f32_e32 v1, 0x4f7ffffe, v1
	v_cvt_u32_f32_e32 v1, v1
	v_mul_lo_u32 v2, s0, v1
	v_mul_hi_u32 v2, v1, v2
	v_add_u32_e32 v1, v1, v2
	v_mul_hi_u32 v1, s4, v1
	v_mul_lo_u32 v1, v1, s8
	v_sub_u32_e32 v1, s4, v1
	v_subrev_u32_e32 v2, s8, v1
	v_cmp_le_u32_e32 vcc, s8, v1
	v_cndmask_b32_e32 v1, v1, v2, vcc
	v_subrev_u32_e32 v2, s8, v1
	v_cmp_le_u32_e32 vcc, s8, v1
	v_cndmask_b32_e32 v2, v1, v2, vcc
.LBB67_59:
	s_add_u32 s11, s12, s20
	s_addc_u32 s16, s13, s21
	s_lshl_b64 s[0:1], s[6:7], 2
	s_add_u32 s17, s14, s0
	s_addc_u32 s20, s15, s1
	v_mov_b32_e32 v1, s5
	v_sub_co_u32_e32 v10, vcc, s4, v2
	v_subb_co_u32_e32 v11, vcc, v1, v3, vcc
	s_mul_i32 s21, s44, 3
	s_lshl_b32 s22, s44, 1
	s_mov_b64 s[0:1], 0
	v_mov_b32_e32 v12, s46
	v_mov_b32_e32 v13, s19
	v_mov_b32_e32 v14, s48
	s_movk_i32 s23, 0x7fff
	v_mov_b32_e32 v15, 0x7fc00000
	v_mov_b32_e32 v16, 0x7fc0
	;; [unrolled: 1-line block ×3, first 2 shown]
	s_mov_b32 s24, 0x43800000
	s_mov_b32 s25, 0x3bffffff
	;; [unrolled: 1-line block ×4, first 2 shown]
	s_movk_i32 s28, 0x80
	s_mov_b32 s29, 0x4020c0c
	v_mov_b32_e32 v1, 0
	s_branch .LBB67_65
.LBB67_60:                              ;   in Loop: Header=BB67_65 Depth=1
	s_or_b64 exec, exec, s[14:15]
.LBB67_61:                              ;   in Loop: Header=BB67_65 Depth=1
	s_or_b64 exec, exec, s[8:9]
	v_lshlrev_b64 v[8:9], 2, v[0:1]
	v_mov_b32_e32 v0, s16
	v_add_co_u32_e32 v8, vcc, s11, v8
	v_addc_co_u32_e32 v9, vcc, v0, v9, vcc
	v_lshlrev_b32_e32 v0, 16, v7
	v_lshlrev_b32_e32 v3, 8, v3
	v_perm_b32 v0, v4, v0, s29
	v_and_b32_e32 v3, 0xff00, v3
	v_and_b32_e32 v4, 0xff, v6
	s_add_i32 s8, s44, s44
	v_or3_b32 v0, v0, v3, v4
	s_add_i32 s8, s8, s44
	global_store_dword v[8:9], v0, off
	v_add_u32_e32 v0, s8, v2
	v_cmp_le_u32_e32 vcc, s10, v0
	s_orn2_b64 s[8:9], vcc, exec
.LBB67_62:                              ;   in Loop: Header=BB67_65 Depth=1
	s_or_b64 exec, exec, s[6:7]
	s_orn2_b64 s[6:7], s[8:9], exec
.LBB67_63:                              ;   in Loop: Header=BB67_65 Depth=1
	s_or_b64 exec, exec, s[4:5]
	s_orn2_b64 s[4:5], s[6:7], exec
.LBB67_64:                              ;   in Loop: Header=BB67_65 Depth=1
	s_or_b64 exec, exec, s[2:3]
	s_and_b64 s[2:3], exec, s[4:5]
	s_or_b64 s[0:1], s[2:3], s[0:1]
	s_andn2_b64 exec, exec, s[0:1]
	s_cbranch_execz .LBB67_195
.LBB67_65:                              ; =>This Inner Loop Header: Depth=1
	v_lshlrev_b64 v[2:3], 3, v[0:1]
	v_add_co_u32_e32 v4, vcc, s33, v2
	v_addc_co_u32_e32 v5, vcc, v12, v3, vcc
	global_load_dwordx2 v[8:9], v[4:5], off
	v_add_co_u32_e32 v4, vcc, s47, v2
	v_addc_co_u32_e32 v5, vcc, v14, v3, vcc
	global_load_dwordx2 v[18:19], v[4:5], off
	v_add_co_u32_e32 v2, vcc, s18, v2
	v_bfe_u32 v21, v0, 5, 25
	v_addc_co_u32_e32 v3, vcc, v13, v3, vcc
	v_mad_u64_u32 v[6:7], s[2:3], v10, v21, 0
	global_load_dwordx2 v[2:3], v[2:3], off
	v_mov_b32_e32 v20, v7
	v_mad_u64_u32 v[20:21], s[2:3], v11, v21, v[20:21]
	v_mov_b32_e32 v7, v20
	v_lshlrev_b64 v[6:7], 2, v[6:7]
	v_add_co_u32_e32 v6, vcc, s17, v6
	v_addc_co_u32_e32 v7, vcc, v17, v7, vcc
	global_load_dword v7, v[6:7], off
	v_mov_b32_e32 v6, 0x80
	s_waitcnt vmcnt(3)
	v_and_b32_e32 v20, 0xffff0000, v8
	v_lshlrev_b32_e32 v21, 16, v8
	v_alignbit_b32 v8, v9, v8, 16
	v_and_b32_e32 v9, 0xffff0000, v9
	v_and_b32_e32 v26, 0xffff0000, v8
	s_waitcnt vmcnt(2)
	v_alignbit_b32 v24, v19, v18, 16
	v_and_b32_e32 v19, 0xffff0000, v19
	v_and_b32_e32 v22, 0xffff0000, v18
	v_add_f32_e32 v8, v9, v19
	v_lshlrev_b32_e32 v23, 16, v18
	v_add_f32_e32 v18, v20, v22
	v_and_b32_e32 v20, 0xffff0000, v24
	v_bfe_u32 v22, v8, 16, 1
	v_add_f32_e32 v21, v21, v23
	v_add_f32_e32 v9, v26, v20
	v_bfe_u32 v20, v18, 16, 1
	v_add3_u32 v22, v8, v22, s23
	v_bfe_u32 v19, v21, 16, 1
	v_add3_u32 v20, v18, v20, s23
	v_and_b32_e32 v22, 0xffff0000, v22
	v_cmp_o_f32_e32 vcc, v8, v8
	v_mul_f32_e32 v23, v37, v21
	v_add3_u32 v19, v21, v19, s23
	v_bfe_u32 v24, v9, 16, 1
	v_and_b32_e32 v20, 0xffff0000, v20
	v_cndmask_b32_e32 v22, v15, v22, vcc
	v_cmp_o_f32_e32 vcc, v18, v18
	v_bfe_u32 v26, v23, 16, 1
	v_lshrrev_b32_e32 v19, 16, v19
	v_add3_u32 v24, v9, v24, s23
	v_cndmask_b32_e32 v20, v15, v20, vcc
	v_cmp_o_f32_e32 vcc, v21, v21
	v_add3_u32 v26, v23, v26, s23
	v_lshrrev_b32_e32 v24, 16, v24
	v_cndmask_b32_e32 v19, v16, v19, vcc
	v_cmp_o_f32_e32 vcc, v9, v9
	v_and_b32_e32 v21, 0xffff0000, v26
	v_cndmask_b32_e32 v24, v16, v24, vcc
	v_cmp_o_f32_e32 vcc, v23, v23
	s_waitcnt vmcnt(1)
	v_lshlrev_b32_e32 v25, 16, v2
	v_or_b32_e32 v19, v19, v20
	v_cndmask_b32_e32 v23, v15, v21, vcc
	v_or3_b32 v20, v19, 0, 0
	v_mul_f32_e32 v19, v23, v25
	v_or3_b32 v21, 0, v24, v22
	v_bfe_u32 v22, v19, 16, 1
	v_add3_u32 v22, v19, v22, s23
	v_and_b32_e32 v22, 0xffff0000, v22
	v_cmp_o_f32_e32 vcc, v19, v19
	v_cndmask_b32_e32 v19, v15, v22, vcc
	s_waitcnt vmcnt(0)
	v_div_scale_f32 v22, s[2:3], v7, v7, v19
	v_rcp_f32_e32 v23, v22
	global_store_dwordx2 v[4:5], v[20:21], off
	v_div_scale_f32 v4, vcc, v19, v7, v19
	v_fma_f32 v5, -v22, v23, 1.0
	v_fmac_f32_e32 v23, v5, v23
	v_mul_f32_e32 v5, v4, v23
	v_fma_f32 v20, -v22, v5, v4
	v_fmac_f32_e32 v5, v20, v23
	v_fma_f32 v4, -v22, v5, v4
	v_div_fmas_f32 v4, v4, v23, v5
	v_div_fixup_f32 v4, v4, v7, v19
	v_min_f32_e32 v4, 0x43600000, v4
	v_max_f32_e32 v5, 0xc3600000, v4
	v_and_b32_e32 v19, 0x7fffffff, v5
	v_cmp_gt_u32_e32 vcc, s24, v19
	v_mov_b32_e32 v4, 0x80
	s_and_saveexec_b64 s[2:3], vcc
	s_cbranch_execz .LBB67_71
; %bb.66:                               ;   in Loop: Header=BB67_65 Depth=1
	v_cmp_lt_u32_e32 vcc, s25, v19
	s_mov_b64 s[4:5], 0
                                        ; implicit-def: $vgpr19
	s_and_saveexec_b64 s[6:7], vcc
	s_xor_b64 s[6:7], exec, s[6:7]
	s_cbranch_execnz .LBB67_162
; %bb.67:                               ;   in Loop: Header=BB67_65 Depth=1
	s_or_saveexec_b64 s[6:7], s[6:7]
                                        ; implicit-def: $sgpr8
	s_xor_b64 exec, exec, s[6:7]
	s_cbranch_execnz .LBB67_163
.LBB67_68:                              ;   in Loop: Header=BB67_65 Depth=1
	s_or_b64 exec, exec, s[6:7]
	v_mov_b32_e32 v4, s8
	s_and_saveexec_b64 s[6:7], s[4:5]
.LBB67_69:                              ;   in Loop: Header=BB67_65 Depth=1
	v_lshrrev_b32_e32 v4, 24, v5
	v_and_or_b32 v4, v4, s28, v19
.LBB67_70:                              ;   in Loop: Header=BB67_65 Depth=1
	s_or_b64 exec, exec, s[6:7]
.LBB67_71:                              ;   in Loop: Header=BB67_65 Depth=1
	s_or_b64 exec, exec, s[2:3]
	v_mul_f32_e32 v18, v37, v18
	v_bfe_u32 v19, v18, 16, 1
	v_add3_u32 v19, v18, v19, s23
	v_and_b32_e32 v19, 0xffff0000, v19
	v_cmp_o_f32_e32 vcc, v18, v18
	v_and_b32_e32 v5, 0xffff0000, v2
	v_cndmask_b32_e32 v18, v15, v19, vcc
	v_mul_f32_e32 v5, v18, v5
	v_bfe_u32 v18, v5, 16, 1
	v_add3_u32 v18, v5, v18, s23
	v_and_b32_e32 v18, 0xffff0000, v18
	v_cmp_o_f32_e32 vcc, v5, v5
	v_cndmask_b32_e32 v5, v15, v18, vcc
	v_div_scale_f32 v18, s[2:3], v7, v7, v5
	v_rcp_f32_e32 v19, v18
	v_fma_f32 v20, -v18, v19, 1.0
	v_fmac_f32_e32 v19, v20, v19
	v_div_scale_f32 v20, vcc, v5, v7, v5
	v_mul_f32_e32 v21, v20, v19
	v_fma_f32 v22, -v18, v21, v20
	v_fmac_f32_e32 v21, v22, v19
	v_fma_f32 v18, -v18, v21, v20
	v_div_fmas_f32 v18, v18, v19, v21
	v_div_fixup_f32 v5, v18, v7, v5
	v_min_f32_e32 v5, 0x43600000, v5
	v_max_f32_e32 v5, 0xc3600000, v5
	v_and_b32_e32 v18, 0x7fffffff, v5
	v_cmp_gt_u32_e32 vcc, s24, v18
	s_and_saveexec_b64 s[2:3], vcc
	s_cbranch_execz .LBB67_77
; %bb.72:                               ;   in Loop: Header=BB67_65 Depth=1
	v_cmp_lt_u32_e32 vcc, s25, v18
	s_mov_b64 s[4:5], 0
                                        ; implicit-def: $vgpr18
	s_and_saveexec_b64 s[6:7], vcc
	s_xor_b64 s[6:7], exec, s[6:7]
	s_cbranch_execnz .LBB67_164
; %bb.73:                               ;   in Loop: Header=BB67_65 Depth=1
	s_or_saveexec_b64 s[6:7], s[6:7]
                                        ; implicit-def: $sgpr8
	s_xor_b64 exec, exec, s[6:7]
	s_cbranch_execnz .LBB67_165
.LBB67_74:                              ;   in Loop: Header=BB67_65 Depth=1
	s_or_b64 exec, exec, s[6:7]
	v_mov_b32_e32 v6, s8
	s_and_saveexec_b64 s[6:7], s[4:5]
.LBB67_75:                              ;   in Loop: Header=BB67_65 Depth=1
	v_lshrrev_b32_e32 v5, 24, v5
	v_and_or_b32 v6, v5, s28, v18
.LBB67_76:                              ;   in Loop: Header=BB67_65 Depth=1
	s_or_b64 exec, exec, s[6:7]
.LBB67_77:                              ;   in Loop: Header=BB67_65 Depth=1
	s_or_b64 exec, exec, s[2:3]
	v_mul_f32_e32 v5, v37, v9
	v_bfe_u32 v9, v5, 16, 1
	v_add3_u32 v9, v5, v9, s23
	v_and_b32_e32 v9, 0xffff0000, v9
	v_cmp_o_f32_e32 vcc, v5, v5
	v_alignbit_b32 v2, v3, v2, 16
	v_cndmask_b32_e32 v5, v15, v9, vcc
	v_and_b32_e32 v2, 0xffff0000, v2
	v_mul_f32_e32 v2, v5, v2
	v_bfe_u32 v5, v2, 16, 1
	v_add3_u32 v5, v2, v5, s23
	v_and_b32_e32 v5, 0xffff0000, v5
	v_cmp_o_f32_e32 vcc, v2, v2
	v_cndmask_b32_e32 v2, v15, v5, vcc
	v_div_scale_f32 v5, s[2:3], v7, v7, v2
	v_rcp_f32_e32 v9, v5
	v_fma_f32 v18, -v5, v9, 1.0
	v_fmac_f32_e32 v9, v18, v9
	v_div_scale_f32 v18, vcc, v2, v7, v2
	v_mul_f32_e32 v19, v18, v9
	v_fma_f32 v20, -v5, v19, v18
	v_fmac_f32_e32 v19, v20, v9
	v_fma_f32 v5, -v5, v19, v18
	v_div_fmas_f32 v5, v5, v9, v19
	v_div_fixup_f32 v2, v5, v7, v2
	v_min_f32_e32 v2, 0x43600000, v2
	v_max_f32_e32 v9, 0xc3600000, v2
	v_and_b32_e32 v18, 0x7fffffff, v9
	v_cmp_gt_u32_e32 vcc, s24, v18
	v_mov_b32_e32 v2, 0x80
	v_mov_b32_e32 v5, 0x80
	s_and_saveexec_b64 s[2:3], vcc
	s_cbranch_execz .LBB67_83
; %bb.78:                               ;   in Loop: Header=BB67_65 Depth=1
	v_cmp_lt_u32_e32 vcc, s25, v18
	s_mov_b64 s[4:5], 0
                                        ; implicit-def: $vgpr18
	s_and_saveexec_b64 s[6:7], vcc
	s_xor_b64 s[6:7], exec, s[6:7]
	s_cbranch_execnz .LBB67_166
; %bb.79:                               ;   in Loop: Header=BB67_65 Depth=1
	s_or_saveexec_b64 s[6:7], s[6:7]
                                        ; implicit-def: $sgpr8
	s_xor_b64 exec, exec, s[6:7]
	s_cbranch_execnz .LBB67_167
.LBB67_80:                              ;   in Loop: Header=BB67_65 Depth=1
	s_or_b64 exec, exec, s[6:7]
	v_mov_b32_e32 v5, s8
	s_and_saveexec_b64 s[6:7], s[4:5]
.LBB67_81:                              ;   in Loop: Header=BB67_65 Depth=1
	v_lshrrev_b32_e32 v5, 24, v9
	v_and_or_b32 v5, v5, s28, v18
.LBB67_82:                              ;   in Loop: Header=BB67_65 Depth=1
	s_or_b64 exec, exec, s[6:7]
.LBB67_83:                              ;   in Loop: Header=BB67_65 Depth=1
	s_or_b64 exec, exec, s[2:3]
	v_mul_f32_e32 v8, v37, v8
	v_bfe_u32 v9, v8, 16, 1
	v_add3_u32 v9, v8, v9, s23
	v_and_b32_e32 v9, 0xffff0000, v9
	v_cmp_o_f32_e32 vcc, v8, v8
	v_cndmask_b32_e32 v8, v15, v9, vcc
	v_and_b32_e32 v3, 0xffff0000, v3
	v_mul_f32_e32 v3, v8, v3
	v_bfe_u32 v8, v3, 16, 1
	v_add3_u32 v8, v3, v8, s23
	v_and_b32_e32 v8, 0xffff0000, v8
	v_cmp_o_f32_e32 vcc, v3, v3
	v_cndmask_b32_e32 v3, v15, v8, vcc
	v_div_scale_f32 v8, s[2:3], v7, v7, v3
	v_rcp_f32_e32 v9, v8
	v_fma_f32 v18, -v8, v9, 1.0
	v_fmac_f32_e32 v9, v18, v9
	v_div_scale_f32 v18, vcc, v3, v7, v3
	v_mul_f32_e32 v19, v18, v9
	v_fma_f32 v20, -v8, v19, v18
	v_fmac_f32_e32 v19, v20, v9
	v_fma_f32 v8, -v8, v19, v18
	v_div_fmas_f32 v8, v8, v9, v19
	v_div_fixup_f32 v3, v8, v7, v3
	v_min_f32_e32 v3, 0x43600000, v3
	v_max_f32_e32 v3, 0xc3600000, v3
	v_and_b32_e32 v7, 0x7fffffff, v3
	v_cmp_gt_u32_e32 vcc, s24, v7
	s_and_saveexec_b64 s[2:3], vcc
	s_cbranch_execz .LBB67_89
; %bb.84:                               ;   in Loop: Header=BB67_65 Depth=1
	v_cmp_lt_u32_e32 vcc, s25, v7
	s_mov_b64 s[4:5], 0
                                        ; implicit-def: $vgpr7
	s_and_saveexec_b64 s[6:7], vcc
	s_xor_b64 s[6:7], exec, s[6:7]
	s_cbranch_execnz .LBB67_168
; %bb.85:                               ;   in Loop: Header=BB67_65 Depth=1
	s_or_saveexec_b64 s[6:7], s[6:7]
                                        ; implicit-def: $sgpr8
	s_xor_b64 exec, exec, s[6:7]
	s_cbranch_execnz .LBB67_169
.LBB67_86:                              ;   in Loop: Header=BB67_65 Depth=1
	s_or_b64 exec, exec, s[6:7]
	v_mov_b32_e32 v2, s8
	s_and_saveexec_b64 s[6:7], s[4:5]
.LBB67_87:                              ;   in Loop: Header=BB67_65 Depth=1
	v_lshrrev_b32_e32 v2, 24, v3
	v_and_or_b32 v2, v2, s28, v7
.LBB67_88:                              ;   in Loop: Header=BB67_65 Depth=1
	s_or_b64 exec, exec, s[6:7]
.LBB67_89:                              ;   in Loop: Header=BB67_65 Depth=1
	s_or_b64 exec, exec, s[2:3]
	v_lshlrev_b64 v[8:9], 2, v[0:1]
	v_mov_b32_e32 v3, s16
	v_add_co_u32_e32 v8, vcc, s11, v8
	v_addc_co_u32_e32 v9, vcc, v3, v9, vcc
	v_lshlrev_b32_e32 v3, 16, v5
	v_perm_b32 v2, v2, v3, s29
	v_lshlrev_b32_e32 v3, 8, v6
	v_and_b32_e32 v3, 0xff00, v3
	v_and_b32_e32 v4, 0xff, v4
	v_or3_b32 v2, v2, v3, v4
	global_store_dword v[8:9], v2, off
	v_add_u32_e32 v2, s44, v0
	v_cmp_gt_u32_e32 vcc, s10, v2
	s_mov_b64 s[4:5], -1
	s_and_saveexec_b64 s[2:3], vcc
	s_cbranch_execz .LBB67_64
; %bb.90:                               ;   in Loop: Header=BB67_65 Depth=1
	v_mov_b32_e32 v3, v1
	v_lshlrev_b64 v[4:5], 3, v[2:3]
	v_mov_b32_e32 v7, s46
	v_add_co_u32_e32 v6, vcc, s33, v4
	v_addc_co_u32_e32 v7, vcc, v7, v5, vcc
	global_load_dwordx2 v[18:19], v[6:7], off
	v_mov_b32_e32 v7, s48
	v_add_co_u32_e32 v6, vcc, s47, v4
	v_addc_co_u32_e32 v7, vcc, v7, v5, vcc
	global_load_dwordx2 v[20:21], v[6:7], off
	v_mov_b32_e32 v8, s19
	v_add_co_u32_e32 v4, vcc, s18, v4
	v_bfe_u32 v23, v2, 5, 25
	v_addc_co_u32_e32 v5, vcc, v8, v5, vcc
	v_mad_u64_u32 v[8:9], s[4:5], v10, v23, 0
	global_load_dwordx2 v[4:5], v[4:5], off
	v_mov_b32_e32 v22, v9
	v_mad_u64_u32 v[22:23], s[4:5], v11, v23, v[22:23]
	v_mov_b32_e32 v9, v22
	v_lshlrev_b64 v[8:9], 2, v[8:9]
	v_mov_b32_e32 v24, s20
	v_add_co_u32_e32 v8, vcc, s17, v8
	v_addc_co_u32_e32 v9, vcc, v24, v9, vcc
	global_load_dword v9, v[8:9], off
	v_mov_b32_e32 v8, 0x80
	s_waitcnt vmcnt(3)
	v_and_b32_e32 v22, 0xffff0000, v18
	v_lshlrev_b32_e32 v23, 16, v18
	v_alignbit_b32 v18, v19, v18, 16
	v_and_b32_e32 v19, 0xffff0000, v19
	v_and_b32_e32 v28, 0xffff0000, v18
	s_waitcnt vmcnt(2)
	v_alignbit_b32 v26, v21, v20, 16
	v_and_b32_e32 v21, 0xffff0000, v21
	v_and_b32_e32 v24, 0xffff0000, v20
	v_add_f32_e32 v18, v19, v21
	v_lshlrev_b32_e32 v25, 16, v20
	v_add_f32_e32 v20, v22, v24
	v_and_b32_e32 v22, 0xffff0000, v26
	v_bfe_u32 v24, v18, 16, 1
	v_add_f32_e32 v23, v23, v25
	v_add_f32_e32 v19, v28, v22
	v_bfe_u32 v22, v20, 16, 1
	v_add3_u32 v24, v18, v24, s23
	v_bfe_u32 v21, v23, 16, 1
	v_add3_u32 v22, v20, v22, s23
	v_and_b32_e32 v24, 0xffff0000, v24
	v_cmp_o_f32_e32 vcc, v18, v18
	v_mul_f32_e32 v25, v37, v23
	v_add3_u32 v21, v23, v21, s23
	v_bfe_u32 v26, v19, 16, 1
	v_and_b32_e32 v22, 0xffff0000, v22
	v_cndmask_b32_e32 v24, v15, v24, vcc
	v_cmp_o_f32_e32 vcc, v20, v20
	v_bfe_u32 v28, v25, 16, 1
	v_lshrrev_b32_e32 v21, 16, v21
	v_add3_u32 v26, v19, v26, s23
	v_cndmask_b32_e32 v22, v15, v22, vcc
	v_cmp_o_f32_e32 vcc, v23, v23
	v_add3_u32 v28, v25, v28, s23
	v_lshrrev_b32_e32 v26, 16, v26
	v_cndmask_b32_e32 v21, v16, v21, vcc
	v_cmp_o_f32_e32 vcc, v19, v19
	v_and_b32_e32 v23, 0xffff0000, v28
	v_cndmask_b32_e32 v26, v16, v26, vcc
	v_cmp_o_f32_e32 vcc, v25, v25
	s_waitcnt vmcnt(1)
	v_lshlrev_b32_e32 v27, 16, v4
	v_or_b32_e32 v21, v21, v22
	v_cndmask_b32_e32 v25, v15, v23, vcc
	v_or3_b32 v22, v21, 0, 0
	v_mul_f32_e32 v21, v25, v27
	v_or3_b32 v23, 0, v26, v24
	v_bfe_u32 v24, v21, 16, 1
	v_add3_u32 v24, v21, v24, s23
	v_and_b32_e32 v24, 0xffff0000, v24
	v_cmp_o_f32_e32 vcc, v21, v21
	v_cndmask_b32_e32 v21, v15, v24, vcc
	s_waitcnt vmcnt(0)
	v_div_scale_f32 v24, s[4:5], v9, v9, v21
	v_rcp_f32_e32 v25, v24
	global_store_dwordx2 v[6:7], v[22:23], off
	v_div_scale_f32 v6, vcc, v21, v9, v21
	v_fma_f32 v7, -v24, v25, 1.0
	v_fmac_f32_e32 v25, v7, v25
	v_mul_f32_e32 v7, v6, v25
	v_fma_f32 v22, -v24, v7, v6
	v_fmac_f32_e32 v7, v22, v25
	v_fma_f32 v6, -v24, v7, v6
	v_div_fmas_f32 v6, v6, v25, v7
	v_div_fixup_f32 v6, v6, v9, v21
	v_min_f32_e32 v6, 0x43600000, v6
	v_max_f32_e32 v7, 0xc3600000, v6
	v_and_b32_e32 v21, 0x7fffffff, v7
	v_cmp_gt_u32_e32 vcc, s24, v21
	v_mov_b32_e32 v6, 0x80
	s_and_saveexec_b64 s[4:5], vcc
	s_cbranch_execz .LBB67_96
; %bb.91:                               ;   in Loop: Header=BB67_65 Depth=1
	v_cmp_lt_u32_e32 vcc, s25, v21
	s_mov_b64 s[6:7], 0
                                        ; implicit-def: $vgpr21
	s_and_saveexec_b64 s[8:9], vcc
	s_xor_b64 s[8:9], exec, s[8:9]
	s_cbranch_execnz .LBB67_170
; %bb.92:                               ;   in Loop: Header=BB67_65 Depth=1
	s_or_saveexec_b64 s[8:9], s[8:9]
                                        ; implicit-def: $sgpr12
	s_xor_b64 exec, exec, s[8:9]
	s_cbranch_execnz .LBB67_171
.LBB67_93:                              ;   in Loop: Header=BB67_65 Depth=1
	s_or_b64 exec, exec, s[8:9]
	v_mov_b32_e32 v6, s12
	s_and_saveexec_b64 s[8:9], s[6:7]
.LBB67_94:                              ;   in Loop: Header=BB67_65 Depth=1
	v_lshrrev_b32_e32 v6, 24, v7
	v_and_or_b32 v6, v6, s28, v21
.LBB67_95:                              ;   in Loop: Header=BB67_65 Depth=1
	s_or_b64 exec, exec, s[8:9]
.LBB67_96:                              ;   in Loop: Header=BB67_65 Depth=1
	s_or_b64 exec, exec, s[4:5]
	v_mul_f32_e32 v20, v37, v20
	v_bfe_u32 v21, v20, 16, 1
	v_add3_u32 v21, v20, v21, s23
	v_and_b32_e32 v21, 0xffff0000, v21
	v_cmp_o_f32_e32 vcc, v20, v20
	v_and_b32_e32 v7, 0xffff0000, v4
	v_cndmask_b32_e32 v20, v15, v21, vcc
	v_mul_f32_e32 v7, v20, v7
	v_bfe_u32 v20, v7, 16, 1
	v_add3_u32 v20, v7, v20, s23
	v_and_b32_e32 v20, 0xffff0000, v20
	v_cmp_o_f32_e32 vcc, v7, v7
	v_cndmask_b32_e32 v7, v15, v20, vcc
	v_div_scale_f32 v20, s[4:5], v9, v9, v7
	v_rcp_f32_e32 v21, v20
	v_fma_f32 v22, -v20, v21, 1.0
	v_fmac_f32_e32 v21, v22, v21
	v_div_scale_f32 v22, vcc, v7, v9, v7
	v_mul_f32_e32 v23, v22, v21
	v_fma_f32 v24, -v20, v23, v22
	v_fmac_f32_e32 v23, v24, v21
	v_fma_f32 v20, -v20, v23, v22
	v_div_fmas_f32 v20, v20, v21, v23
	v_div_fixup_f32 v7, v20, v9, v7
	v_min_f32_e32 v7, 0x43600000, v7
	v_max_f32_e32 v7, 0xc3600000, v7
	v_and_b32_e32 v20, 0x7fffffff, v7
	v_cmp_gt_u32_e32 vcc, s24, v20
	s_and_saveexec_b64 s[4:5], vcc
	s_cbranch_execz .LBB67_102
; %bb.97:                               ;   in Loop: Header=BB67_65 Depth=1
	v_cmp_lt_u32_e32 vcc, s25, v20
	s_mov_b64 s[6:7], 0
                                        ; implicit-def: $vgpr20
	s_and_saveexec_b64 s[8:9], vcc
	s_xor_b64 s[8:9], exec, s[8:9]
	s_cbranch_execnz .LBB67_172
; %bb.98:                               ;   in Loop: Header=BB67_65 Depth=1
	s_or_saveexec_b64 s[8:9], s[8:9]
                                        ; implicit-def: $sgpr12
	s_xor_b64 exec, exec, s[8:9]
	s_cbranch_execnz .LBB67_173
.LBB67_99:                              ;   in Loop: Header=BB67_65 Depth=1
	s_or_b64 exec, exec, s[8:9]
	v_mov_b32_e32 v8, s12
	s_and_saveexec_b64 s[8:9], s[6:7]
.LBB67_100:                             ;   in Loop: Header=BB67_65 Depth=1
	v_lshrrev_b32_e32 v7, 24, v7
	v_and_or_b32 v8, v7, s28, v20
.LBB67_101:                             ;   in Loop: Header=BB67_65 Depth=1
	s_or_b64 exec, exec, s[8:9]
.LBB67_102:                             ;   in Loop: Header=BB67_65 Depth=1
	s_or_b64 exec, exec, s[4:5]
	v_mul_f32_e32 v7, v37, v19
	v_bfe_u32 v19, v7, 16, 1
	v_add3_u32 v19, v7, v19, s23
	v_and_b32_e32 v19, 0xffff0000, v19
	v_cmp_o_f32_e32 vcc, v7, v7
	v_alignbit_b32 v4, v5, v4, 16
	v_cndmask_b32_e32 v7, v15, v19, vcc
	v_and_b32_e32 v4, 0xffff0000, v4
	v_mul_f32_e32 v4, v7, v4
	v_bfe_u32 v7, v4, 16, 1
	v_add3_u32 v7, v4, v7, s23
	v_and_b32_e32 v7, 0xffff0000, v7
	v_cmp_o_f32_e32 vcc, v4, v4
	v_cndmask_b32_e32 v4, v15, v7, vcc
	v_div_scale_f32 v7, s[4:5], v9, v9, v4
	v_rcp_f32_e32 v19, v7
	v_fma_f32 v20, -v7, v19, 1.0
	v_fmac_f32_e32 v19, v20, v19
	v_div_scale_f32 v20, vcc, v4, v9, v4
	v_mul_f32_e32 v21, v20, v19
	v_fma_f32 v22, -v7, v21, v20
	v_fmac_f32_e32 v21, v22, v19
	v_fma_f32 v7, -v7, v21, v20
	v_div_fmas_f32 v7, v7, v19, v21
	v_div_fixup_f32 v4, v7, v9, v4
	v_min_f32_e32 v4, 0x43600000, v4
	v_max_f32_e32 v19, 0xc3600000, v4
	v_and_b32_e32 v20, 0x7fffffff, v19
	v_cmp_gt_u32_e32 vcc, s24, v20
	v_mov_b32_e32 v4, 0x80
	v_mov_b32_e32 v7, 0x80
	s_and_saveexec_b64 s[4:5], vcc
	s_cbranch_execz .LBB67_108
; %bb.103:                              ;   in Loop: Header=BB67_65 Depth=1
	v_cmp_lt_u32_e32 vcc, s25, v20
	s_mov_b64 s[6:7], 0
                                        ; implicit-def: $vgpr20
	s_and_saveexec_b64 s[8:9], vcc
	s_xor_b64 s[8:9], exec, s[8:9]
	s_cbranch_execnz .LBB67_174
; %bb.104:                              ;   in Loop: Header=BB67_65 Depth=1
	s_or_saveexec_b64 s[8:9], s[8:9]
                                        ; implicit-def: $sgpr12
	s_xor_b64 exec, exec, s[8:9]
	s_cbranch_execnz .LBB67_175
.LBB67_105:                             ;   in Loop: Header=BB67_65 Depth=1
	s_or_b64 exec, exec, s[8:9]
	v_mov_b32_e32 v7, s12
	s_and_saveexec_b64 s[8:9], s[6:7]
.LBB67_106:                             ;   in Loop: Header=BB67_65 Depth=1
	v_lshrrev_b32_e32 v7, 24, v19
	v_and_or_b32 v7, v7, s28, v20
.LBB67_107:                             ;   in Loop: Header=BB67_65 Depth=1
	s_or_b64 exec, exec, s[8:9]
.LBB67_108:                             ;   in Loop: Header=BB67_65 Depth=1
	s_or_b64 exec, exec, s[4:5]
	v_mul_f32_e32 v18, v37, v18
	v_bfe_u32 v19, v18, 16, 1
	v_add3_u32 v19, v18, v19, s23
	v_and_b32_e32 v19, 0xffff0000, v19
	v_cmp_o_f32_e32 vcc, v18, v18
	v_cndmask_b32_e32 v18, v15, v19, vcc
	v_and_b32_e32 v5, 0xffff0000, v5
	v_mul_f32_e32 v5, v18, v5
	v_bfe_u32 v18, v5, 16, 1
	v_add3_u32 v18, v5, v18, s23
	v_and_b32_e32 v18, 0xffff0000, v18
	v_cmp_o_f32_e32 vcc, v5, v5
	v_cndmask_b32_e32 v5, v15, v18, vcc
	v_div_scale_f32 v18, s[4:5], v9, v9, v5
	v_rcp_f32_e32 v19, v18
	v_fma_f32 v20, -v18, v19, 1.0
	v_fmac_f32_e32 v19, v20, v19
	v_div_scale_f32 v20, vcc, v5, v9, v5
	v_mul_f32_e32 v21, v20, v19
	v_fma_f32 v22, -v18, v21, v20
	v_fmac_f32_e32 v21, v22, v19
	v_fma_f32 v18, -v18, v21, v20
	v_div_fmas_f32 v18, v18, v19, v21
	v_div_fixup_f32 v5, v18, v9, v5
	v_min_f32_e32 v5, 0x43600000, v5
	v_max_f32_e32 v5, 0xc3600000, v5
	v_and_b32_e32 v9, 0x7fffffff, v5
	v_cmp_gt_u32_e32 vcc, s24, v9
	s_and_saveexec_b64 s[4:5], vcc
	s_cbranch_execz .LBB67_114
; %bb.109:                              ;   in Loop: Header=BB67_65 Depth=1
	v_cmp_lt_u32_e32 vcc, s25, v9
	s_mov_b64 s[6:7], 0
                                        ; implicit-def: $vgpr9
	s_and_saveexec_b64 s[8:9], vcc
	s_xor_b64 s[8:9], exec, s[8:9]
	s_cbranch_execnz .LBB67_176
; %bb.110:                              ;   in Loop: Header=BB67_65 Depth=1
	s_or_saveexec_b64 s[8:9], s[8:9]
                                        ; implicit-def: $sgpr12
	s_xor_b64 exec, exec, s[8:9]
	s_cbranch_execnz .LBB67_177
.LBB67_111:                             ;   in Loop: Header=BB67_65 Depth=1
	s_or_b64 exec, exec, s[8:9]
	v_mov_b32_e32 v4, s12
	s_and_saveexec_b64 s[8:9], s[6:7]
.LBB67_112:                             ;   in Loop: Header=BB67_65 Depth=1
	v_lshrrev_b32_e32 v4, 24, v5
	v_and_or_b32 v4, v4, s28, v9
.LBB67_113:                             ;   in Loop: Header=BB67_65 Depth=1
	s_or_b64 exec, exec, s[8:9]
.LBB67_114:                             ;   in Loop: Header=BB67_65 Depth=1
	s_or_b64 exec, exec, s[4:5]
	v_lshlrev_b64 v[18:19], 2, v[2:3]
	v_mov_b32_e32 v3, s16
	v_add_co_u32_e32 v18, vcc, s11, v18
	v_addc_co_u32_e32 v19, vcc, v3, v19, vcc
	v_lshlrev_b32_e32 v3, 16, v7
	v_perm_b32 v3, v4, v3, s29
	v_lshlrev_b32_e32 v4, 8, v8
	v_and_b32_e32 v4, 0xff00, v4
	v_and_b32_e32 v5, 0xff, v6
	v_or3_b32 v3, v3, v4, v5
	v_add_u32_e32 v4, s22, v0
	v_cmp_gt_u32_e32 vcc, s10, v4
	s_mov_b64 s[6:7], -1
	global_store_dword v[18:19], v3, off
	s_and_saveexec_b64 s[4:5], vcc
	s_cbranch_execz .LBB67_63
; %bb.115:                              ;   in Loop: Header=BB67_65 Depth=1
	v_mov_b32_e32 v5, v1
	v_lshlrev_b64 v[6:7], 3, v[4:5]
	v_mov_b32_e32 v3, s46
	v_add_co_u32_e32 v8, vcc, s33, v6
	v_addc_co_u32_e32 v9, vcc, v3, v7, vcc
	global_load_dwordx2 v[20:21], v[8:9], off
	v_mov_b32_e32 v9, s48
	v_add_co_u32_e32 v8, vcc, s47, v6
	v_addc_co_u32_e32 v9, vcc, v9, v7, vcc
	global_load_dwordx2 v[22:23], v[8:9], off
	v_mov_b32_e32 v3, s19
	v_add_co_u32_e32 v6, vcc, s18, v6
	v_addc_co_u32_e32 v7, vcc, v3, v7, vcc
	v_bfe_u32 v3, v4, 5, 25
	v_mad_u64_u32 v[18:19], s[6:7], v10, v3, 0
	global_load_dwordx2 v[6:7], v[6:7], off
	v_mov_b32_e32 v24, v19
	v_mad_u64_u32 v[24:25], s[6:7], v11, v3, v[24:25]
	v_mov_b32_e32 v19, v24
	v_lshlrev_b64 v[18:19], 2, v[18:19]
	v_mov_b32_e32 v26, s20
	v_add_co_u32_e32 v18, vcc, s17, v18
	v_addc_co_u32_e32 v19, vcc, v26, v19, vcc
	global_load_dword v18, v[18:19], off
	v_mov_b32_e32 v3, 0x80
	s_waitcnt vmcnt(3)
	v_and_b32_e32 v19, 0xffff0000, v20
	v_lshlrev_b32_e32 v24, 16, v20
	v_alignbit_b32 v20, v21, v20, 16
	v_and_b32_e32 v25, 0xffff0000, v21
	v_and_b32_e32 v20, 0xffff0000, v20
	s_waitcnt vmcnt(2)
	v_and_b32_e32 v21, 0xffff0000, v22
	v_lshlrev_b32_e32 v26, 16, v22
	v_alignbit_b32 v22, v23, v22, 16
	v_and_b32_e32 v23, 0xffff0000, v23
	v_add_f32_e32 v21, v19, v21
	v_add_f32_e32 v19, v25, v23
	v_bfe_u32 v25, v19, 16, 1
	v_add_f32_e32 v24, v24, v26
	v_and_b32_e32 v22, 0xffff0000, v22
	v_bfe_u32 v23, v21, 16, 1
	v_add3_u32 v25, v19, v25, s23
	v_add_f32_e32 v20, v20, v22
	v_bfe_u32 v22, v24, 16, 1
	v_add3_u32 v23, v21, v23, s23
	v_and_b32_e32 v25, 0xffff0000, v25
	v_cmp_o_f32_e32 vcc, v19, v19
	v_mul_f32_e32 v26, v37, v24
	v_add3_u32 v22, v24, v22, s23
	v_bfe_u32 v28, v20, 16, 1
	v_and_b32_e32 v23, 0xffff0000, v23
	v_cndmask_b32_e32 v25, v15, v25, vcc
	v_cmp_o_f32_e32 vcc, v21, v21
	v_bfe_u32 v29, v26, 16, 1
	v_lshrrev_b32_e32 v22, 16, v22
	v_add3_u32 v28, v20, v28, s23
	v_cndmask_b32_e32 v23, v15, v23, vcc
	v_cmp_o_f32_e32 vcc, v24, v24
	v_add3_u32 v29, v26, v29, s23
	v_lshrrev_b32_e32 v28, 16, v28
	v_cndmask_b32_e32 v22, v16, v22, vcc
	v_cmp_o_f32_e32 vcc, v20, v20
	v_and_b32_e32 v24, 0xffff0000, v29
	v_cndmask_b32_e32 v28, v16, v28, vcc
	v_cmp_o_f32_e32 vcc, v26, v26
	s_waitcnt vmcnt(1)
	v_lshlrev_b32_e32 v27, 16, v6
	v_cndmask_b32_e32 v24, v15, v24, vcc
	v_mul_f32_e32 v24, v24, v27
	v_or_b32_e32 v22, v22, v23
	v_or3_b32 v23, 0, v28, v25
	v_bfe_u32 v25, v24, 16, 1
	v_add3_u32 v25, v24, v25, s23
	v_and_b32_e32 v25, 0xffff0000, v25
	v_cmp_o_f32_e32 vcc, v24, v24
	v_cndmask_b32_e32 v24, v15, v25, vcc
	s_waitcnt vmcnt(0)
	v_div_scale_f32 v25, s[6:7], v18, v18, v24
	v_rcp_f32_e32 v26, v25
	v_or3_b32 v22, v22, 0, 0
	global_store_dwordx2 v[8:9], v[22:23], off
	v_div_scale_f32 v8, vcc, v24, v18, v24
	v_fma_f32 v9, -v25, v26, 1.0
	v_fmac_f32_e32 v26, v9, v26
	v_mul_f32_e32 v9, v8, v26
	v_fma_f32 v22, -v25, v9, v8
	v_fmac_f32_e32 v9, v22, v26
	v_fma_f32 v8, -v25, v9, v8
	v_div_fmas_f32 v8, v8, v26, v9
	v_div_fixup_f32 v8, v8, v18, v24
	v_min_f32_e32 v8, 0x43600000, v8
	v_max_f32_e32 v9, 0xc3600000, v8
	v_and_b32_e32 v22, 0x7fffffff, v9
	v_cmp_gt_u32_e32 vcc, s24, v22
	v_mov_b32_e32 v8, 0x80
	s_and_saveexec_b64 s[6:7], vcc
	s_cbranch_execz .LBB67_121
; %bb.116:                              ;   in Loop: Header=BB67_65 Depth=1
	v_cmp_lt_u32_e32 vcc, s25, v22
	s_mov_b64 s[8:9], 0
                                        ; implicit-def: $vgpr22
	s_and_saveexec_b64 s[12:13], vcc
	s_xor_b64 s[12:13], exec, s[12:13]
	s_cbranch_execnz .LBB67_178
; %bb.117:                              ;   in Loop: Header=BB67_65 Depth=1
	s_or_saveexec_b64 s[12:13], s[12:13]
                                        ; implicit-def: $sgpr14
	s_xor_b64 exec, exec, s[12:13]
	s_cbranch_execnz .LBB67_179
.LBB67_118:                             ;   in Loop: Header=BB67_65 Depth=1
	s_or_b64 exec, exec, s[12:13]
	v_mov_b32_e32 v8, s14
	s_and_saveexec_b64 s[12:13], s[8:9]
.LBB67_119:                             ;   in Loop: Header=BB67_65 Depth=1
	v_lshrrev_b32_e32 v8, 24, v9
	v_and_or_b32 v8, v8, s28, v22
.LBB67_120:                             ;   in Loop: Header=BB67_65 Depth=1
	s_or_b64 exec, exec, s[12:13]
.LBB67_121:                             ;   in Loop: Header=BB67_65 Depth=1
	s_or_b64 exec, exec, s[6:7]
	v_mul_f32_e32 v21, v37, v21
	v_bfe_u32 v22, v21, 16, 1
	v_add3_u32 v22, v21, v22, s23
	v_and_b32_e32 v22, 0xffff0000, v22
	v_cmp_o_f32_e32 vcc, v21, v21
	v_and_b32_e32 v9, 0xffff0000, v6
	v_cndmask_b32_e32 v21, v15, v22, vcc
	v_mul_f32_e32 v9, v21, v9
	v_bfe_u32 v21, v9, 16, 1
	v_add3_u32 v21, v9, v21, s23
	v_and_b32_e32 v21, 0xffff0000, v21
	v_cmp_o_f32_e32 vcc, v9, v9
	v_cndmask_b32_e32 v9, v15, v21, vcc
	v_div_scale_f32 v21, s[6:7], v18, v18, v9
	v_rcp_f32_e32 v22, v21
	v_fma_f32 v23, -v21, v22, 1.0
	v_fmac_f32_e32 v22, v23, v22
	v_div_scale_f32 v23, vcc, v9, v18, v9
	v_mul_f32_e32 v24, v23, v22
	v_fma_f32 v25, -v21, v24, v23
	v_fmac_f32_e32 v24, v25, v22
	v_fma_f32 v21, -v21, v24, v23
	v_div_fmas_f32 v21, v21, v22, v24
	v_div_fixup_f32 v9, v21, v18, v9
	v_min_f32_e32 v9, 0x43600000, v9
	v_max_f32_e32 v9, 0xc3600000, v9
	v_and_b32_e32 v21, 0x7fffffff, v9
	v_cmp_gt_u32_e32 vcc, s24, v21
	s_and_saveexec_b64 s[6:7], vcc
	s_cbranch_execz .LBB67_127
; %bb.122:                              ;   in Loop: Header=BB67_65 Depth=1
	v_cmp_lt_u32_e32 vcc, s25, v21
	s_mov_b64 s[8:9], 0
                                        ; implicit-def: $vgpr21
	s_and_saveexec_b64 s[12:13], vcc
	s_xor_b64 s[12:13], exec, s[12:13]
	s_cbranch_execnz .LBB67_180
; %bb.123:                              ;   in Loop: Header=BB67_65 Depth=1
	s_or_saveexec_b64 s[12:13], s[12:13]
                                        ; implicit-def: $sgpr14
	s_xor_b64 exec, exec, s[12:13]
	s_cbranch_execnz .LBB67_181
.LBB67_124:                             ;   in Loop: Header=BB67_65 Depth=1
	s_or_b64 exec, exec, s[12:13]
	v_mov_b32_e32 v3, s14
	s_and_saveexec_b64 s[12:13], s[8:9]
.LBB67_125:                             ;   in Loop: Header=BB67_65 Depth=1
	v_lshrrev_b32_e32 v3, 24, v9
	v_and_or_b32 v3, v3, s28, v21
.LBB67_126:                             ;   in Loop: Header=BB67_65 Depth=1
	s_or_b64 exec, exec, s[12:13]
.LBB67_127:                             ;   in Loop: Header=BB67_65 Depth=1
	s_or_b64 exec, exec, s[6:7]
	v_mul_f32_e32 v9, v37, v20
	v_bfe_u32 v20, v9, 16, 1
	v_add3_u32 v20, v9, v20, s23
	v_and_b32_e32 v20, 0xffff0000, v20
	v_cmp_o_f32_e32 vcc, v9, v9
	v_alignbit_b32 v6, v7, v6, 16
	v_cndmask_b32_e32 v9, v15, v20, vcc
	v_and_b32_e32 v6, 0xffff0000, v6
	v_mul_f32_e32 v6, v9, v6
	v_bfe_u32 v9, v6, 16, 1
	v_add3_u32 v9, v6, v9, s23
	v_and_b32_e32 v9, 0xffff0000, v9
	v_cmp_o_f32_e32 vcc, v6, v6
	v_cndmask_b32_e32 v6, v15, v9, vcc
	v_div_scale_f32 v9, s[6:7], v18, v18, v6
	v_rcp_f32_e32 v20, v9
	v_fma_f32 v21, -v9, v20, 1.0
	v_fmac_f32_e32 v20, v21, v20
	v_div_scale_f32 v21, vcc, v6, v18, v6
	v_mul_f32_e32 v22, v21, v20
	v_fma_f32 v23, -v9, v22, v21
	v_fmac_f32_e32 v22, v23, v20
	v_fma_f32 v9, -v9, v22, v21
	v_div_fmas_f32 v9, v9, v20, v22
	v_div_fixup_f32 v6, v9, v18, v6
	v_min_f32_e32 v6, 0x43600000, v6
	v_max_f32_e32 v20, 0xc3600000, v6
	v_and_b32_e32 v21, 0x7fffffff, v20
	v_cmp_gt_u32_e32 vcc, s24, v21
	v_mov_b32_e32 v6, 0x80
	v_mov_b32_e32 v9, 0x80
	s_and_saveexec_b64 s[6:7], vcc
	s_cbranch_execz .LBB67_133
; %bb.128:                              ;   in Loop: Header=BB67_65 Depth=1
	v_cmp_lt_u32_e32 vcc, s25, v21
	s_mov_b64 s[8:9], 0
                                        ; implicit-def: $vgpr21
	s_and_saveexec_b64 s[12:13], vcc
	s_xor_b64 s[12:13], exec, s[12:13]
	s_cbranch_execnz .LBB67_182
; %bb.129:                              ;   in Loop: Header=BB67_65 Depth=1
	s_or_saveexec_b64 s[12:13], s[12:13]
                                        ; implicit-def: $sgpr14
	s_xor_b64 exec, exec, s[12:13]
	s_cbranch_execnz .LBB67_183
.LBB67_130:                             ;   in Loop: Header=BB67_65 Depth=1
	s_or_b64 exec, exec, s[12:13]
	v_mov_b32_e32 v9, s14
	s_and_saveexec_b64 s[12:13], s[8:9]
.LBB67_131:                             ;   in Loop: Header=BB67_65 Depth=1
	v_lshrrev_b32_e32 v9, 24, v20
	v_and_or_b32 v9, v9, s28, v21
.LBB67_132:                             ;   in Loop: Header=BB67_65 Depth=1
	s_or_b64 exec, exec, s[12:13]
.LBB67_133:                             ;   in Loop: Header=BB67_65 Depth=1
	s_or_b64 exec, exec, s[6:7]
	v_mul_f32_e32 v19, v37, v19
	v_bfe_u32 v20, v19, 16, 1
	v_add3_u32 v20, v19, v20, s23
	v_and_b32_e32 v20, 0xffff0000, v20
	v_cmp_o_f32_e32 vcc, v19, v19
	v_cndmask_b32_e32 v19, v15, v20, vcc
	v_and_b32_e32 v7, 0xffff0000, v7
	v_mul_f32_e32 v7, v19, v7
	v_bfe_u32 v19, v7, 16, 1
	v_add3_u32 v19, v7, v19, s23
	v_and_b32_e32 v19, 0xffff0000, v19
	v_cmp_o_f32_e32 vcc, v7, v7
	v_cndmask_b32_e32 v7, v15, v19, vcc
	v_div_scale_f32 v19, s[6:7], v18, v18, v7
	v_rcp_f32_e32 v20, v19
	v_fma_f32 v21, -v19, v20, 1.0
	v_fmac_f32_e32 v20, v21, v20
	v_div_scale_f32 v21, vcc, v7, v18, v7
	v_mul_f32_e32 v22, v21, v20
	v_fma_f32 v23, -v19, v22, v21
	v_fmac_f32_e32 v22, v23, v20
	v_fma_f32 v19, -v19, v22, v21
	v_div_fmas_f32 v19, v19, v20, v22
	v_div_fixup_f32 v7, v19, v18, v7
	v_min_f32_e32 v7, 0x43600000, v7
	v_max_f32_e32 v7, 0xc3600000, v7
	v_and_b32_e32 v18, 0x7fffffff, v7
	v_cmp_gt_u32_e32 vcc, s24, v18
	s_and_saveexec_b64 s[6:7], vcc
	s_cbranch_execz .LBB67_139
; %bb.134:                              ;   in Loop: Header=BB67_65 Depth=1
	v_cmp_lt_u32_e32 vcc, s25, v18
	s_mov_b64 s[8:9], 0
                                        ; implicit-def: $vgpr18
	s_and_saveexec_b64 s[12:13], vcc
	s_xor_b64 s[12:13], exec, s[12:13]
	s_cbranch_execnz .LBB67_184
; %bb.135:                              ;   in Loop: Header=BB67_65 Depth=1
	s_or_saveexec_b64 s[12:13], s[12:13]
                                        ; implicit-def: $sgpr14
	s_xor_b64 exec, exec, s[12:13]
	s_cbranch_execnz .LBB67_185
.LBB67_136:                             ;   in Loop: Header=BB67_65 Depth=1
	s_or_b64 exec, exec, s[12:13]
	v_mov_b32_e32 v6, s14
	s_and_saveexec_b64 s[12:13], s[8:9]
.LBB67_137:                             ;   in Loop: Header=BB67_65 Depth=1
	v_lshrrev_b32_e32 v6, 24, v7
	v_and_or_b32 v6, v6, s28, v18
.LBB67_138:                             ;   in Loop: Header=BB67_65 Depth=1
	s_or_b64 exec, exec, s[12:13]
.LBB67_139:                             ;   in Loop: Header=BB67_65 Depth=1
	s_or_b64 exec, exec, s[6:7]
	v_lshlrev_b64 v[4:5], 2, v[4:5]
	v_mov_b32_e32 v7, s16
	v_add_co_u32_e32 v4, vcc, s11, v4
	v_addc_co_u32_e32 v5, vcc, v7, v5, vcc
	v_lshlrev_b32_e32 v7, 16, v9
	v_lshlrev_b32_e32 v3, 8, v3
	v_perm_b32 v6, v6, v7, s29
	v_and_b32_e32 v3, 0xff00, v3
	v_and_b32_e32 v7, 0xff, v8
	v_add_u32_e32 v0, s21, v0
	v_or3_b32 v3, v6, v3, v7
	v_cmp_gt_u32_e32 vcc, s10, v0
	s_mov_b64 s[8:9], -1
	global_store_dword v[4:5], v3, off
	s_and_saveexec_b64 s[6:7], vcc
	s_cbranch_execz .LBB67_62
; %bb.140:                              ;   in Loop: Header=BB67_65 Depth=1
	v_lshlrev_b64 v[4:5], 3, v[0:1]
	v_mov_b32_e32 v3, s46
	v_add_co_u32_e32 v6, vcc, s33, v4
	v_addc_co_u32_e32 v7, vcc, v3, v5, vcc
	global_load_dwordx2 v[18:19], v[6:7], off
	v_mov_b32_e32 v7, s48
	v_add_co_u32_e32 v6, vcc, s47, v4
	v_addc_co_u32_e32 v7, vcc, v7, v5, vcc
	global_load_dwordx2 v[20:21], v[6:7], off
	v_mov_b32_e32 v3, s19
	v_add_co_u32_e32 v4, vcc, s18, v4
	v_addc_co_u32_e32 v5, vcc, v3, v5, vcc
	v_bfe_u32 v3, v0, 5, 25
	v_mad_u64_u32 v[8:9], s[8:9], v10, v3, 0
	global_load_dwordx2 v[4:5], v[4:5], off
	v_mov_b32_e32 v22, v9
	v_mad_u64_u32 v[22:23], s[8:9], v11, v3, v[22:23]
	v_mov_b32_e32 v9, v22
	v_lshlrev_b64 v[8:9], 2, v[8:9]
	v_mov_b32_e32 v24, s20
	v_add_co_u32_e32 v8, vcc, s17, v8
	v_addc_co_u32_e32 v9, vcc, v24, v9, vcc
	global_load_dword v8, v[8:9], off
	v_mov_b32_e32 v3, 0x80
	s_waitcnt vmcnt(3)
	v_and_b32_e32 v9, 0xffff0000, v18
	v_lshlrev_b32_e32 v22, 16, v18
	v_alignbit_b32 v18, v19, v18, 16
	v_and_b32_e32 v23, 0xffff0000, v19
	v_and_b32_e32 v18, 0xffff0000, v18
	s_waitcnt vmcnt(2)
	v_and_b32_e32 v19, 0xffff0000, v20
	v_lshlrev_b32_e32 v24, 16, v20
	v_alignbit_b32 v20, v21, v20, 16
	v_and_b32_e32 v21, 0xffff0000, v21
	v_add_f32_e32 v19, v9, v19
	v_add_f32_e32 v9, v23, v21
	v_bfe_u32 v23, v9, 16, 1
	v_add_f32_e32 v22, v22, v24
	v_and_b32_e32 v20, 0xffff0000, v20
	v_bfe_u32 v21, v19, 16, 1
	v_add3_u32 v23, v9, v23, s23
	v_add_f32_e32 v18, v18, v20
	v_bfe_u32 v20, v22, 16, 1
	v_add3_u32 v21, v19, v21, s23
	v_and_b32_e32 v23, 0xffff0000, v23
	v_cmp_o_f32_e32 vcc, v9, v9
	v_mul_f32_e32 v24, v37, v22
	v_add3_u32 v20, v22, v20, s23
	v_bfe_u32 v26, v18, 16, 1
	v_and_b32_e32 v21, 0xffff0000, v21
	v_cndmask_b32_e32 v23, v15, v23, vcc
	v_cmp_o_f32_e32 vcc, v19, v19
	v_bfe_u32 v27, v24, 16, 1
	v_lshrrev_b32_e32 v20, 16, v20
	v_add3_u32 v26, v18, v26, s23
	v_cndmask_b32_e32 v21, v15, v21, vcc
	v_cmp_o_f32_e32 vcc, v22, v22
	v_add3_u32 v27, v24, v27, s23
	v_lshrrev_b32_e32 v26, 16, v26
	v_cndmask_b32_e32 v20, v16, v20, vcc
	v_cmp_o_f32_e32 vcc, v18, v18
	v_and_b32_e32 v22, 0xffff0000, v27
	v_cndmask_b32_e32 v26, v16, v26, vcc
	v_cmp_o_f32_e32 vcc, v24, v24
	s_waitcnt vmcnt(1)
	v_lshlrev_b32_e32 v25, 16, v4
	v_cndmask_b32_e32 v22, v15, v22, vcc
	v_mul_f32_e32 v22, v22, v25
	v_or_b32_e32 v20, v20, v21
	v_or3_b32 v21, 0, v26, v23
	v_bfe_u32 v23, v22, 16, 1
	v_add3_u32 v23, v22, v23, s23
	v_and_b32_e32 v23, 0xffff0000, v23
	v_cmp_o_f32_e32 vcc, v22, v22
	v_cndmask_b32_e32 v22, v15, v23, vcc
	s_waitcnt vmcnt(0)
	v_div_scale_f32 v23, s[8:9], v8, v8, v22
	v_rcp_f32_e32 v24, v23
	v_or3_b32 v20, v20, 0, 0
	global_store_dwordx2 v[6:7], v[20:21], off
	v_div_scale_f32 v6, vcc, v22, v8, v22
	v_fma_f32 v7, -v23, v24, 1.0
	v_fmac_f32_e32 v24, v7, v24
	v_mul_f32_e32 v7, v6, v24
	v_fma_f32 v20, -v23, v7, v6
	v_fmac_f32_e32 v7, v20, v24
	v_fma_f32 v6, -v23, v7, v6
	v_div_fmas_f32 v6, v6, v24, v7
	v_div_fixup_f32 v6, v6, v8, v22
	v_min_f32_e32 v6, 0x43600000, v6
	v_max_f32_e32 v7, 0xc3600000, v6
	v_and_b32_e32 v20, 0x7fffffff, v7
	v_cmp_gt_u32_e32 vcc, s24, v20
	v_mov_b32_e32 v6, 0x80
	s_and_saveexec_b64 s[8:9], vcc
	s_cbranch_execz .LBB67_146
; %bb.141:                              ;   in Loop: Header=BB67_65 Depth=1
	v_cmp_lt_u32_e32 vcc, s25, v20
	s_mov_b64 s[12:13], 0
                                        ; implicit-def: $vgpr20
	s_and_saveexec_b64 s[14:15], vcc
	s_xor_b64 s[14:15], exec, s[14:15]
	s_cbranch_execnz .LBB67_186
; %bb.142:                              ;   in Loop: Header=BB67_65 Depth=1
	s_or_saveexec_b64 s[14:15], s[14:15]
                                        ; implicit-def: $sgpr30
	s_xor_b64 exec, exec, s[14:15]
	s_cbranch_execnz .LBB67_187
.LBB67_143:                             ;   in Loop: Header=BB67_65 Depth=1
	s_or_b64 exec, exec, s[14:15]
	v_mov_b32_e32 v6, s30
	s_and_saveexec_b64 s[14:15], s[12:13]
.LBB67_144:                             ;   in Loop: Header=BB67_65 Depth=1
	v_lshrrev_b32_e32 v6, 24, v7
	v_and_or_b32 v6, v6, s28, v20
.LBB67_145:                             ;   in Loop: Header=BB67_65 Depth=1
	s_or_b64 exec, exec, s[14:15]
.LBB67_146:                             ;   in Loop: Header=BB67_65 Depth=1
	s_or_b64 exec, exec, s[8:9]
	v_mul_f32_e32 v19, v37, v19
	v_bfe_u32 v20, v19, 16, 1
	v_add3_u32 v20, v19, v20, s23
	v_and_b32_e32 v20, 0xffff0000, v20
	v_cmp_o_f32_e32 vcc, v19, v19
	v_and_b32_e32 v7, 0xffff0000, v4
	v_cndmask_b32_e32 v19, v15, v20, vcc
	v_mul_f32_e32 v7, v19, v7
	v_bfe_u32 v19, v7, 16, 1
	v_add3_u32 v19, v7, v19, s23
	v_and_b32_e32 v19, 0xffff0000, v19
	v_cmp_o_f32_e32 vcc, v7, v7
	v_cndmask_b32_e32 v7, v15, v19, vcc
	v_div_scale_f32 v19, s[8:9], v8, v8, v7
	v_rcp_f32_e32 v20, v19
	v_fma_f32 v21, -v19, v20, 1.0
	v_fmac_f32_e32 v20, v21, v20
	v_div_scale_f32 v21, vcc, v7, v8, v7
	v_mul_f32_e32 v22, v21, v20
	v_fma_f32 v23, -v19, v22, v21
	v_fmac_f32_e32 v22, v23, v20
	v_fma_f32 v19, -v19, v22, v21
	v_div_fmas_f32 v19, v19, v20, v22
	v_div_fixup_f32 v7, v19, v8, v7
	v_min_f32_e32 v7, 0x43600000, v7
	v_max_f32_e32 v7, 0xc3600000, v7
	v_and_b32_e32 v19, 0x7fffffff, v7
	v_cmp_gt_u32_e32 vcc, s24, v19
	s_and_saveexec_b64 s[8:9], vcc
	s_cbranch_execz .LBB67_152
; %bb.147:                              ;   in Loop: Header=BB67_65 Depth=1
	v_cmp_lt_u32_e32 vcc, s25, v19
	s_mov_b64 s[12:13], 0
                                        ; implicit-def: $vgpr19
	s_and_saveexec_b64 s[14:15], vcc
	s_xor_b64 s[14:15], exec, s[14:15]
	s_cbranch_execnz .LBB67_188
; %bb.148:                              ;   in Loop: Header=BB67_65 Depth=1
	s_or_saveexec_b64 s[14:15], s[14:15]
                                        ; implicit-def: $sgpr30
	s_xor_b64 exec, exec, s[14:15]
	s_cbranch_execnz .LBB67_189
.LBB67_149:                             ;   in Loop: Header=BB67_65 Depth=1
	s_or_b64 exec, exec, s[14:15]
	v_mov_b32_e32 v3, s30
	s_and_saveexec_b64 s[14:15], s[12:13]
.LBB67_150:                             ;   in Loop: Header=BB67_65 Depth=1
	v_lshrrev_b32_e32 v3, 24, v7
	v_and_or_b32 v3, v3, s28, v19
.LBB67_151:                             ;   in Loop: Header=BB67_65 Depth=1
	s_or_b64 exec, exec, s[14:15]
.LBB67_152:                             ;   in Loop: Header=BB67_65 Depth=1
	s_or_b64 exec, exec, s[8:9]
	v_mul_f32_e32 v7, v37, v18
	v_bfe_u32 v18, v7, 16, 1
	v_add3_u32 v18, v7, v18, s23
	v_and_b32_e32 v18, 0xffff0000, v18
	v_cmp_o_f32_e32 vcc, v7, v7
	v_alignbit_b32 v4, v5, v4, 16
	v_cndmask_b32_e32 v7, v15, v18, vcc
	v_and_b32_e32 v4, 0xffff0000, v4
	v_mul_f32_e32 v4, v7, v4
	v_bfe_u32 v7, v4, 16, 1
	v_add3_u32 v7, v4, v7, s23
	v_and_b32_e32 v7, 0xffff0000, v7
	v_cmp_o_f32_e32 vcc, v4, v4
	v_cndmask_b32_e32 v4, v15, v7, vcc
	v_div_scale_f32 v7, s[8:9], v8, v8, v4
	v_rcp_f32_e32 v18, v7
	v_fma_f32 v19, -v7, v18, 1.0
	v_fmac_f32_e32 v18, v19, v18
	v_div_scale_f32 v19, vcc, v4, v8, v4
	v_mul_f32_e32 v20, v19, v18
	v_fma_f32 v21, -v7, v20, v19
	v_fmac_f32_e32 v20, v21, v18
	v_fma_f32 v7, -v7, v20, v19
	v_div_fmas_f32 v7, v7, v18, v20
	v_div_fixup_f32 v4, v7, v8, v4
	v_min_f32_e32 v4, 0x43600000, v4
	v_max_f32_e32 v18, 0xc3600000, v4
	v_and_b32_e32 v19, 0x7fffffff, v18
	v_cmp_gt_u32_e32 vcc, s24, v19
	v_mov_b32_e32 v4, 0x80
	v_mov_b32_e32 v7, 0x80
	s_and_saveexec_b64 s[8:9], vcc
	s_cbranch_execz .LBB67_158
; %bb.153:                              ;   in Loop: Header=BB67_65 Depth=1
	v_cmp_lt_u32_e32 vcc, s25, v19
	s_mov_b64 s[12:13], 0
                                        ; implicit-def: $vgpr19
	s_and_saveexec_b64 s[14:15], vcc
	s_xor_b64 s[14:15], exec, s[14:15]
	s_cbranch_execnz .LBB67_190
; %bb.154:                              ;   in Loop: Header=BB67_65 Depth=1
	s_or_saveexec_b64 s[14:15], s[14:15]
                                        ; implicit-def: $sgpr30
	s_xor_b64 exec, exec, s[14:15]
	s_cbranch_execnz .LBB67_191
.LBB67_155:                             ;   in Loop: Header=BB67_65 Depth=1
	s_or_b64 exec, exec, s[14:15]
	v_mov_b32_e32 v7, s30
	s_and_saveexec_b64 s[14:15], s[12:13]
.LBB67_156:                             ;   in Loop: Header=BB67_65 Depth=1
	v_lshrrev_b32_e32 v7, 24, v18
	v_and_or_b32 v7, v7, s28, v19
.LBB67_157:                             ;   in Loop: Header=BB67_65 Depth=1
	s_or_b64 exec, exec, s[14:15]
.LBB67_158:                             ;   in Loop: Header=BB67_65 Depth=1
	s_or_b64 exec, exec, s[8:9]
	v_mul_f32_e32 v9, v37, v9
	v_bfe_u32 v18, v9, 16, 1
	v_add3_u32 v18, v9, v18, s23
	v_and_b32_e32 v18, 0xffff0000, v18
	v_cmp_o_f32_e32 vcc, v9, v9
	v_cndmask_b32_e32 v9, v15, v18, vcc
	v_and_b32_e32 v5, 0xffff0000, v5
	v_mul_f32_e32 v5, v9, v5
	v_bfe_u32 v9, v5, 16, 1
	v_add3_u32 v9, v5, v9, s23
	v_and_b32_e32 v9, 0xffff0000, v9
	v_cmp_o_f32_e32 vcc, v5, v5
	v_cndmask_b32_e32 v5, v15, v9, vcc
	v_div_scale_f32 v9, s[8:9], v8, v8, v5
	v_rcp_f32_e32 v18, v9
	v_fma_f32 v19, -v9, v18, 1.0
	v_fmac_f32_e32 v18, v19, v18
	v_div_scale_f32 v19, vcc, v5, v8, v5
	v_mul_f32_e32 v20, v19, v18
	v_fma_f32 v21, -v9, v20, v19
	v_fmac_f32_e32 v20, v21, v18
	v_fma_f32 v9, -v9, v20, v19
	v_div_fmas_f32 v9, v9, v18, v20
	v_div_fixup_f32 v5, v9, v8, v5
	v_min_f32_e32 v5, 0x43600000, v5
	v_max_f32_e32 v5, 0xc3600000, v5
	v_and_b32_e32 v8, 0x7fffffff, v5
	v_cmp_gt_u32_e32 vcc, s24, v8
	s_and_saveexec_b64 s[8:9], vcc
	s_cbranch_execz .LBB67_61
; %bb.159:                              ;   in Loop: Header=BB67_65 Depth=1
	v_cmp_lt_u32_e32 vcc, s25, v8
	s_mov_b64 s[12:13], 0
                                        ; implicit-def: $vgpr8
	s_and_saveexec_b64 s[14:15], vcc
	s_xor_b64 s[14:15], exec, s[14:15]
	s_cbranch_execnz .LBB67_192
; %bb.160:                              ;   in Loop: Header=BB67_65 Depth=1
	s_or_saveexec_b64 s[14:15], s[14:15]
                                        ; implicit-def: $sgpr30
	s_xor_b64 exec, exec, s[14:15]
	s_cbranch_execnz .LBB67_193
.LBB67_161:                             ;   in Loop: Header=BB67_65 Depth=1
	s_or_b64 exec, exec, s[14:15]
	v_mov_b32_e32 v4, s30
	s_and_saveexec_b64 s[14:15], s[12:13]
	s_cbranch_execz .LBB67_60
	s_branch .LBB67_194
.LBB67_162:                             ;   in Loop: Header=BB67_65 Depth=1
	v_bfe_u32 v4, v5, 20, 1
	v_add3_u32 v4, v5, v4, s26
	s_mov_b64 s[4:5], exec
	v_lshrrev_b32_e32 v19, 20, v4
	s_or_saveexec_b64 s[6:7], s[6:7]
                                        ; implicit-def: $sgpr8
	s_xor_b64 exec, exec, s[6:7]
	s_cbranch_execz .LBB67_68
.LBB67_163:                             ;   in Loop: Header=BB67_65 Depth=1
	v_add_f32_e64 v4, |v5|, s27
	v_and_b32_e32 v19, 0xff, v4
	v_cmp_ne_u32_e32 vcc, 0, v19
	s_andn2_b64 s[4:5], s[4:5], exec
	s_and_b64 s[12:13], vcc, exec
	s_mov_b32 s8, 0
	s_or_b64 s[4:5], s[4:5], s[12:13]
	s_or_b64 exec, exec, s[6:7]
	v_mov_b32_e32 v4, s8
	s_and_saveexec_b64 s[6:7], s[4:5]
	s_cbranch_execnz .LBB67_69
	s_branch .LBB67_70
.LBB67_164:                             ;   in Loop: Header=BB67_65 Depth=1
	v_bfe_u32 v6, v5, 20, 1
	v_add3_u32 v6, v5, v6, s26
	s_mov_b64 s[4:5], exec
	v_lshrrev_b32_e32 v18, 20, v6
	s_or_saveexec_b64 s[6:7], s[6:7]
                                        ; implicit-def: $sgpr8
	s_xor_b64 exec, exec, s[6:7]
	s_cbranch_execz .LBB67_74
.LBB67_165:                             ;   in Loop: Header=BB67_65 Depth=1
	v_add_f32_e64 v6, |v5|, s27
	v_and_b32_e32 v18, 0xff, v6
	v_cmp_ne_u32_e32 vcc, 0, v18
	s_andn2_b64 s[4:5], s[4:5], exec
	s_and_b64 s[12:13], vcc, exec
	s_mov_b32 s8, 0
	s_or_b64 s[4:5], s[4:5], s[12:13]
	s_or_b64 exec, exec, s[6:7]
	v_mov_b32_e32 v6, s8
	s_and_saveexec_b64 s[6:7], s[4:5]
	s_cbranch_execnz .LBB67_75
	s_branch .LBB67_76
.LBB67_166:                             ;   in Loop: Header=BB67_65 Depth=1
	v_bfe_u32 v5, v9, 20, 1
	v_add3_u32 v5, v9, v5, s26
	s_mov_b64 s[4:5], exec
	v_lshrrev_b32_e32 v18, 20, v5
	s_or_saveexec_b64 s[6:7], s[6:7]
                                        ; implicit-def: $sgpr8
	s_xor_b64 exec, exec, s[6:7]
	s_cbranch_execz .LBB67_80
.LBB67_167:                             ;   in Loop: Header=BB67_65 Depth=1
	v_add_f32_e64 v5, |v9|, s27
	v_and_b32_e32 v18, 0xff, v5
	v_cmp_ne_u32_e32 vcc, 0, v18
	s_andn2_b64 s[4:5], s[4:5], exec
	s_and_b64 s[12:13], vcc, exec
	s_mov_b32 s8, 0
	s_or_b64 s[4:5], s[4:5], s[12:13]
	s_or_b64 exec, exec, s[6:7]
	v_mov_b32_e32 v5, s8
	s_and_saveexec_b64 s[6:7], s[4:5]
	s_cbranch_execnz .LBB67_81
	s_branch .LBB67_82
.LBB67_168:                             ;   in Loop: Header=BB67_65 Depth=1
	v_bfe_u32 v2, v3, 20, 1
	v_add3_u32 v2, v3, v2, s26
	s_mov_b64 s[4:5], exec
	v_lshrrev_b32_e32 v7, 20, v2
	s_or_saveexec_b64 s[6:7], s[6:7]
                                        ; implicit-def: $sgpr8
	s_xor_b64 exec, exec, s[6:7]
	s_cbranch_execz .LBB67_86
.LBB67_169:                             ;   in Loop: Header=BB67_65 Depth=1
	v_add_f32_e64 v2, |v3|, s27
	v_and_b32_e32 v7, 0xff, v2
	v_cmp_ne_u32_e32 vcc, 0, v7
	s_andn2_b64 s[4:5], s[4:5], exec
	s_and_b64 s[12:13], vcc, exec
	s_mov_b32 s8, 0
	s_or_b64 s[4:5], s[4:5], s[12:13]
	s_or_b64 exec, exec, s[6:7]
	v_mov_b32_e32 v2, s8
	s_and_saveexec_b64 s[6:7], s[4:5]
	s_cbranch_execnz .LBB67_87
	s_branch .LBB67_88
.LBB67_170:                             ;   in Loop: Header=BB67_65 Depth=1
	v_bfe_u32 v6, v7, 20, 1
	v_add3_u32 v6, v7, v6, s26
	s_mov_b64 s[6:7], exec
	v_lshrrev_b32_e32 v21, 20, v6
	s_or_saveexec_b64 s[8:9], s[8:9]
                                        ; implicit-def: $sgpr12
	s_xor_b64 exec, exec, s[8:9]
	s_cbranch_execz .LBB67_93
.LBB67_171:                             ;   in Loop: Header=BB67_65 Depth=1
	v_add_f32_e64 v6, |v7|, s27
	v_and_b32_e32 v21, 0xff, v6
	v_cmp_ne_u32_e32 vcc, 0, v21
	s_andn2_b64 s[6:7], s[6:7], exec
	s_and_b64 s[14:15], vcc, exec
	s_mov_b32 s12, 0
	s_or_b64 s[6:7], s[6:7], s[14:15]
	s_or_b64 exec, exec, s[8:9]
	v_mov_b32_e32 v6, s12
	s_and_saveexec_b64 s[8:9], s[6:7]
	s_cbranch_execnz .LBB67_94
	s_branch .LBB67_95
.LBB67_172:                             ;   in Loop: Header=BB67_65 Depth=1
	v_bfe_u32 v8, v7, 20, 1
	v_add3_u32 v8, v7, v8, s26
	s_mov_b64 s[6:7], exec
	v_lshrrev_b32_e32 v20, 20, v8
	s_or_saveexec_b64 s[8:9], s[8:9]
                                        ; implicit-def: $sgpr12
	s_xor_b64 exec, exec, s[8:9]
	s_cbranch_execz .LBB67_99
.LBB67_173:                             ;   in Loop: Header=BB67_65 Depth=1
	v_add_f32_e64 v8, |v7|, s27
	v_and_b32_e32 v20, 0xff, v8
	v_cmp_ne_u32_e32 vcc, 0, v20
	s_andn2_b64 s[6:7], s[6:7], exec
	s_and_b64 s[14:15], vcc, exec
	s_mov_b32 s12, 0
	s_or_b64 s[6:7], s[6:7], s[14:15]
	s_or_b64 exec, exec, s[8:9]
	v_mov_b32_e32 v8, s12
	s_and_saveexec_b64 s[8:9], s[6:7]
	s_cbranch_execnz .LBB67_100
	s_branch .LBB67_101
.LBB67_174:                             ;   in Loop: Header=BB67_65 Depth=1
	v_bfe_u32 v7, v19, 20, 1
	v_add3_u32 v7, v19, v7, s26
	s_mov_b64 s[6:7], exec
	v_lshrrev_b32_e32 v20, 20, v7
	s_or_saveexec_b64 s[8:9], s[8:9]
                                        ; implicit-def: $sgpr12
	s_xor_b64 exec, exec, s[8:9]
	s_cbranch_execz .LBB67_105
.LBB67_175:                             ;   in Loop: Header=BB67_65 Depth=1
	v_add_f32_e64 v7, |v19|, s27
	v_and_b32_e32 v20, 0xff, v7
	v_cmp_ne_u32_e32 vcc, 0, v20
	s_andn2_b64 s[6:7], s[6:7], exec
	s_and_b64 s[14:15], vcc, exec
	s_mov_b32 s12, 0
	s_or_b64 s[6:7], s[6:7], s[14:15]
	s_or_b64 exec, exec, s[8:9]
	v_mov_b32_e32 v7, s12
	s_and_saveexec_b64 s[8:9], s[6:7]
	s_cbranch_execnz .LBB67_106
	s_branch .LBB67_107
.LBB67_176:                             ;   in Loop: Header=BB67_65 Depth=1
	v_bfe_u32 v4, v5, 20, 1
	v_add3_u32 v4, v5, v4, s26
	s_mov_b64 s[6:7], exec
	v_lshrrev_b32_e32 v9, 20, v4
	s_or_saveexec_b64 s[8:9], s[8:9]
                                        ; implicit-def: $sgpr12
	s_xor_b64 exec, exec, s[8:9]
	s_cbranch_execz .LBB67_111
.LBB67_177:                             ;   in Loop: Header=BB67_65 Depth=1
	v_add_f32_e64 v4, |v5|, s27
	v_and_b32_e32 v9, 0xff, v4
	v_cmp_ne_u32_e32 vcc, 0, v9
	s_andn2_b64 s[6:7], s[6:7], exec
	s_and_b64 s[14:15], vcc, exec
	s_mov_b32 s12, 0
	s_or_b64 s[6:7], s[6:7], s[14:15]
	s_or_b64 exec, exec, s[8:9]
	v_mov_b32_e32 v4, s12
	s_and_saveexec_b64 s[8:9], s[6:7]
	s_cbranch_execnz .LBB67_112
	s_branch .LBB67_113
.LBB67_178:                             ;   in Loop: Header=BB67_65 Depth=1
	v_bfe_u32 v8, v9, 20, 1
	v_add3_u32 v8, v9, v8, s26
	s_mov_b64 s[8:9], exec
	v_lshrrev_b32_e32 v22, 20, v8
	s_or_saveexec_b64 s[12:13], s[12:13]
                                        ; implicit-def: $sgpr14
	s_xor_b64 exec, exec, s[12:13]
	s_cbranch_execz .LBB67_118
.LBB67_179:                             ;   in Loop: Header=BB67_65 Depth=1
	v_add_f32_e64 v8, |v9|, s27
	v_and_b32_e32 v22, 0xff, v8
	v_cmp_ne_u32_e32 vcc, 0, v22
	s_andn2_b64 s[8:9], s[8:9], exec
	s_and_b64 s[30:31], vcc, exec
	s_mov_b32 s14, 0
	s_or_b64 s[8:9], s[8:9], s[30:31]
	s_or_b64 exec, exec, s[12:13]
	v_mov_b32_e32 v8, s14
	s_and_saveexec_b64 s[12:13], s[8:9]
	s_cbranch_execnz .LBB67_119
	s_branch .LBB67_120
.LBB67_180:                             ;   in Loop: Header=BB67_65 Depth=1
	v_bfe_u32 v3, v9, 20, 1
	v_add3_u32 v3, v9, v3, s26
	s_mov_b64 s[8:9], exec
	v_lshrrev_b32_e32 v21, 20, v3
	s_or_saveexec_b64 s[12:13], s[12:13]
                                        ; implicit-def: $sgpr14
	s_xor_b64 exec, exec, s[12:13]
	s_cbranch_execz .LBB67_124
.LBB67_181:                             ;   in Loop: Header=BB67_65 Depth=1
	v_add_f32_e64 v3, |v9|, s27
	v_and_b32_e32 v21, 0xff, v3
	v_cmp_ne_u32_e32 vcc, 0, v21
	s_andn2_b64 s[8:9], s[8:9], exec
	s_and_b64 s[30:31], vcc, exec
	s_mov_b32 s14, 0
	s_or_b64 s[8:9], s[8:9], s[30:31]
	s_or_b64 exec, exec, s[12:13]
	v_mov_b32_e32 v3, s14
	s_and_saveexec_b64 s[12:13], s[8:9]
	s_cbranch_execnz .LBB67_125
	s_branch .LBB67_126
.LBB67_182:                             ;   in Loop: Header=BB67_65 Depth=1
	v_bfe_u32 v9, v20, 20, 1
	v_add3_u32 v9, v20, v9, s26
	s_mov_b64 s[8:9], exec
	v_lshrrev_b32_e32 v21, 20, v9
	s_or_saveexec_b64 s[12:13], s[12:13]
                                        ; implicit-def: $sgpr14
	s_xor_b64 exec, exec, s[12:13]
	s_cbranch_execz .LBB67_130
.LBB67_183:                             ;   in Loop: Header=BB67_65 Depth=1
	v_add_f32_e64 v9, |v20|, s27
	v_and_b32_e32 v21, 0xff, v9
	v_cmp_ne_u32_e32 vcc, 0, v21
	s_andn2_b64 s[8:9], s[8:9], exec
	s_and_b64 s[30:31], vcc, exec
	s_mov_b32 s14, 0
	s_or_b64 s[8:9], s[8:9], s[30:31]
	s_or_b64 exec, exec, s[12:13]
	v_mov_b32_e32 v9, s14
	s_and_saveexec_b64 s[12:13], s[8:9]
	s_cbranch_execnz .LBB67_131
	s_branch .LBB67_132
.LBB67_184:                             ;   in Loop: Header=BB67_65 Depth=1
	v_bfe_u32 v6, v7, 20, 1
	v_add3_u32 v6, v7, v6, s26
	s_mov_b64 s[8:9], exec
	v_lshrrev_b32_e32 v18, 20, v6
	s_or_saveexec_b64 s[12:13], s[12:13]
                                        ; implicit-def: $sgpr14
	s_xor_b64 exec, exec, s[12:13]
	s_cbranch_execz .LBB67_136
.LBB67_185:                             ;   in Loop: Header=BB67_65 Depth=1
	v_add_f32_e64 v6, |v7|, s27
	v_and_b32_e32 v18, 0xff, v6
	v_cmp_ne_u32_e32 vcc, 0, v18
	s_andn2_b64 s[8:9], s[8:9], exec
	s_and_b64 s[30:31], vcc, exec
	s_mov_b32 s14, 0
	s_or_b64 s[8:9], s[8:9], s[30:31]
	s_or_b64 exec, exec, s[12:13]
	v_mov_b32_e32 v6, s14
	s_and_saveexec_b64 s[12:13], s[8:9]
	s_cbranch_execnz .LBB67_137
	s_branch .LBB67_138
.LBB67_186:                             ;   in Loop: Header=BB67_65 Depth=1
	v_bfe_u32 v6, v7, 20, 1
	v_add3_u32 v6, v7, v6, s26
	s_mov_b64 s[12:13], exec
	v_lshrrev_b32_e32 v20, 20, v6
	s_or_saveexec_b64 s[14:15], s[14:15]
                                        ; implicit-def: $sgpr30
	s_xor_b64 exec, exec, s[14:15]
	s_cbranch_execz .LBB67_143
.LBB67_187:                             ;   in Loop: Header=BB67_65 Depth=1
	v_add_f32_e64 v6, |v7|, s27
	v_and_b32_e32 v20, 0xff, v6
	v_cmp_ne_u32_e32 vcc, 0, v20
	s_andn2_b64 s[12:13], s[12:13], exec
	s_and_b64 s[34:35], vcc, exec
	s_mov_b32 s30, 0
	s_or_b64 s[12:13], s[12:13], s[34:35]
	s_or_b64 exec, exec, s[14:15]
	v_mov_b32_e32 v6, s30
	s_and_saveexec_b64 s[14:15], s[12:13]
	s_cbranch_execnz .LBB67_144
	s_branch .LBB67_145
.LBB67_188:                             ;   in Loop: Header=BB67_65 Depth=1
	v_bfe_u32 v3, v7, 20, 1
	v_add3_u32 v3, v7, v3, s26
	s_mov_b64 s[12:13], exec
	v_lshrrev_b32_e32 v19, 20, v3
	s_or_saveexec_b64 s[14:15], s[14:15]
                                        ; implicit-def: $sgpr30
	s_xor_b64 exec, exec, s[14:15]
	s_cbranch_execz .LBB67_149
.LBB67_189:                             ;   in Loop: Header=BB67_65 Depth=1
	v_add_f32_e64 v3, |v7|, s27
	v_and_b32_e32 v19, 0xff, v3
	v_cmp_ne_u32_e32 vcc, 0, v19
	s_andn2_b64 s[12:13], s[12:13], exec
	s_and_b64 s[34:35], vcc, exec
	s_mov_b32 s30, 0
	s_or_b64 s[12:13], s[12:13], s[34:35]
	s_or_b64 exec, exec, s[14:15]
	v_mov_b32_e32 v3, s30
	s_and_saveexec_b64 s[14:15], s[12:13]
	s_cbranch_execnz .LBB67_150
	s_branch .LBB67_151
.LBB67_190:                             ;   in Loop: Header=BB67_65 Depth=1
	v_bfe_u32 v7, v18, 20, 1
	v_add3_u32 v7, v18, v7, s26
	s_mov_b64 s[12:13], exec
	v_lshrrev_b32_e32 v19, 20, v7
	s_or_saveexec_b64 s[14:15], s[14:15]
                                        ; implicit-def: $sgpr30
	s_xor_b64 exec, exec, s[14:15]
	s_cbranch_execz .LBB67_155
.LBB67_191:                             ;   in Loop: Header=BB67_65 Depth=1
	v_add_f32_e64 v7, |v18|, s27
	v_and_b32_e32 v19, 0xff, v7
	v_cmp_ne_u32_e32 vcc, 0, v19
	s_andn2_b64 s[12:13], s[12:13], exec
	s_and_b64 s[34:35], vcc, exec
	s_mov_b32 s30, 0
	s_or_b64 s[12:13], s[12:13], s[34:35]
	s_or_b64 exec, exec, s[14:15]
	v_mov_b32_e32 v7, s30
	s_and_saveexec_b64 s[14:15], s[12:13]
	s_cbranch_execnz .LBB67_156
	s_branch .LBB67_157
.LBB67_192:                             ;   in Loop: Header=BB67_65 Depth=1
	v_bfe_u32 v4, v5, 20, 1
	v_add3_u32 v4, v5, v4, s26
	s_mov_b64 s[12:13], exec
	v_lshrrev_b32_e32 v8, 20, v4
	s_or_saveexec_b64 s[14:15], s[14:15]
                                        ; implicit-def: $sgpr30
	s_xor_b64 exec, exec, s[14:15]
	s_cbranch_execz .LBB67_161
.LBB67_193:                             ;   in Loop: Header=BB67_65 Depth=1
	v_add_f32_e64 v4, |v5|, s27
	v_and_b32_e32 v8, 0xff, v4
	v_cmp_ne_u32_e32 vcc, 0, v8
	s_andn2_b64 s[12:13], s[12:13], exec
	s_and_b64 s[34:35], vcc, exec
	s_mov_b32 s30, 0
	s_or_b64 s[12:13], s[12:13], s[34:35]
	s_or_b64 exec, exec, s[14:15]
	v_mov_b32_e32 v4, s30
	s_and_saveexec_b64 s[14:15], s[12:13]
	s_cbranch_execz .LBB67_60
.LBB67_194:                             ;   in Loop: Header=BB67_65 Depth=1
	v_lshrrev_b32_e32 v4, 24, v5
	v_and_or_b32 v4, v4, s28, v8
	s_branch .LBB67_60
.LBB67_195:
	s_endpgm
.LBB67_196:
                                        ; implicit-def: $vgpr4_vgpr5
	s_andn2_b64 vcc, exec, s[24:25]
	s_cbranch_vccz .LBB67_53
	s_branch .LBB67_54
.LBB67_197:
                                        ; implicit-def: $vgpr2_vgpr3
	s_andn2_b64 vcc, exec, s[16:17]
	s_cbranch_vccz .LBB67_58
	s_branch .LBB67_59
	.section	.rodata,"a",@progbits
	.p2align	6, 0x0
	.amdhsa_kernel _ZN4vllm31rms_norm_per_block_quant_kernelIN3c108BFloat16ENS1_15Float8_e4m3fnuzELb1ELb1ELi128EEEvPT0_PfPKT_S9_PKffiiPS7_l
		.amdhsa_group_segment_fixed_size 4164
		.amdhsa_private_segment_fixed_size 0
		.amdhsa_kernarg_size 328
		.amdhsa_user_sgpr_count 6
		.amdhsa_user_sgpr_private_segment_buffer 1
		.amdhsa_user_sgpr_dispatch_ptr 0
		.amdhsa_user_sgpr_queue_ptr 0
		.amdhsa_user_sgpr_kernarg_segment_ptr 1
		.amdhsa_user_sgpr_dispatch_id 0
		.amdhsa_user_sgpr_flat_scratch_init 0
		.amdhsa_user_sgpr_kernarg_preload_length 0
		.amdhsa_user_sgpr_kernarg_preload_offset 0
		.amdhsa_user_sgpr_private_segment_size 0
		.amdhsa_uses_dynamic_stack 0
		.amdhsa_system_sgpr_private_segment_wavefront_offset 0
		.amdhsa_system_sgpr_workgroup_id_x 1
		.amdhsa_system_sgpr_workgroup_id_y 0
		.amdhsa_system_sgpr_workgroup_id_z 0
		.amdhsa_system_sgpr_workgroup_info 0
		.amdhsa_system_vgpr_workitem_id 0
		.amdhsa_next_free_vgpr 55
		.amdhsa_next_free_sgpr 50
		.amdhsa_accum_offset 56
		.amdhsa_reserve_vcc 1
		.amdhsa_reserve_flat_scratch 0
		.amdhsa_float_round_mode_32 0
		.amdhsa_float_round_mode_16_64 0
		.amdhsa_float_denorm_mode_32 3
		.amdhsa_float_denorm_mode_16_64 3
		.amdhsa_dx10_clamp 1
		.amdhsa_ieee_mode 1
		.amdhsa_fp16_overflow 0
		.amdhsa_tg_split 0
		.amdhsa_exception_fp_ieee_invalid_op 0
		.amdhsa_exception_fp_denorm_src 0
		.amdhsa_exception_fp_ieee_div_zero 0
		.amdhsa_exception_fp_ieee_overflow 0
		.amdhsa_exception_fp_ieee_underflow 0
		.amdhsa_exception_fp_ieee_inexact 0
		.amdhsa_exception_int_div_zero 0
	.end_amdhsa_kernel
	.section	.text._ZN4vllm31rms_norm_per_block_quant_kernelIN3c108BFloat16ENS1_15Float8_e4m3fnuzELb1ELb1ELi128EEEvPT0_PfPKT_S9_PKffiiPS7_l,"axG",@progbits,_ZN4vllm31rms_norm_per_block_quant_kernelIN3c108BFloat16ENS1_15Float8_e4m3fnuzELb1ELb1ELi128EEEvPT0_PfPKT_S9_PKffiiPS7_l,comdat
.Lfunc_end67:
	.size	_ZN4vllm31rms_norm_per_block_quant_kernelIN3c108BFloat16ENS1_15Float8_e4m3fnuzELb1ELb1ELi128EEEvPT0_PfPKT_S9_PKffiiPS7_l, .Lfunc_end67-_ZN4vllm31rms_norm_per_block_quant_kernelIN3c108BFloat16ENS1_15Float8_e4m3fnuzELb1ELb1ELi128EEEvPT0_PfPKT_S9_PKffiiPS7_l
                                        ; -- End function
	.section	.AMDGPU.csdata,"",@progbits
; Kernel info:
; codeLenInByte = 15524
; NumSgprs: 54
; NumVgprs: 55
; NumAgprs: 0
; TotalNumVgprs: 55
; ScratchSize: 0
; MemoryBound: 0
; FloatMode: 240
; IeeeMode: 1
; LDSByteSize: 4164 bytes/workgroup (compile time only)
; SGPRBlocks: 6
; VGPRBlocks: 6
; NumSGPRsForWavesPerEU: 54
; NumVGPRsForWavesPerEU: 55
; AccumOffset: 56
; Occupancy: 8
; WaveLimiterHint : 0
; COMPUTE_PGM_RSRC2:SCRATCH_EN: 0
; COMPUTE_PGM_RSRC2:USER_SGPR: 6
; COMPUTE_PGM_RSRC2:TRAP_HANDLER: 0
; COMPUTE_PGM_RSRC2:TGID_X_EN: 1
; COMPUTE_PGM_RSRC2:TGID_Y_EN: 0
; COMPUTE_PGM_RSRC2:TGID_Z_EN: 0
; COMPUTE_PGM_RSRC2:TIDIG_COMP_CNT: 0
; COMPUTE_PGM_RSRC3_GFX90A:ACCUM_OFFSET: 13
; COMPUTE_PGM_RSRC3_GFX90A:TG_SPLIT: 0
	.section	.text._ZN4vllm31rms_norm_per_block_quant_kernelIN3c108BFloat16EaLb1ELb1ELi128EEEvPT0_PfPKT_S8_PKffiiPS6_l,"axG",@progbits,_ZN4vllm31rms_norm_per_block_quant_kernelIN3c108BFloat16EaLb1ELb1ELi128EEEvPT0_PfPKT_S8_PKffiiPS6_l,comdat
	.protected	_ZN4vllm31rms_norm_per_block_quant_kernelIN3c108BFloat16EaLb1ELb1ELi128EEEvPT0_PfPKT_S8_PKffiiPS6_l ; -- Begin function _ZN4vllm31rms_norm_per_block_quant_kernelIN3c108BFloat16EaLb1ELb1ELi128EEEvPT0_PfPKT_S8_PKffiiPS6_l
	.globl	_ZN4vllm31rms_norm_per_block_quant_kernelIN3c108BFloat16EaLb1ELb1ELi128EEEvPT0_PfPKT_S8_PKffiiPS6_l
	.p2align	8
	.type	_ZN4vllm31rms_norm_per_block_quant_kernelIN3c108BFloat16EaLb1ELb1ELi128EEEvPT0_PfPKT_S8_PKffiiPS6_l,@function
_ZN4vllm31rms_norm_per_block_quant_kernelIN3c108BFloat16EaLb1ELb1ELi128EEEvPT0_PfPKT_S8_PKffiiPS6_l: ; @_ZN4vllm31rms_norm_per_block_quant_kernelIN3c108BFloat16EaLb1ELb1ELi128EEEvPT0_PfPKT_S8_PKffiiPS6_l
; %bb.0:
	s_load_dwordx4 s[8:11], s[4:5], 0x28
	s_load_dwordx8 s[12:19], s[4:5], 0x0
	s_load_dwordx2 s[34:35], s[4:5], 0x38
	s_load_dword s49, s[4:5], 0x48
	s_mov_b32 s7, 0
	s_waitcnt lgkmcnt(0)
	s_ashr_i32 s0, s10, 31
	s_mul_hi_u32 s1, s10, s6
	s_mul_i32 s0, s0, s6
	s_ashr_i32 s23, s9, 31
	s_add_i32 s1, s1, s0
	s_mul_i32 s0, s10, s6
	s_mul_hi_u32 s2, s9, s6
	s_mul_i32 s3, s23, s6
	s_add_i32 s21, s2, s3
	s_lshl_b64 s[30:31], s[0:1], 1
	s_mul_i32 s20, s9, s6
	s_add_u32 s33, s16, s30
	s_addc_u32 s46, s17, s31
	s_lshl_b64 s[36:37], s[20:21], 1
	s_add_u32 s47, s34, s36
	s_addc_u32 s48, s35, s37
	s_ashr_i32 s10, s9, 2
	s_add_u32 s26, s4, 0x48
	s_mov_b32 s22, s9
	v_cmp_gt_u32_e64 s[0:1], s10, v0
	s_addc_u32 s27, s5, 0
	v_mov_b32_e32 v1, 0
	s_and_saveexec_b64 s[2:3], s[0:1]
	s_cbranch_execz .LBB68_10
; %bb.1:
	s_cmp_lt_u32 s6, s49
	s_cselect_b32 s9, 12, 18
	s_add_u32 s24, s26, s9
	s_addc_u32 s25, s27, 0
	v_mov_b32_e32 v3, 0
	global_load_ushort v8, v3, s[24:25]
	s_mov_b64 s[24:25], 0
	v_mov_b32_e32 v9, s46
	v_mov_b32_e32 v10, s48
	;; [unrolled: 1-line block ×3, first 2 shown]
                                        ; implicit-def: $sgpr28_sgpr29
	s_waitcnt vmcnt(0)
	v_add_u32_e32 v1, v8, v8
	v_mul_lo_u32 v11, v8, 3
	v_lshlrev_b32_e32 v12, 1, v8
	v_add_u32_e32 v13, v1, v8
	v_mov_b32_e32 v1, v3
	s_branch .LBB68_5
.LBB68_2:                               ;   in Loop: Header=BB68_5 Depth=1
	s_or_b64 exec, exec, s[42:43]
	s_orn2_b64 s[42:43], s[44:45], exec
.LBB68_3:                               ;   in Loop: Header=BB68_5 Depth=1
	s_or_b64 exec, exec, s[40:41]
	s_andn2_b64 s[28:29], s[28:29], exec
	s_and_b64 s[40:41], s[42:43], exec
	s_or_b64 s[28:29], s[28:29], s[40:41]
.LBB68_4:                               ;   in Loop: Header=BB68_5 Depth=1
	s_or_b64 exec, exec, s[38:39]
	s_and_b64 s[38:39], exec, s[28:29]
	s_or_b64 s[24:25], s[38:39], s[24:25]
	s_andn2_b64 exec, exec, s[24:25]
	s_cbranch_execz .LBB68_9
.LBB68_5:                               ; =>This Inner Loop Header: Depth=1
	v_lshlrev_b64 v[4:5], 3, v[2:3]
	v_add_co_u32_e32 v6, vcc, s33, v4
	v_addc_co_u32_e32 v7, vcc, v9, v5, vcc
	v_add_co_u32_e32 v4, vcc, s47, v4
	v_addc_co_u32_e32 v5, vcc, v10, v5, vcc
	global_load_dwordx2 v[6:7], v[6:7], off
	s_or_b64 s[28:29], s[28:29], exec
	global_load_dwordx2 v[14:15], v[4:5], off
	v_add_u32_e32 v4, v2, v8
	v_cmp_gt_u32_e32 vcc, s10, v4
	s_waitcnt vmcnt(1)
	v_lshlrev_b32_e32 v16, 16, v6
	v_and_b32_e32 v5, 0xffff0000, v6
	s_waitcnt vmcnt(0)
	v_lshlrev_b32_e32 v18, 16, v14
	v_alignbit_b32 v6, v7, v6, 16
	v_and_b32_e32 v17, 0xffff0000, v14
	v_alignbit_b32 v14, v15, v14, 16
	v_add_f32_e32 v16, v16, v18
	v_and_b32_e32 v6, 0xffff0000, v6
	v_add_f32_e32 v5, v5, v17
	v_and_b32_e32 v14, 0xffff0000, v14
	v_fmac_f32_e32 v1, v16, v16
	v_and_b32_e32 v7, 0xffff0000, v7
	v_and_b32_e32 v15, 0xffff0000, v15
	v_add_f32_e32 v6, v6, v14
	v_fmac_f32_e32 v1, v5, v5
	v_add_f32_e32 v7, v7, v15
	v_fmac_f32_e32 v1, v6, v6
	v_fmac_f32_e32 v1, v7, v7
	s_and_saveexec_b64 s[38:39], vcc
	s_cbranch_execz .LBB68_4
; %bb.6:                                ;   in Loop: Header=BB68_5 Depth=1
	v_mov_b32_e32 v5, v3
	v_lshlrev_b64 v[6:7], 3, v[4:5]
	v_add_co_u32_e32 v14, vcc, s33, v6
	v_addc_co_u32_e32 v15, vcc, v9, v7, vcc
	v_add_co_u32_e32 v6, vcc, s47, v6
	v_addc_co_u32_e32 v7, vcc, v10, v7, vcc
	global_load_dwordx2 v[14:15], v[14:15], off
	s_mov_b64 s[42:43], -1
	global_load_dwordx2 v[16:17], v[6:7], off
	v_add_u32_e32 v6, v12, v2
	v_cmp_gt_u32_e32 vcc, s10, v6
	s_waitcnt vmcnt(1)
	v_lshlrev_b32_e32 v7, 16, v14
	v_and_b32_e32 v5, 0xffff0000, v14
	s_waitcnt vmcnt(0)
	v_lshlrev_b32_e32 v19, 16, v16
	v_alignbit_b32 v14, v15, v14, 16
	v_and_b32_e32 v18, 0xffff0000, v16
	v_alignbit_b32 v16, v17, v16, 16
	v_add_f32_e32 v7, v7, v19
	v_and_b32_e32 v14, 0xffff0000, v14
	v_add_f32_e32 v5, v5, v18
	v_and_b32_e32 v16, 0xffff0000, v16
	v_fmac_f32_e32 v1, v7, v7
	v_and_b32_e32 v15, 0xffff0000, v15
	v_and_b32_e32 v17, 0xffff0000, v17
	v_add_f32_e32 v14, v14, v16
	v_fmac_f32_e32 v1, v5, v5
	v_add_f32_e32 v15, v15, v17
	v_fmac_f32_e32 v1, v14, v14
	v_fmac_f32_e32 v1, v15, v15
	s_and_saveexec_b64 s[40:41], vcc
	s_cbranch_execz .LBB68_3
; %bb.7:                                ;   in Loop: Header=BB68_5 Depth=1
	v_mov_b32_e32 v7, v3
	v_lshlrev_b64 v[6:7], 3, v[6:7]
	v_add_co_u32_e32 v14, vcc, s33, v6
	v_addc_co_u32_e32 v15, vcc, v9, v7, vcc
	v_add_co_u32_e32 v6, vcc, s47, v6
	v_addc_co_u32_e32 v7, vcc, v10, v7, vcc
	global_load_dwordx2 v[14:15], v[14:15], off
	v_add_u32_e32 v2, v11, v2
	global_load_dwordx2 v[6:7], v[6:7], off
	v_cmp_gt_u32_e32 vcc, s10, v2
	s_mov_b64 s[44:45], -1
	s_waitcnt vmcnt(1)
	v_lshlrev_b32_e32 v16, 16, v14
	v_and_b32_e32 v5, 0xffff0000, v14
	s_waitcnt vmcnt(0)
	v_lshlrev_b32_e32 v18, 16, v6
	v_alignbit_b32 v14, v15, v14, 16
	v_and_b32_e32 v17, 0xffff0000, v6
	v_alignbit_b32 v6, v7, v6, 16
	v_add_f32_e32 v16, v16, v18
	v_and_b32_e32 v14, 0xffff0000, v14
	v_add_f32_e32 v5, v5, v17
	v_and_b32_e32 v6, 0xffff0000, v6
	v_fmac_f32_e32 v1, v16, v16
	v_and_b32_e32 v15, 0xffff0000, v15
	v_and_b32_e32 v7, 0xffff0000, v7
	v_add_f32_e32 v6, v14, v6
	v_fmac_f32_e32 v1, v5, v5
	v_add_f32_e32 v7, v15, v7
	v_fmac_f32_e32 v1, v6, v6
	v_fmac_f32_e32 v1, v7, v7
	s_and_saveexec_b64 s[42:43], vcc
	s_xor_b64 s[42:43], exec, s[42:43]
	s_cbranch_execz .LBB68_2
; %bb.8:                                ;   in Loop: Header=BB68_5 Depth=1
	v_lshlrev_b64 v[6:7], 3, v[2:3]
	v_mov_b32_e32 v2, s46
	v_add_co_u32_e32 v14, vcc, s33, v6
	v_addc_co_u32_e32 v15, vcc, v2, v7, vcc
	v_mov_b32_e32 v2, s48
	v_add_co_u32_e32 v6, vcc, s47, v6
	v_addc_co_u32_e32 v7, vcc, v2, v7, vcc
	global_load_dwordx2 v[14:15], v[14:15], off
	v_add_u32_e32 v2, v13, v4
	global_load_dwordx2 v[6:7], v[6:7], off
	v_cmp_le_u32_e32 vcc, s10, v2
	s_orn2_b64 s[44:45], vcc, exec
	s_waitcnt vmcnt(1)
	v_lshlrev_b32_e32 v5, 16, v14
	v_and_b32_e32 v4, 0xffff0000, v14
	s_waitcnt vmcnt(0)
	v_lshlrev_b32_e32 v17, 16, v6
	v_alignbit_b32 v14, v15, v14, 16
	v_and_b32_e32 v16, 0xffff0000, v6
	v_alignbit_b32 v6, v7, v6, 16
	v_add_f32_e32 v5, v5, v17
	v_and_b32_e32 v14, 0xffff0000, v14
	v_add_f32_e32 v4, v4, v16
	v_and_b32_e32 v6, 0xffff0000, v6
	v_fmac_f32_e32 v1, v5, v5
	v_and_b32_e32 v15, 0xffff0000, v15
	v_and_b32_e32 v7, 0xffff0000, v7
	v_add_f32_e32 v6, v14, v6
	v_fmac_f32_e32 v1, v4, v4
	v_add_f32_e32 v7, v15, v7
	v_fmac_f32_e32 v1, v6, v6
	v_fmac_f32_e32 v1, v7, v7
	s_branch .LBB68_2
.LBB68_9:
	s_or_b64 exec, exec, s[24:25]
.LBB68_10:
	s_or_b64 exec, exec, s[2:3]
	v_mbcnt_lo_u32_b32 v2, -1, 0
	v_mbcnt_hi_u32_b32 v2, -1, v2
	v_and_b32_e32 v3, 63, v2
	v_cmp_ne_u32_e32 vcc, 63, v3
	s_load_dword s2, s[26:27], 0xc
	v_addc_co_u32_e32 v4, vcc, 0, v2, vcc
	v_lshlrev_b32_e32 v4, 2, v4
	ds_bpermute_b32 v4, v4, v1
	s_waitcnt lgkmcnt(0)
	s_and_b32 s9, s2, 0xffff
	v_and_b32_e32 v5, 0x3c0, v0
	v_sub_u32_e64 v5, s9, v5 clamp
	v_add_u32_e32 v6, 1, v2
	v_add_f32_e32 v4, v1, v4
	v_cmp_lt_u32_e32 vcc, v6, v5
	v_cndmask_b32_e32 v1, v1, v4, vcc
	v_cmp_gt_u32_e32 vcc, 62, v3
	v_cndmask_b32_e64 v4, 0, 1, vcc
	v_lshlrev_b32_e32 v4, 1, v4
	v_add_lshl_u32 v4, v4, v2, 2
	ds_bpermute_b32 v4, v4, v1
	v_add_u32_e32 v6, 2, v2
	v_cmp_lt_u32_e32 vcc, v6, v5
	v_add_u32_e32 v6, 4, v2
	s_waitcnt lgkmcnt(0)
	v_add_f32_e32 v4, v1, v4
	v_cndmask_b32_e32 v1, v1, v4, vcc
	v_cmp_gt_u32_e32 vcc, 60, v3
	v_cndmask_b32_e64 v4, 0, 1, vcc
	v_lshlrev_b32_e32 v4, 2, v4
	v_add_lshl_u32 v4, v4, v2, 2
	ds_bpermute_b32 v4, v4, v1
	v_cmp_lt_u32_e32 vcc, v6, v5
	v_add_u32_e32 v6, 8, v2
	s_waitcnt lgkmcnt(0)
	v_add_f32_e32 v4, v1, v4
	v_cndmask_b32_e32 v1, v1, v4, vcc
	v_cmp_gt_u32_e32 vcc, 56, v3
	v_cndmask_b32_e64 v4, 0, 1, vcc
	v_lshlrev_b32_e32 v4, 3, v4
	v_add_lshl_u32 v4, v4, v2, 2
	ds_bpermute_b32 v4, v4, v1
	v_cmp_lt_u32_e32 vcc, v6, v5
	v_add_u32_e32 v6, 16, v2
	s_waitcnt lgkmcnt(0)
	v_add_f32_e32 v4, v1, v4
	v_cndmask_b32_e32 v1, v1, v4, vcc
	v_cmp_gt_u32_e32 vcc, 48, v3
	v_cndmask_b32_e64 v4, 0, 1, vcc
	v_lshlrev_b32_e32 v4, 4, v4
	v_add_lshl_u32 v4, v4, v2, 2
	ds_bpermute_b32 v4, v4, v1
	v_cmp_lt_u32_e32 vcc, v6, v5
	s_waitcnt lgkmcnt(0)
	v_add_f32_e32 v4, v1, v4
	v_cndmask_b32_e32 v1, v1, v4, vcc
	v_cmp_gt_u32_e32 vcc, 32, v3
	v_cndmask_b32_e64 v3, 0, 1, vcc
	v_lshlrev_b32_e32 v3, 5, v3
	v_add_lshl_u32 v3, v3, v2, 2
	ds_bpermute_b32 v3, v3, v1
	v_add_u32_e32 v4, 32, v2
	v_cmp_lt_u32_e32 vcc, v4, v5
	s_waitcnt lgkmcnt(0)
	v_add_f32_e32 v3, v1, v3
	v_cndmask_b32_e32 v1, v1, v3, vcc
	v_cmp_eq_u32_e32 vcc, 0, v2
	s_and_saveexec_b64 s[2:3], vcc
	s_cbranch_execz .LBB68_12
; %bb.11:
	v_lshrrev_b32_e32 v3, 4, v0
	v_and_b32_e32 v3, 60, v3
	ds_write_b32 v3, v1 offset:4096
.LBB68_12:
	s_or_b64 exec, exec, s[2:3]
	v_cmp_gt_u32_e32 vcc, 16, v0
	s_waitcnt lgkmcnt(0)
	s_barrier
	s_and_saveexec_b64 s[24:25], vcc
	s_cbranch_execz .LBB68_14
; %bb.13:
	v_lshlrev_b32_e32 v1, 2, v2
	ds_read_b32 v1, v1 offset:4096
	v_and_b32_e32 v3, 15, v2
	v_cmp_ne_u32_e32 vcc, 15, v3
	v_addc_co_u32_e32 v4, vcc, 0, v2, vcc
	v_lshlrev_b32_e32 v4, 2, v4
	s_waitcnt lgkmcnt(0)
	ds_bpermute_b32 v4, v4, v1
	s_add_i32 s9, s9, 63
	s_lshr_b32 s9, s9, 6
	v_add_u32_e32 v5, 1, v3
	v_cmp_gt_u32_e64 s[2:3], 14, v3
	v_cmp_gt_u32_e32 vcc, s9, v5
	v_cndmask_b32_e64 v5, 0, 1, s[2:3]
	s_waitcnt lgkmcnt(0)
	v_add_f32_e32 v4, v1, v4
	v_lshlrev_b32_e32 v5, 1, v5
	v_cndmask_b32_e32 v4, v1, v4, vcc
	v_add_lshl_u32 v5, v5, v2, 2
	ds_bpermute_b32 v5, v5, v4
	v_add_u32_e32 v6, 2, v3
	v_cmp_gt_u32_e64 s[2:3], s9, v6
	v_add_u32_e32 v6, 4, v3
	s_waitcnt lgkmcnt(0)
	v_add_f32_e32 v5, v4, v5
	v_cndmask_b32_e64 v4, v4, v5, s[2:3]
	v_cmp_gt_u32_e64 s[2:3], 12, v3
	v_cndmask_b32_e64 v5, 0, 1, s[2:3]
	v_lshlrev_b32_e32 v5, 2, v5
	v_add_lshl_u32 v5, v5, v2, 2
	ds_bpermute_b32 v5, v5, v4
	v_cmp_gt_u32_e64 s[2:3], s9, v6
	s_waitcnt lgkmcnt(0)
	v_add_f32_e32 v5, v4, v5
	v_cndmask_b32_e64 v4, v4, v5, s[2:3]
	v_cmp_gt_u32_e64 s[2:3], 8, v3
	v_cndmask_b32_e64 v5, 0, 1, s[2:3]
	v_lshlrev_b32_e32 v5, 3, v5
	v_add_lshl_u32 v2, v5, v2, 2
	ds_bpermute_b32 v2, v2, v4
	v_add_u32_e32 v3, 8, v3
	v_cmp_gt_u32_e64 s[2:3], s9, v3
	s_waitcnt lgkmcnt(0)
	v_add_f32_e32 v2, v4, v2
	v_cndmask_b32_e64 v2, v4, v2, s[2:3]
	v_cndmask_b32_e32 v1, v1, v2, vcc
.LBB68_14:
	s_or_b64 exec, exec, s[24:25]
	v_cmp_eq_u32_e32 vcc, 0, v0
	s_and_saveexec_b64 s[2:3], vcc
	s_cbranch_execz .LBB68_16
; %bb.15:
	v_cvt_f32_i32_e32 v2, s22
	s_mov_b32 s9, 0x800000
	v_div_scale_f32 v3, s[24:25], v2, v2, v1
	v_rcp_f32_e32 v4, v3
	v_div_scale_f32 v5, vcc, v1, v2, v1
	v_fma_f32 v6, -v3, v4, 1.0
	v_fmac_f32_e32 v4, v6, v4
	v_mul_f32_e32 v6, v5, v4
	v_fma_f32 v7, -v3, v6, v5
	v_fmac_f32_e32 v6, v7, v4
	v_fma_f32 v3, -v3, v6, v5
	v_div_fmas_f32 v3, v3, v4, v6
	v_div_fixup_f32 v1, v3, v2, v1
	v_add_f32_e32 v1, s8, v1
	v_mul_f32_e32 v2, 0x4b800000, v1
	v_cmp_gt_f32_e32 vcc, s9, v1
	v_cndmask_b32_e32 v1, v1, v2, vcc
	v_rsq_f32_e32 v1, v1
	v_mul_f32_e32 v2, 0x45800000, v1
	v_cndmask_b32_e32 v1, v1, v2, vcc
	v_mov_b32_e32 v2, 0
	ds_write_b32 v2, v1 offset:4160
.LBB68_16:
	s_or_b64 exec, exec, s[2:3]
	s_ashr_i32 s2, s22, 31
	s_lshr_b32 s2, s2, 25
	s_add_i32 s8, s22, s2
	s_ashr_i32 s24, s8, 7
	s_cmp_lt_u32 s6, s49
	s_cselect_b32 s2, 12, 18
	s_add_u32 s2, s26, s2
	v_mov_b32_e32 v5, 0
	s_addc_u32 s3, s27, 0
	s_waitcnt lgkmcnt(0)
	s_barrier
	global_load_ushort v1, v5, s[2:3]
	ds_read_b32 v37, v5 offset:4160
	s_abs_i32 s2, s24
	v_cvt_f32_u32_e32 v2, s2
	s_ashr_i32 s3, s8, 31
	s_sub_i32 s8, 0, s2
	v_mov_b32_e32 v10, s10
	v_rcp_iflag_f32_e32 v2, v2
	v_mul_f32_e32 v2, 0x4f7ffffe, v2
	v_cvt_u32_f32_e32 v2, v2
	v_readfirstlane_b32 s9, v2
	s_mul_i32 s8, s8, s9
	s_mul_hi_u32 s8, s9, s8
	s_add_i32 s9, s9, s8
	s_waitcnt vmcnt(0)
	v_readfirstlane_b32 s44, v1
	s_mul_hi_u32 s8, s44, s9
	s_mul_i32 s9, s8, s2
	s_sub_i32 s9, s44, s9
	s_add_i32 s11, s8, 1
	s_sub_i32 s25, s9, s2
	s_cmp_ge_u32 s9, s2
	s_cselect_b32 s8, s11, s8
	s_cselect_b32 s9, s25, s9
	s_add_i32 s11, s8, 1
	s_cmp_ge_u32 s9, s2
	s_cselect_b32 s2, s11, s8
	s_xor_b32 s2, s2, s3
	s_sub_i32 s26, s2, s3
	s_abs_i32 s2, s26
	v_cvt_f32_u32_e32 v1, s2
	s_sub_i32 s3, 0, s2
	s_ashr_i32 s27, s26, 31
	s_ashr_i32 s11, s10, 31
	v_rcp_iflag_f32_e32 v1, v1
	v_mov_b32_e32 v11, s11
	v_mul_f32_e32 v1, 0x4f7ffffe, v1
	v_cvt_u32_f32_e32 v1, v1
	v_mul_lo_u32 v2, s3, v1
	v_mul_hi_u32 v2, v1, v2
	v_add_u32_e32 v1, v1, v2
	v_mul_hi_u32 v1, v0, v1
	v_mul_lo_u32 v2, v1, s2
	v_sub_u32_e32 v2, v0, v2
	v_add_u32_e32 v3, 1, v1
	v_cmp_le_u32_e32 vcc, s2, v2
	v_cndmask_b32_e32 v1, v1, v3, vcc
	v_subrev_u32_e32 v3, s2, v2
	v_cndmask_b32_e32 v2, v2, v3, vcc
	v_add_u32_e32 v3, 1, v1
	v_cmp_le_u32_e32 vcc, s2, v2
	v_cndmask_b32_e32 v1, v1, v3, vcc
	v_xor_b32_e32 v1, s27, v1
	v_subrev_u32_e32 v2, s27, v1
	v_mul_lo_u32 v1, v2, s26
	v_ashrrev_i32_e32 v3, 31, v2
	v_sub_u32_e32 v4, v0, v1
	v_lshlrev_b64 v[8:9], 5, v[2:3]
	v_add_co_u32_e32 v6, vcc, v8, v4
	v_addc_co_u32_e32 v7, vcc, 0, v9, vcc
	v_add_co_u32_e32 v8, vcc, 32, v8
	v_addc_co_u32_e32 v9, vcc, 0, v9, vcc
	v_cmp_gt_i64_e32 vcc, s[10:11], v[8:9]
	v_cndmask_b32_e32 v8, v10, v8, vcc
	v_cndmask_b32_e32 v9, v11, v9, vcc
	v_ashrrev_i32_e32 v11, 31, v8
	v_mov_b32_e32 v10, v8
	v_cmp_lt_i64_e32 vcc, v[6:7], v[10:11]
	s_and_saveexec_b64 s[28:29], vcc
	s_cbranch_execz .LBB68_26
; %bb.17:
	v_lshlrev_b64 v[30:31], 8, v[2:3]
	s_mul_i32 s25, s26, 24
	v_lshlrev_b64 v[12:13], 3, v[4:5]
	v_mov_b32_e32 v1, s31
	v_add_co_u32_e32 v5, vcc, s30, v30
	s_mul_hi_i32 s11, s26, 24
	s_add_u32 s2, s16, s25
	v_addc_co_u32_e32 v19, vcc, v1, v31, vcc
	s_addc_u32 s3, s17, s11
	v_mov_b32_e32 v1, s3
	v_add_co_u32_e32 v14, vcc, s2, v5
	s_lshl_b64 s[30:31], s[26:27], 5
	s_lshl_b64 s[2:3], s[26:27], 4
	s_add_u32 s8, s16, s2
	v_addc_co_u32_e32 v1, vcc, v1, v19, vcc
	s_addc_u32 s9, s17, s3
	v_mov_b32_e32 v15, s9
	v_add_co_u32_e32 v16, vcc, s8, v5
	s_lshl_b64 s[8:9], s[26:27], 3
	s_add_u32 s38, s16, s8
	v_addc_co_u32_e32 v15, vcc, v15, v19, vcc
	s_addc_u32 s39, s17, s9
	v_mov_b32_e32 v17, s39
	v_add_co_u32_e32 v18, vcc, s38, v5
	v_addc_co_u32_e32 v17, vcc, v17, v19, vcc
	v_mov_b32_e32 v21, s17
	v_add_co_u32_e32 v20, vcc, s16, v5
	s_add_u32 s16, s18, s25
	v_addc_co_u32_e32 v19, vcc, v21, v19, vcc
	s_addc_u32 s17, s19, s11
	v_mov_b32_e32 v5, s17
	v_add_co_u32_e32 v22, vcc, s16, v30
	s_add_u32 s16, s18, s2
	v_addc_co_u32_e32 v21, vcc, v5, v31, vcc
	s_addc_u32 s17, s19, s3
	;; [unrolled: 5-line block ×3, first 2 shown]
	v_mov_b32_e32 v5, s17
	v_add_co_u32_e32 v26, vcc, s16, v30
	v_addc_co_u32_e32 v25, vcc, v5, v31, vcc
	v_mov_b32_e32 v5, s19
	v_add_co_u32_e32 v28, vcc, s18, v30
	v_addc_co_u32_e32 v27, vcc, v5, v31, vcc
	v_mov_b32_e32 v5, s37
	v_add_co_u32_e32 v35, vcc, s36, v30
	s_add_u32 s16, s34, s25
	v_addc_co_u32_e32 v5, vcc, v5, v31, vcc
	s_addc_u32 s11, s35, s11
	v_mov_b32_e32 v29, s11
	v_add_co_u32_e32 v30, vcc, s16, v35
	s_add_u32 s2, s34, s2
	v_addc_co_u32_e32 v29, vcc, v29, v5, vcc
	s_addc_u32 s3, s35, s3
	v_mov_b32_e32 v31, s3
	v_add_co_u32_e32 v32, vcc, s2, v35
	s_add_u32 s2, s34, s8
	v_addc_co_u32_e32 v31, vcc, v31, v5, vcc
	s_addc_u32 s3, s35, s9
	v_mov_b32_e32 v33, s3
	v_add_co_u32_e32 v34, vcc, s2, v35
	v_addc_co_u32_e32 v33, vcc, v33, v5, vcc
	v_mov_b32_e32 v38, s35
	v_add_co_u32_e32 v36, vcc, s34, v35
	v_addc_co_u32_e32 v35, vcc, v38, v5, vcc
	s_mul_hi_i32 s11, s26, 3
	s_mul_i32 s25, s26, 3
	s_lshl_b64 s[34:35], s[26:27], 1
	s_mov_b64 s[16:17], 0
	v_mov_b32_e32 v5, 0
	s_movk_i32 s45, 0x7fff
	v_mov_b32_e32 v42, 0x7fc00000
	v_pk_mov_b32 v[38:39], v[6:7], v[6:7] op_sel:[0,1]
                                        ; implicit-def: $sgpr36_sgpr37
	s_branch .LBB68_21
.LBB68_18:                              ;   in Loop: Header=BB68_21 Depth=1
	s_or_b64 exec, exec, s[42:43]
	s_orn2_b64 s[2:3], s[2:3], exec
.LBB68_19:                              ;   in Loop: Header=BB68_21 Depth=1
	s_or_b64 exec, exec, s[40:41]
	s_andn2_b64 s[8:9], s[36:37], exec
	s_and_b64 s[2:3], s[2:3], exec
	s_or_b64 s[36:37], s[8:9], s[2:3]
.LBB68_20:                              ;   in Loop: Header=BB68_21 Depth=1
	s_or_b64 exec, exec, s[38:39]
	s_and_b64 s[2:3], exec, s[36:37]
	s_or_b64 s[16:17], s[2:3], s[16:17]
	s_andn2_b64 exec, exec, s[16:17]
	s_cbranch_execz .LBB68_25
.LBB68_21:                              ; =>This Inner Loop Header: Depth=1
	v_add_co_u32_e32 v40, vcc, v20, v12
	v_addc_co_u32_e32 v41, vcc, v19, v13, vcc
	global_load_dwordx2 v[44:45], v[40:41], off
	v_add_co_u32_e32 v40, vcc, v28, v12
	v_addc_co_u32_e32 v41, vcc, v27, v13, vcc
	global_load_dwordx2 v[46:47], v[40:41], off
	;; [unrolled: 3-line block ×3, first 2 shown]
	v_mov_b32_e32 v41, s27
	v_add_co_u32_e32 v40, vcc, s26, v38
	v_addc_co_u32_e32 v41, vcc, v39, v41, vcc
	v_cmp_lt_i64_e32 vcc, v[40:41], v[10:11]
	s_or_b64 s[36:37], s[36:37], exec
	s_waitcnt vmcnt(2)
	v_and_b32_e32 v43, 0xffff0000, v44
	v_lshlrev_b32_e32 v51, 16, v44
	v_alignbit_b32 v44, v45, v44, 16
	v_and_b32_e32 v44, 0xffff0000, v44
	v_and_b32_e32 v45, 0xffff0000, v45
	s_waitcnt vmcnt(1)
	v_lshlrev_b32_e32 v54, 16, v46
	v_and_b32_e32 v50, 0xffff0000, v46
	v_alignbit_b32 v46, v47, v46, 16
	v_and_b32_e32 v47, 0xffff0000, v47
	v_and_b32_e32 v46, 0xffff0000, v46
	s_waitcnt vmcnt(0)
	v_and_b32_e32 v52, 0xffff0000, v48
	v_lshlrev_b32_e32 v53, 16, v48
	v_alignbit_b32 v48, v49, v48, 16
	v_add_f32_e32 v51, v51, v53
	v_and_b32_e32 v48, 0xffff0000, v48
	v_and_b32_e32 v49, 0xffff0000, v49
	v_add_f32_e32 v43, v43, v52
	v_add_f32_e32 v44, v44, v48
	s_waitcnt lgkmcnt(0)
	v_mul_f32_e32 v48, v37, v51
	v_add_f32_e32 v45, v45, v49
	v_mul_f32_e32 v43, v37, v43
	v_bfe_u32 v49, v48, 16, 1
	v_mul_f32_e32 v45, v37, v45
	v_bfe_u32 v51, v43, 16, 1
	v_add3_u32 v49, v48, v49, s45
	v_bfe_u32 v52, v45, 16, 1
	v_add3_u32 v51, v43, v51, s45
	v_and_b32_e32 v49, 0xffff0000, v49
	v_cmp_o_f32_e64 s[2:3], v48, v48
	v_mul_f32_e32 v44, v37, v44
	v_add3_u32 v52, v45, v52, s45
	v_and_b32_e32 v51, 0xffff0000, v51
	v_cndmask_b32_e64 v48, v42, v49, s[2:3]
	v_cmp_o_f32_e64 s[2:3], v43, v43
	v_bfe_u32 v53, v44, 16, 1
	v_and_b32_e32 v52, 0xffff0000, v52
	v_cndmask_b32_e64 v43, v42, v51, s[2:3]
	v_cmp_o_f32_e64 s[2:3], v45, v45
	v_add3_u32 v53, v44, v53, s45
	v_cndmask_b32_e64 v45, v42, v52, s[2:3]
	v_mul_f32_e32 v48, v48, v54
	v_and_b32_e32 v49, 0xffff0000, v53
	v_mul_f32_e32 v43, v43, v50
	v_cmp_o_f32_e64 s[2:3], v44, v44
	v_mul_f32_e32 v45, v45, v47
	v_bfe_u32 v47, v48, 16, 1
	v_cndmask_b32_e64 v44, v42, v49, s[2:3]
	v_bfe_u32 v49, v43, 16, 1
	v_add3_u32 v47, v48, v47, s45
	v_mul_f32_e32 v44, v44, v46
	v_bfe_u32 v46, v45, 16, 1
	v_add3_u32 v49, v43, v49, s45
	v_and_b32_e32 v47, 0xffff0000, v47
	v_cmp_o_f32_e64 s[2:3], v48, v48
	v_bfe_u32 v50, v44, 16, 1
	v_add3_u32 v46, v45, v46, s45
	v_and_b32_e32 v49, 0xffff0000, v49
	v_cndmask_b32_e64 v47, v42, |v47|, s[2:3]
	v_cmp_o_f32_e64 s[2:3], v43, v43
	v_add3_u32 v50, v44, v50, s45
	v_and_b32_e32 v46, 0xffff0000, v46
	v_cndmask_b32_e64 v43, v42, |v49|, s[2:3]
	v_cmp_o_f32_e64 s[2:3], v45, v45
	v_and_b32_e32 v48, 0xffff0000, v50
	v_cndmask_b32_e64 v45, v42, |v46|, s[2:3]
	v_cmp_o_f32_e64 s[2:3], v44, v44
	v_max3_f32 v5, v5, v47, v43
	v_cndmask_b32_e64 v43, v42, |v48|, s[2:3]
	v_max3_f32 v5, v5, v43, v45
	s_and_saveexec_b64 s[38:39], vcc
	s_cbranch_execz .LBB68_20
; %bb.22:                               ;   in Loop: Header=BB68_21 Depth=1
	v_add_co_u32_e32 v44, vcc, v18, v12
	v_addc_co_u32_e32 v45, vcc, v17, v13, vcc
	v_add_co_u32_e32 v46, vcc, v26, v12
	v_addc_co_u32_e32 v47, vcc, v25, v13, vcc
	;; [unrolled: 2-line block ×3, first 2 shown]
	global_load_dwordx2 v[44:45], v[44:45], off
	v_mov_b32_e32 v43, s35
	global_load_dwordx2 v[48:49], v[48:49], off
	v_add_co_u32_e32 v50, vcc, s34, v38
	global_load_dwordx2 v[46:47], v[46:47], off
	v_addc_co_u32_e32 v51, vcc, v43, v39, vcc
	v_cmp_lt_i64_e32 vcc, v[50:51], v[10:11]
	s_waitcnt vmcnt(2)
	v_and_b32_e32 v43, 0xffff0000, v44
	v_lshlrev_b32_e32 v51, 16, v44
	v_alignbit_b32 v44, v45, v44, 16
	s_waitcnt vmcnt(1)
	v_and_b32_e32 v52, 0xffff0000, v48
	v_lshlrev_b32_e32 v53, 16, v48
	v_alignbit_b32 v48, v49, v48, 16
	v_and_b32_e32 v44, 0xffff0000, v44
	v_add_f32_e32 v51, v51, v53
	v_and_b32_e32 v48, 0xffff0000, v48
	v_and_b32_e32 v45, 0xffff0000, v45
	;; [unrolled: 1-line block ×3, first 2 shown]
	v_add_f32_e32 v43, v43, v52
	v_add_f32_e32 v44, v44, v48
	v_mul_f32_e32 v48, v37, v51
	v_add_f32_e32 v45, v45, v49
	v_mul_f32_e32 v43, v37, v43
	v_bfe_u32 v49, v48, 16, 1
	v_mul_f32_e32 v45, v37, v45
	v_bfe_u32 v51, v43, 16, 1
	v_add3_u32 v49, v48, v49, s45
	v_bfe_u32 v52, v45, 16, 1
	v_add3_u32 v51, v43, v51, s45
	v_and_b32_e32 v49, 0xffff0000, v49
	v_cmp_o_f32_e64 s[2:3], v48, v48
	v_mul_f32_e32 v44, v37, v44
	v_add3_u32 v52, v45, v52, s45
	v_and_b32_e32 v51, 0xffff0000, v51
	v_cndmask_b32_e64 v48, v42, v49, s[2:3]
	v_cmp_o_f32_e64 s[2:3], v43, v43
	s_waitcnt vmcnt(0)
	v_lshlrev_b32_e32 v54, 16, v46
	v_bfe_u32 v53, v44, 16, 1
	v_and_b32_e32 v52, 0xffff0000, v52
	v_cndmask_b32_e64 v43, v42, v51, s[2:3]
	v_cmp_o_f32_e64 s[2:3], v45, v45
	v_and_b32_e32 v50, 0xffff0000, v46
	v_alignbit_b32 v46, v47, v46, 16
	v_and_b32_e32 v47, 0xffff0000, v47
	v_add3_u32 v53, v44, v53, s45
	v_cndmask_b32_e64 v45, v42, v52, s[2:3]
	v_mul_f32_e32 v48, v48, v54
	v_and_b32_e32 v49, 0xffff0000, v53
	v_mul_f32_e32 v43, v43, v50
	v_cmp_o_f32_e64 s[2:3], v44, v44
	v_mul_f32_e32 v45, v45, v47
	v_bfe_u32 v47, v48, 16, 1
	v_and_b32_e32 v46, 0xffff0000, v46
	v_cndmask_b32_e64 v44, v42, v49, s[2:3]
	v_bfe_u32 v49, v43, 16, 1
	v_add3_u32 v47, v48, v47, s45
	v_mul_f32_e32 v44, v44, v46
	v_bfe_u32 v46, v45, 16, 1
	v_add3_u32 v49, v43, v49, s45
	v_and_b32_e32 v47, 0xffff0000, v47
	v_cmp_o_f32_e64 s[2:3], v48, v48
	v_bfe_u32 v50, v44, 16, 1
	v_add3_u32 v46, v45, v46, s45
	v_and_b32_e32 v49, 0xffff0000, v49
	v_cndmask_b32_e64 v47, v42, |v47|, s[2:3]
	v_cmp_o_f32_e64 s[2:3], v43, v43
	v_add3_u32 v50, v44, v50, s45
	v_and_b32_e32 v46, 0xffff0000, v46
	v_cndmask_b32_e64 v43, v42, |v49|, s[2:3]
	v_cmp_o_f32_e64 s[2:3], v45, v45
	v_and_b32_e32 v48, 0xffff0000, v50
	v_cndmask_b32_e64 v45, v42, |v46|, s[2:3]
	v_cmp_o_f32_e64 s[2:3], v44, v44
	v_max3_f32 v5, v5, v47, v43
	v_cndmask_b32_e64 v43, v42, |v48|, s[2:3]
	v_max3_f32 v5, v5, v43, v45
	s_mov_b64 s[2:3], -1
	s_and_saveexec_b64 s[40:41], vcc
	s_cbranch_execz .LBB68_19
; %bb.23:                               ;   in Loop: Header=BB68_21 Depth=1
	v_add_co_u32_e32 v44, vcc, v16, v12
	v_addc_co_u32_e32 v45, vcc, v15, v13, vcc
	v_add_co_u32_e32 v46, vcc, v24, v12
	v_addc_co_u32_e32 v47, vcc, v23, v13, vcc
	;; [unrolled: 2-line block ×3, first 2 shown]
	global_load_dwordx2 v[44:45], v[44:45], off
	v_mov_b32_e32 v43, s11
	global_load_dwordx2 v[48:49], v[48:49], off
	v_add_co_u32_e32 v38, vcc, s25, v38
	global_load_dwordx2 v[46:47], v[46:47], off
	v_addc_co_u32_e32 v39, vcc, v43, v39, vcc
	v_cmp_lt_i64_e32 vcc, v[38:39], v[10:11]
	s_waitcnt vmcnt(2)
	v_lshlrev_b32_e32 v43, 16, v44
	v_and_b32_e32 v38, 0xffff0000, v44
	s_waitcnt vmcnt(1)
	v_lshlrev_b32_e32 v51, 16, v48
	v_alignbit_b32 v44, v45, v44, 16
	v_and_b32_e32 v50, 0xffff0000, v48
	v_alignbit_b32 v48, v49, v48, 16
	v_add_f32_e32 v43, v43, v51
	v_and_b32_e32 v45, 0xffff0000, v45
	v_and_b32_e32 v49, 0xffff0000, v49
	;; [unrolled: 1-line block ×3, first 2 shown]
	v_add_f32_e32 v38, v38, v50
	v_and_b32_e32 v48, 0xffff0000, v48
	v_mul_f32_e32 v43, v37, v43
	v_add_f32_e32 v45, v45, v49
	v_add_f32_e32 v44, v44, v48
	v_mul_f32_e32 v38, v37, v38
	v_bfe_u32 v48, v43, 16, 1
	v_mul_f32_e32 v45, v37, v45
	v_bfe_u32 v49, v38, 16, 1
	v_add3_u32 v48, v43, v48, s45
	v_bfe_u32 v50, v45, 16, 1
	v_add3_u32 v49, v38, v49, s45
	v_and_b32_e32 v48, 0xffff0000, v48
	v_cmp_o_f32_e64 s[2:3], v43, v43
	v_mul_f32_e32 v44, v37, v44
	v_add3_u32 v50, v45, v50, s45
	v_and_b32_e32 v49, 0xffff0000, v49
	v_cndmask_b32_e64 v43, v42, v48, s[2:3]
	v_cmp_o_f32_e64 s[2:3], v38, v38
	s_waitcnt vmcnt(0)
	v_lshlrev_b32_e32 v52, 16, v46
	v_bfe_u32 v51, v44, 16, 1
	v_and_b32_e32 v50, 0xffff0000, v50
	v_cndmask_b32_e64 v38, v42, v49, s[2:3]
	v_cmp_o_f32_e64 s[2:3], v45, v45
	v_and_b32_e32 v39, 0xffff0000, v46
	v_alignbit_b32 v46, v47, v46, 16
	v_and_b32_e32 v47, 0xffff0000, v47
	v_add3_u32 v51, v44, v51, s45
	v_cndmask_b32_e64 v45, v42, v50, s[2:3]
	v_mul_f32_e32 v43, v43, v52
	v_and_b32_e32 v48, 0xffff0000, v51
	v_mul_f32_e32 v38, v38, v39
	v_cmp_o_f32_e64 s[2:3], v44, v44
	v_mul_f32_e32 v44, v45, v47
	v_bfe_u32 v45, v43, 16, 1
	v_and_b32_e32 v46, 0xffff0000, v46
	v_cndmask_b32_e64 v39, v42, v48, s[2:3]
	v_bfe_u32 v47, v38, 16, 1
	v_add3_u32 v45, v43, v45, s45
	v_mul_f32_e32 v39, v39, v46
	v_bfe_u32 v46, v44, 16, 1
	v_add3_u32 v47, v38, v47, s45
	v_and_b32_e32 v45, 0xffff0000, v45
	v_cmp_o_f32_e64 s[2:3], v43, v43
	v_bfe_u32 v48, v39, 16, 1
	v_add3_u32 v46, v44, v46, s45
	v_and_b32_e32 v47, 0xffff0000, v47
	v_cndmask_b32_e64 v43, v42, |v45|, s[2:3]
	v_cmp_o_f32_e64 s[2:3], v38, v38
	v_add3_u32 v48, v39, v48, s45
	v_and_b32_e32 v46, 0xffff0000, v46
	v_cndmask_b32_e64 v38, v42, |v47|, s[2:3]
	v_cmp_o_f32_e64 s[2:3], v44, v44
	v_and_b32_e32 v45, 0xffff0000, v48
	v_cndmask_b32_e64 v44, v42, |v46|, s[2:3]
	v_cmp_o_f32_e64 s[2:3], v39, v39
	v_max3_f32 v5, v5, v43, v38
	v_cndmask_b32_e64 v38, v42, |v45|, s[2:3]
	v_max3_f32 v5, v5, v38, v44
	s_mov_b64 s[2:3], -1
                                        ; implicit-def: $vgpr38_vgpr39
	s_and_saveexec_b64 s[8:9], vcc
	s_xor_b64 s[42:43], exec, s[8:9]
	s_cbranch_execz .LBB68_18
; %bb.24:                               ;   in Loop: Header=BB68_21 Depth=1
	s_add_u32 s2, s26, s26
	s_addc_u32 s3, s27, s27
	s_add_u32 s2, s2, s26
	s_addc_u32 s3, s3, s27
	v_mov_b32_e32 v39, s3
	v_add_co_u32_e32 v38, vcc, s2, v40
	v_addc_co_u32_e32 v39, vcc, v39, v41, vcc
	v_add_co_u32_e32 v40, vcc, v14, v12
	v_addc_co_u32_e32 v41, vcc, v1, v13, vcc
	global_load_dwordx2 v[40:41], v[40:41], off
	s_waitcnt vmcnt(0)
	v_and_b32_e32 v43, 0xffff0000, v40
	v_lshlrev_b32_e32 v44, 16, v40
	v_alignbit_b32 v45, v41, v40, 16
	v_add_co_u32_e32 v40, vcc, v30, v12
	v_and_b32_e32 v46, 0xffff0000, v41
	v_addc_co_u32_e32 v41, vcc, v29, v13, vcc
	global_load_dwordx2 v[40:41], v[40:41], off
	v_and_b32_e32 v45, 0xffff0000, v45
	s_waitcnt vmcnt(0)
	v_and_b32_e32 v47, 0xffff0000, v40
	v_lshlrev_b32_e32 v48, 16, v40
	v_alignbit_b32 v49, v41, v40, 16
	v_add_co_u32_e32 v40, vcc, v22, v12
	v_and_b32_e32 v50, 0xffff0000, v41
	v_addc_co_u32_e32 v41, vcc, v21, v13, vcc
	global_load_dwordx2 v[40:41], v[40:41], off
	v_add_f32_e32 v44, v44, v48
	v_add_f32_e32 v43, v43, v47
	v_and_b32_e32 v47, 0xffff0000, v49
	v_mul_f32_e32 v44, v37, v44
	v_add_f32_e32 v45, v45, v47
	v_bfe_u32 v47, v44, 16, 1
	v_add3_u32 v47, v44, v47, s45
	v_and_b32_e32 v47, 0xffff0000, v47
	v_cmp_o_f32_e32 vcc, v44, v44
	v_mul_f32_e32 v43, v37, v43
	v_cndmask_b32_e32 v44, v42, v47, vcc
	v_bfe_u32 v47, v43, 16, 1
	v_add_f32_e32 v46, v46, v50
	v_add3_u32 v47, v43, v47, s45
	v_and_b32_e32 v47, 0xffff0000, v47
	v_cmp_o_f32_e32 vcc, v43, v43
	v_mul_f32_e32 v46, v37, v46
	v_cndmask_b32_e32 v43, v42, v47, vcc
	v_bfe_u32 v47, v46, 16, 1
	v_add3_u32 v47, v46, v47, s45
	v_and_b32_e32 v47, 0xffff0000, v47
	v_cmp_o_f32_e32 vcc, v46, v46
	v_cndmask_b32_e32 v46, v42, v47, vcc
	v_mul_f32_e32 v45, v37, v45
	v_cmp_o_f32_e32 vcc, v45, v45
	s_waitcnt vmcnt(0)
	v_and_b32_e32 v51, 0xffff0000, v40
	v_lshlrev_b32_e32 v52, 16, v40
	v_alignbit_b32 v40, v41, v40, 16
	v_and_b32_e32 v41, 0xffff0000, v41
	v_mul_f32_e32 v41, v46, v41
	v_bfe_u32 v46, v45, 16, 1
	v_add3_u32 v46, v45, v46, s45
	v_and_b32_e32 v46, 0xffff0000, v46
	v_mul_f32_e32 v43, v43, v51
	v_and_b32_e32 v40, 0xffff0000, v40
	v_cndmask_b32_e32 v45, v42, v46, vcc
	v_mul_f32_e32 v40, v45, v40
	v_bfe_u32 v45, v43, 16, 1
	v_mul_f32_e32 v44, v44, v52
	v_add3_u32 v45, v43, v45, s45
	v_cmp_o_f32_e32 vcc, v43, v43
	v_bfe_u32 v43, v40, 16, 1
	v_add3_u32 v43, v40, v43, s45
	v_cmp_o_f32_e64 s[2:3], v40, v40
	v_bfe_u32 v40, v44, 16, 1
	v_add3_u32 v40, v44, v40, s45
	v_and_b32_e32 v45, 0xffff0000, v45
	v_and_b32_e32 v40, 0xffff0000, v40
	v_cmp_o_f32_e64 s[8:9], v44, v44
	v_cndmask_b32_e64 v40, v42, |v40|, s[8:9]
	v_cndmask_b32_e64 v44, v42, |v45|, vcc
	v_max3_f32 v5, v5, v40, v44
	v_bfe_u32 v40, v41, 16, 1
	v_add3_u32 v40, v41, v40, s45
	v_and_b32_e32 v43, 0xffff0000, v43
	v_and_b32_e32 v40, 0xffff0000, v40
	v_cmp_o_f32_e32 vcc, v41, v41
	v_cndmask_b32_e64 v40, v42, |v40|, vcc
	v_cndmask_b32_e64 v41, v42, |v43|, s[2:3]
	v_max3_f32 v5, v5, v41, v40
	v_mov_b32_e32 v40, s31
	v_add_co_u32_e32 v14, vcc, s30, v14
	v_addc_co_u32_e32 v1, vcc, v1, v40, vcc
	v_add_co_u32_e32 v16, vcc, s30, v16
	v_addc_co_u32_e32 v15, vcc, v15, v40, vcc
	;; [unrolled: 2-line block ×12, first 2 shown]
	v_cmp_ge_i64_e32 vcc, v[38:39], v[10:11]
	s_orn2_b64 s[2:3], vcc, exec
	s_branch .LBB68_18
.LBB68_25:
	s_or_b64 exec, exec, s[16:17]
.LBB68_26:
	s_or_b64 exec, exec, s[28:29]
	s_lshr_b32 s11, s44, 6
	v_cvt_f32_u32_e32 v10, s11
	v_lshlrev_b32_e32 v1, 2, v0
	ds_write_b32 v1, v5
	s_sub_i32 s8, 0, s11
	v_rcp_iflag_f32_e32 v5, v10
	s_add_i32 s2, s24, s11
	s_add_i32 s2, s2, -1
	s_ashr_i32 s3, s2, 31
	v_mul_f32_e32 v5, 0x4f7ffffe, v5
	v_cvt_u32_f32_e32 v5, v5
	s_abs_i32 s2, s2
	s_waitcnt lgkmcnt(0)
	s_barrier
	v_readfirstlane_b32 s9, v5
	s_mul_i32 s8, s8, s9
	s_mul_hi_u32 s8, s9, s8
	s_add_i32 s9, s9, s8
	s_mul_hi_u32 s8, s2, s9
	s_mul_i32 s9, s8, s11
	s_sub_i32 s2, s2, s9
	s_add_i32 s9, s8, 1
	s_sub_i32 s16, s2, s11
	s_cmp_ge_u32 s2, s11
	s_cselect_b32 s8, s9, s8
	s_cselect_b32 s2, s16, s2
	s_add_i32 s9, s8, 1
	s_cmp_ge_u32 s2, s11
	s_cselect_b32 s2, s9, s8
	s_xor_b32 s2, s2, s3
	s_sub_i32 s2, s2, s3
	s_ashr_i32 s3, s2, 31
	v_cmp_lt_i64_e64 s[8:9], s[2:3], 1
	s_and_b64 vcc, exec, s[8:9]
	s_cbranch_vccnz .LBB68_48
; %bb.27:
	v_and_b32_e32 v12, 63, v0
	v_add_co_u32_e32 v14, vcc, 32, v12
	v_addc_co_u32_e64 v15, s[8:9], 0, 0, vcc
	v_add_co_u32_e32 v16, vcc, 16, v12
	v_addc_co_u32_e64 v17, s[8:9], 0, 0, vcc
	;; [unrolled: 2-line block ×4, first 2 shown]
	v_add_co_u32_e32 v22, vcc, 2, v12
	v_lshrrev_b32_e32 v10, 6, v0
	v_addc_co_u32_e64 v23, s[8:9], 0, 0, vcc
	v_add_co_u32_e32 v24, vcc, 1, v12
	v_addc_co_u32_e64 v25, s[8:9], 0, 0, vcc
	v_mul_lo_u32 v5, s26, v10
	v_lshlrev_b32_e32 v5, 2, v5
	v_lshlrev_b32_e32 v26, 2, v12
	s_movk_i32 s8, 0x100
	v_mov_b32_e32 v11, 0
	v_add3_u32 v5, v5, v26, s8
	s_mul_i32 s8, s26, s11
	s_ashr_i32 s25, s24, 31
	v_mov_b32_e32 v13, v11
	s_lshl_b32 s36, s8, 2
	s_mov_b64 s[8:9], 0
	v_mov_b32_e32 v36, s11
	s_mov_b64 s[16:17], src_shared_base
	s_branch .LBB68_30
.LBB68_28:                              ;   in Loop: Header=BB68_30 Depth=1
	s_or_b64 exec, exec, s[30:31]
	v_mov_b32_e32 v27, s17
	flat_load_dword v26, v[26:27] glc
	s_waitcnt vmcnt(0)
.LBB68_29:                              ;   in Loop: Header=BB68_30 Depth=1
	s_or_b64 exec, exec, s[28:29]
	s_add_u32 s8, s8, 1
	s_addc_u32 s9, s9, 0
	s_cmp_eq_u64 s[8:9], s[2:3]
	v_add_u32_e32 v5, s36, v5
	s_cbranch_scc1 .LBB68_48
.LBB68_30:                              ; =>This Loop Header: Depth=1
                                        ;     Child Loop BB68_33 Depth 2
	v_mad_u64_u32 v[30:31], s[28:29], s8, v36, v[10:11]
	s_mul_i32 s16, s9, s11
	v_add_u32_e32 v31, s16, v31
	v_cmp_gt_i64_e32 vcc, s[24:25], v[30:31]
	s_and_saveexec_b64 s[28:29], vcc
	s_cbranch_execz .LBB68_29
; %bb.31:                               ;   in Loop: Header=BB68_30 Depth=1
	v_pk_mov_b32 v[32:33], s[26:27], s[26:27] op_sel:[0,1]
	v_mul_lo_u32 v29, v31, s26
	v_mul_lo_u32 v38, v30, s27
	v_mad_u64_u32 v[32:33], s[30:31], v30, s26, v[32:33]
	v_add3_u32 v33, v29, v33, v38
	v_mov_b32_e32 v28, s23
	v_cmp_gt_i64_e32 vcc, s[22:23], v[32:33]
	s_waitcnt lgkmcnt(0)
	v_mad_u64_u32 v[26:27], s[30:31], v30, s26, v[12:13]
	v_cndmask_b32_e32 v33, v28, v33, vcc
	v_mov_b32_e32 v28, s22
	v_add3_u32 v27, v29, v27, v38
	v_cndmask_b32_e32 v32, v28, v32, vcc
	v_add_co_u32_e32 v34, vcc, 64, v26
	v_addc_co_u32_e32 v35, vcc, 0, v27, vcc
	v_cmp_lt_i64_e32 vcc, v[34:35], v[32:33]
	v_lshlrev_b32_e32 v28, 2, v26
	s_and_saveexec_b64 s[30:31], vcc
	s_cbranch_execz .LBB68_34
; %bb.32:                               ;   in Loop: Header=BB68_30 Depth=1
	ds_read_b32 v31, v28
	s_mov_b64 s[34:35], 0
	v_mov_b32_e32 v27, v5
.LBB68_33:                              ;   Parent Loop BB68_30 Depth=1
                                        ; =>  This Inner Loop Header: Depth=2
	ds_read_b32 v39, v27
	v_add_co_u32_e32 v34, vcc, 64, v34
	v_addc_co_u32_e32 v35, vcc, 0, v35, vcc
	s_waitcnt lgkmcnt(1)
	v_max_f32_e32 v31, v31, v31
	v_cmp_ge_i64_e32 vcc, v[34:35], v[32:33]
	s_waitcnt lgkmcnt(0)
	v_max_f32_e32 v39, v39, v39
	v_add_u32_e32 v27, 0x100, v27
	s_or_b64 s[34:35], vcc, s[34:35]
	v_max_f32_e32 v31, v31, v39
	ds_write_b32 v28, v31
	s_andn2_b64 exec, exec, s[34:35]
	s_cbranch_execnz .LBB68_33
.LBB68_34:                              ;   in Loop: Header=BB68_30 Depth=1
	s_or_b64 exec, exec, s[30:31]
	v_mad_u64_u32 v[30:31], s[30:31], v30, s26, 0
	v_add3_u32 v27, v31, v38, v29
	v_sub_co_u32_e32 v30, vcc, v32, v30
	v_subb_co_u32_e32 v31, vcc, v33, v27, vcc
	v_cmp_gt_i64_e32 vcc, 64, v[30:31]
	v_cndmask_b32_e32 v31, 0, v31, vcc
	v_cndmask_b32_e32 v30, 64, v30, vcc
	v_cmp_lt_i64_e32 vcc, v[14:15], v[30:31]
	s_and_saveexec_b64 s[30:31], vcc
	s_cbranch_execnz .LBB68_46
; %bb.35:                               ;   in Loop: Header=BB68_30 Depth=1
	s_or_b64 exec, exec, s[30:31]
	v_cmp_lt_i64_e32 vcc, v[16:17], v[30:31]
	s_and_saveexec_b64 s[30:31], vcc
	s_cbranch_execnz .LBB68_47
.LBB68_36:                              ;   in Loop: Header=BB68_30 Depth=1
	s_or_b64 exec, exec, s[30:31]
	v_cmp_lt_i64_e32 vcc, v[18:19], v[30:31]
	s_and_saveexec_b64 s[30:31], vcc
	s_cbranch_execz .LBB68_38
.LBB68_37:                              ;   in Loop: Header=BB68_30 Depth=1
	v_mov_b32_e32 v29, s17
	v_add_u32_e32 v32, 32, v28
	v_mov_b32_e32 v33, s17
	flat_load_dword v27, v[28:29] glc
	s_waitcnt vmcnt(0)
	flat_load_dword v34, v[32:33] glc
	s_waitcnt vmcnt(0) lgkmcnt(0)
	v_max_f32_e32 v27, v27, v27
	v_max_f32_e32 v32, v34, v34
	v_max_f32_e32 v27, v27, v32
	flat_store_dword v[28:29], v27
	s_waitcnt vmcnt(0)
.LBB68_38:                              ;   in Loop: Header=BB68_30 Depth=1
	s_or_b64 exec, exec, s[30:31]
	v_cmp_ge_i64_e32 vcc, v[20:21], v[30:31]
	s_and_saveexec_b64 s[30:31], vcc
	s_xor_b64 s[30:31], exec, s[30:31]
; %bb.39:                               ;   in Loop: Header=BB68_30 Depth=1
                                        ; implicit-def: $vgpr28
; %bb.40:                               ;   in Loop: Header=BB68_30 Depth=1
	s_andn2_saveexec_b64 s[30:31], s[30:31]
	s_cbranch_execz .LBB68_42
; %bb.41:                               ;   in Loop: Header=BB68_30 Depth=1
	v_mov_b32_e32 v29, s17
	v_add_u32_e32 v32, 16, v28
	v_mov_b32_e32 v33, s17
	flat_load_dword v27, v[28:29] glc
	s_waitcnt vmcnt(0)
	flat_load_dword v34, v[32:33] glc
	s_waitcnt vmcnt(0) lgkmcnt(0)
	v_max_f32_e32 v27, v27, v27
	v_max_f32_e32 v32, v34, v34
	;; [unrolled: 1-line block ×3, first 2 shown]
	flat_store_dword v[28:29], v27
	s_waitcnt vmcnt(0)
.LBB68_42:                              ;   in Loop: Header=BB68_30 Depth=1
	s_or_b64 exec, exec, s[30:31]
	v_cmp_lt_i64_e32 vcc, v[22:23], v[30:31]
	v_lshlrev_b32_e32 v26, 2, v26
	s_and_saveexec_b64 s[30:31], vcc
	s_cbranch_execz .LBB68_44
; %bb.43:                               ;   in Loop: Header=BB68_30 Depth=1
	v_mov_b32_e32 v27, s17
	v_add_u32_e32 v28, 8, v26
	v_mov_b32_e32 v29, s17
	flat_load_dword v32, v[26:27] glc
	s_waitcnt vmcnt(0)
	flat_load_dword v33, v[28:29] glc
	s_waitcnt vmcnt(0) lgkmcnt(0)
	v_max_f32_e32 v28, v32, v32
	v_max_f32_e32 v29, v33, v33
	;; [unrolled: 1-line block ×3, first 2 shown]
	flat_store_dword v[26:27], v28
	s_waitcnt vmcnt(0)
.LBB68_44:                              ;   in Loop: Header=BB68_30 Depth=1
	s_or_b64 exec, exec, s[30:31]
	v_cmp_lt_i64_e32 vcc, v[24:25], v[30:31]
	s_and_saveexec_b64 s[30:31], vcc
	s_cbranch_execz .LBB68_28
; %bb.45:                               ;   in Loop: Header=BB68_30 Depth=1
	v_mov_b32_e32 v27, s17
	v_add_u32_e32 v28, 4, v26
	v_mov_b32_e32 v29, s17
	flat_load_dword v30, v[26:27] glc
	s_waitcnt vmcnt(0)
	flat_load_dword v31, v[28:29] glc
	s_waitcnt vmcnt(0) lgkmcnt(0)
	v_max_f32_e32 v28, v30, v30
	v_max_f32_e32 v29, v31, v31
	;; [unrolled: 1-line block ×3, first 2 shown]
	flat_store_dword v[26:27], v28
	s_waitcnt vmcnt(0)
	s_branch .LBB68_28
.LBB68_46:                              ;   in Loop: Header=BB68_30 Depth=1
	v_mov_b32_e32 v29, s17
	v_add_u32_e32 v32, 0x80, v28
	v_mov_b32_e32 v33, s17
	flat_load_dword v27, v[28:29] glc
	s_waitcnt vmcnt(0)
	flat_load_dword v34, v[32:33] glc
	s_waitcnt vmcnt(0) lgkmcnt(0)
	v_max_f32_e32 v27, v27, v27
	v_max_f32_e32 v32, v34, v34
	;; [unrolled: 1-line block ×3, first 2 shown]
	flat_store_dword v[28:29], v27
	s_waitcnt vmcnt(0)
	s_or_b64 exec, exec, s[30:31]
	v_cmp_lt_i64_e32 vcc, v[16:17], v[30:31]
	s_and_saveexec_b64 s[30:31], vcc
	s_cbranch_execz .LBB68_36
.LBB68_47:                              ;   in Loop: Header=BB68_30 Depth=1
	v_mov_b32_e32 v29, s17
	v_add_u32_e32 v32, 64, v28
	v_mov_b32_e32 v33, s17
	flat_load_dword v27, v[28:29] glc
	s_waitcnt vmcnt(0)
	flat_load_dword v34, v[32:33] glc
	s_waitcnt vmcnt(0) lgkmcnt(0)
	v_max_f32_e32 v27, v27, v27
	v_max_f32_e32 v32, v34, v34
	;; [unrolled: 1-line block ×3, first 2 shown]
	flat_store_dword v[28:29], v27
	s_waitcnt vmcnt(0)
	s_or_b64 exec, exec, s[30:31]
	v_cmp_lt_i64_e32 vcc, v[18:19], v[30:31]
	s_and_saveexec_b64 s[30:31], vcc
	s_cbranch_execnz .LBB68_37
	s_branch .LBB68_38
.LBB68_48:
	s_load_dwordx2 s[8:9], s[4:5], 0x40
	v_cmp_eq_u32_e32 vcc, 0, v4
	v_cmp_lt_i64_e64 s[2:3], v[6:7], v[8:9]
	s_and_b64 s[2:3], vcc, s[2:3]
	s_waitcnt lgkmcnt(0)
	s_barrier
	s_and_saveexec_b64 s[16:17], s[2:3]
	s_cbranch_execz .LBB68_55
; %bb.49:
	s_load_dwordx2 s[2:3], s[4:5], 0x20
	ds_read_b32 v1, v1
	s_waitcnt lgkmcnt(0)
	s_cmp_eq_u64 s[2:3], 0
	s_cbranch_scc1 .LBB68_51
; %bb.50:
	s_load_dword s2, s[2:3], 0x0
	v_max_f32_e32 v1, v1, v1
	s_waitcnt lgkmcnt(0)
	v_max_f32_e64 v4, s2, s2
	v_min_f32_e32 v1, v1, v4
.LBB68_51:
	s_add_u32 s3, s8, s49
	s_addc_u32 s4, s9, 0
	s_add_u32 s22, s3, -1
	s_addc_u32 s23, s4, -1
	s_or_b64 s[4:5], s[22:23], s[8:9]
	s_mov_b32 s2, 0
	s_mov_b32 s3, s5
	s_cmp_lg_u64 s[2:3], 0
	s_mov_b64 s[24:25], -1
	s_cbranch_scc0 .LBB68_68
; %bb.52:
	s_ashr_i32 s2, s9, 31
	s_add_u32 s4, s8, s2
	s_mov_b32 s3, s2
	s_addc_u32 s5, s9, s2
	s_xor_b64 s[26:27], s[4:5], s[2:3]
	v_cvt_f32_u32_e32 v4, s26
	v_cvt_f32_u32_e32 v5, s27
	s_sub_u32 s2, 0, s26
	s_subb_u32 s3, 0, s27
	v_madmk_f32 v4, v5, 0x4f800000, v4
	v_rcp_f32_e32 v4, v4
	v_mul_f32_e32 v4, 0x5f7ffffc, v4
	v_mul_f32_e32 v5, 0x2f800000, v4
	v_trunc_f32_e32 v5, v5
	v_madmk_f32 v4, v5, 0xcf800000, v4
	v_cvt_u32_f32_e32 v5, v5
	v_cvt_u32_f32_e32 v4, v4
	v_readfirstlane_b32 s4, v5
	v_readfirstlane_b32 s5, v4
	s_mul_i32 s11, s2, s4
	s_mul_hi_u32 s29, s2, s5
	s_mul_i32 s28, s3, s5
	s_add_i32 s11, s29, s11
	s_add_i32 s11, s11, s28
	s_mul_i32 s30, s2, s5
	s_mul_hi_u32 s28, s5, s11
	s_mul_i32 s29, s5, s11
	s_mul_hi_u32 s5, s5, s30
	s_add_u32 s5, s5, s29
	s_addc_u32 s28, 0, s28
	s_mul_hi_u32 s31, s4, s30
	s_mul_i32 s30, s4, s30
	s_add_u32 s5, s5, s30
	s_mul_hi_u32 s29, s4, s11
	s_addc_u32 s5, s28, s31
	s_addc_u32 s28, s29, 0
	s_mul_i32 s11, s4, s11
	s_add_u32 s5, s5, s11
	s_addc_u32 s11, 0, s28
	v_add_co_u32_e32 v4, vcc, s5, v4
	s_cmp_lg_u64 vcc, 0
	s_addc_u32 s4, s4, s11
	v_readfirstlane_b32 s11, v4
	s_mul_i32 s5, s2, s4
	s_mul_hi_u32 s28, s2, s11
	s_add_i32 s5, s28, s5
	s_mul_i32 s3, s3, s11
	s_add_i32 s5, s5, s3
	s_mul_i32 s2, s2, s11
	s_mul_hi_u32 s28, s4, s2
	s_mul_i32 s29, s4, s2
	s_mul_i32 s31, s11, s5
	s_mul_hi_u32 s2, s11, s2
	s_mul_hi_u32 s30, s11, s5
	s_add_u32 s2, s2, s31
	s_addc_u32 s11, 0, s30
	s_add_u32 s2, s2, s29
	s_mul_hi_u32 s3, s4, s5
	s_addc_u32 s2, s11, s28
	s_addc_u32 s3, s3, 0
	s_mul_i32 s5, s4, s5
	s_add_u32 s2, s2, s5
	s_addc_u32 s3, 0, s3
	v_add_co_u32_e32 v4, vcc, s2, v4
	s_cmp_lg_u64 vcc, 0
	s_addc_u32 s4, s4, s3
	s_ashr_i32 s28, s23, 31
	s_add_u32 s2, s22, s28
	s_mov_b32 s29, s28
	s_addc_u32 s3, s23, s28
	s_xor_b64 s[30:31], s[2:3], s[28:29]
	v_readfirstlane_b32 s5, v4
	s_mul_i32 s3, s30, s4
	s_mul_hi_u32 s11, s30, s5
	s_mul_hi_u32 s2, s30, s4
	s_add_u32 s3, s11, s3
	s_addc_u32 s2, 0, s2
	s_mul_hi_u32 s29, s31, s5
	s_mul_i32 s5, s31, s5
	s_add_u32 s3, s3, s5
	s_mul_hi_u32 s11, s31, s4
	s_addc_u32 s2, s2, s29
	s_addc_u32 s3, s11, 0
	s_mul_i32 s4, s31, s4
	s_add_u32 s2, s2, s4
	s_addc_u32 s3, 0, s3
	s_mul_i32 s3, s26, s3
	s_mul_hi_u32 s4, s26, s2
	s_add_i32 s3, s4, s3
	s_mul_i32 s4, s27, s2
	s_mul_i32 s2, s26, s2
	s_add_i32 s11, s3, s4
	v_mov_b32_e32 v4, s2
	s_sub_i32 s3, s31, s11
	v_sub_co_u32_e32 v4, vcc, s30, v4
	s_cmp_lg_u64 vcc, 0
	s_subb_u32 s29, s3, s27
	v_subrev_co_u32_e64 v5, s[2:3], s26, v4
	s_cmp_lg_u64 s[2:3], 0
	s_subb_u32 s30, s29, 0
	s_cmp_ge_u32 s30, s27
	s_cselect_b32 s34, -1, 0
	v_cmp_le_u32_e64 s[4:5], s26, v5
	s_cmp_eq_u32 s30, s27
	v_cndmask_b32_e64 v6, 0, -1, s[4:5]
	v_mov_b32_e32 v7, s34
	s_cselect_b64 s[4:5], -1, 0
	s_cmp_lg_u64 s[2:3], 0
	v_cndmask_b32_e64 v6, v7, v6, s[4:5]
	s_subb_u32 s4, s29, s27
	v_subrev_co_u32_e64 v7, s[2:3], s26, v5
	s_cmp_lg_u64 s[2:3], 0
	s_subb_u32 s4, s4, 0
	v_cmp_ne_u32_e64 s[2:3], 0, v6
	v_cndmask_b32_e64 v5, v5, v7, s[2:3]
	v_mov_b32_e32 v6, s30
	v_mov_b32_e32 v7, s4
	s_cmp_lg_u64 vcc, 0
	v_cndmask_b32_e64 v6, v6, v7, s[2:3]
	s_subb_u32 s2, s31, s11
	s_cmp_ge_u32 s2, s27
	s_cselect_b32 s3, -1, 0
	v_cmp_le_u32_e32 vcc, s26, v4
	s_cmp_eq_u32 s2, s27
	v_cndmask_b32_e64 v7, 0, -1, vcc
	v_mov_b32_e32 v8, s3
	s_cselect_b64 vcc, -1, 0
	v_cndmask_b32_e32 v7, v8, v7, vcc
	v_cmp_ne_u32_e32 vcc, 0, v7
	v_mov_b32_e32 v8, s2
	v_cndmask_b32_e32 v4, v4, v5, vcc
	v_cndmask_b32_e32 v6, v8, v6, vcc
	v_xor_b32_e32 v4, s28, v4
	v_xor_b32_e32 v5, s28, v6
	v_mov_b32_e32 v6, s28
	v_subrev_co_u32_e32 v4, vcc, s28, v4
	v_subb_co_u32_e32 v5, vcc, v5, v6, vcc
	s_cbranch_execnz .LBB68_54
.LBB68_53:
	v_cvt_f32_u32_e32 v4, s8
	s_sub_i32 s2, 0, s8
	v_rcp_iflag_f32_e32 v4, v4
	v_mul_f32_e32 v4, 0x4f7ffffe, v4
	v_cvt_u32_f32_e32 v4, v4
	v_mul_lo_u32 v5, s2, v4
	v_mul_hi_u32 v5, v4, v5
	v_add_u32_e32 v4, v4, v5
	v_mul_hi_u32 v4, s22, v4
	v_mul_lo_u32 v4, v4, s8
	v_sub_u32_e32 v4, s22, v4
	v_subrev_u32_e32 v5, s8, v4
	v_cmp_le_u32_e32 vcc, s8, v4
	v_cndmask_b32_e32 v4, v4, v5, vcc
	v_subrev_u32_e32 v5, s8, v4
	v_cmp_le_u32_e32 vcc, s8, v4
	v_cndmask_b32_e32 v4, v4, v5, vcc
	v_mov_b32_e32 v5, 0
.LBB68_54:
	s_mov_b32 s4, 0x42fe0000
	v_div_scale_f32 v6, s[2:3], s4, s4, v1
	v_rcp_f32_e32 v7, v6
	v_div_scale_f32 v8, vcc, v1, s4, v1
	v_fma_f32 v9, -v6, v7, 1.0
	v_fmac_f32_e32 v7, v9, v7
	v_mul_f32_e32 v9, v8, v7
	v_fma_f32 v10, -v6, v9, v8
	v_fmac_f32_e32 v9, v10, v7
	v_fma_f32 v6, -v6, v9, v8
	v_div_fmas_f32 v6, v6, v7, v9
	v_div_fixup_f32 v1, v6, s4, v1
	v_mov_b32_e32 v6, s23
	v_sub_co_u32_e32 v4, vcc, s22, v4
	v_subb_co_u32_e32 v5, vcc, v6, v5, vcc
	v_mul_lo_u32 v5, v5, v2
	v_mul_lo_u32 v6, v4, v3
	v_mad_u64_u32 v[2:3], s[2:3], v4, v2, 0
	s_lshl_b64 s[2:3], s[6:7], 2
	v_add3_u32 v3, v3, v6, v5
	s_add_u32 s2, s2, s14
	v_lshlrev_b64 v[2:3], 2, v[2:3]
	s_addc_u32 s3, s3, s15
	v_mov_b32_e32 v4, s3
	v_add_co_u32_e32 v2, vcc, s2, v2
	v_max_f32_e32 v1, 0x34000000, v1
	v_addc_co_u32_e32 v3, vcc, v4, v3, vcc
	global_store_dword v[2:3], v1, off
.LBB68_55:
	s_or_b64 exec, exec, s[16:17]
	s_barrier
	s_and_saveexec_b64 s[2:3], s[0:1]
	s_cbranch_execz .LBB68_67
; %bb.56:
	s_add_u32 s1, s8, s49
	s_addc_u32 s2, s9, 0
	s_add_u32 s4, s1, -1
	s_addc_u32 s5, s2, -1
	s_or_b64 s[2:3], s[4:5], s[8:9]
	s_mov_b32 s0, 0
	s_mov_b32 s1, s3
	s_cmp_lg_u64 s[0:1], 0
	s_mov_b64 s[16:17], -1
	s_cbranch_scc0 .LBB68_69
; %bb.57:
	s_ashr_i32 s0, s9, 31
	s_add_u32 s2, s8, s0
	s_mov_b32 s1, s0
	s_addc_u32 s3, s9, s0
	s_xor_b64 s[22:23], s[2:3], s[0:1]
	v_cvt_f32_u32_e32 v1, s22
	v_cvt_f32_u32_e32 v2, s23
	s_sub_u32 s0, 0, s22
	s_subb_u32 s1, 0, s23
	v_madmk_f32 v1, v2, 0x4f800000, v1
	v_rcp_f32_e32 v1, v1
	v_mul_f32_e32 v1, 0x5f7ffffc, v1
	v_mul_f32_e32 v2, 0x2f800000, v1
	v_trunc_f32_e32 v2, v2
	v_madmk_f32 v1, v2, 0xcf800000, v1
	v_cvt_u32_f32_e32 v2, v2
	v_cvt_u32_f32_e32 v1, v1
	v_readfirstlane_b32 s2, v2
	v_readfirstlane_b32 s3, v1
	s_mul_i32 s9, s0, s2
	s_mul_hi_u32 s24, s0, s3
	s_mul_i32 s11, s1, s3
	s_add_i32 s9, s24, s9
	s_add_i32 s9, s9, s11
	s_mul_i32 s25, s0, s3
	s_mul_hi_u32 s11, s3, s9
	s_mul_i32 s24, s3, s9
	s_mul_hi_u32 s3, s3, s25
	s_add_u32 s3, s3, s24
	s_addc_u32 s11, 0, s11
	s_mul_hi_u32 s26, s2, s25
	s_mul_i32 s25, s2, s25
	s_add_u32 s3, s3, s25
	s_mul_hi_u32 s24, s2, s9
	s_addc_u32 s3, s11, s26
	s_addc_u32 s11, s24, 0
	s_mul_i32 s9, s2, s9
	s_add_u32 s3, s3, s9
	s_addc_u32 s9, 0, s11
	v_add_co_u32_e32 v1, vcc, s3, v1
	s_cmp_lg_u64 vcc, 0
	s_addc_u32 s2, s2, s9
	v_readfirstlane_b32 s9, v1
	s_mul_i32 s3, s0, s2
	s_mul_hi_u32 s11, s0, s9
	s_add_i32 s3, s11, s3
	s_mul_i32 s1, s1, s9
	s_add_i32 s3, s3, s1
	s_mul_i32 s0, s0, s9
	s_mul_hi_u32 s11, s2, s0
	s_mul_i32 s24, s2, s0
	s_mul_i32 s26, s9, s3
	s_mul_hi_u32 s0, s9, s0
	s_mul_hi_u32 s25, s9, s3
	s_add_u32 s0, s0, s26
	s_addc_u32 s9, 0, s25
	s_add_u32 s0, s0, s24
	s_mul_hi_u32 s1, s2, s3
	s_addc_u32 s0, s9, s11
	s_addc_u32 s1, s1, 0
	s_mul_i32 s3, s2, s3
	s_add_u32 s0, s0, s3
	s_addc_u32 s1, 0, s1
	v_add_co_u32_e32 v1, vcc, s0, v1
	s_cmp_lg_u64 vcc, 0
	s_addc_u32 s2, s2, s1
	s_ashr_i32 s24, s5, 31
	s_add_u32 s0, s4, s24
	s_mov_b32 s25, s24
	s_addc_u32 s1, s5, s24
	s_xor_b64 s[26:27], s[0:1], s[24:25]
	v_readfirstlane_b32 s3, v1
	s_mul_i32 s1, s26, s2
	s_mul_hi_u32 s9, s26, s3
	s_mul_hi_u32 s0, s26, s2
	s_add_u32 s1, s9, s1
	s_addc_u32 s0, 0, s0
	s_mul_hi_u32 s11, s27, s3
	s_mul_i32 s3, s27, s3
	s_add_u32 s1, s1, s3
	s_mul_hi_u32 s9, s27, s2
	s_addc_u32 s0, s0, s11
	s_addc_u32 s1, s9, 0
	s_mul_i32 s2, s27, s2
	s_add_u32 s0, s0, s2
	s_addc_u32 s1, 0, s1
	s_mul_i32 s1, s22, s1
	s_mul_hi_u32 s2, s22, s0
	s_add_i32 s1, s2, s1
	s_mul_i32 s2, s23, s0
	s_mul_i32 s0, s22, s0
	s_add_i32 s9, s1, s2
	v_mov_b32_e32 v1, s0
	s_sub_i32 s1, s27, s9
	v_sub_co_u32_e32 v1, vcc, s26, v1
	s_cmp_lg_u64 vcc, 0
	s_subb_u32 s11, s1, s23
	v_subrev_co_u32_e64 v2, s[0:1], s22, v1
	s_cmp_lg_u64 s[0:1], 0
	s_subb_u32 s25, s11, 0
	s_cmp_ge_u32 s25, s23
	s_cselect_b32 s26, -1, 0
	v_cmp_le_u32_e64 s[2:3], s22, v2
	s_cmp_eq_u32 s25, s23
	v_cndmask_b32_e64 v3, 0, -1, s[2:3]
	v_mov_b32_e32 v4, s26
	s_cselect_b64 s[2:3], -1, 0
	s_cmp_lg_u64 s[0:1], 0
	v_cndmask_b32_e64 v3, v4, v3, s[2:3]
	s_subb_u32 s2, s11, s23
	v_subrev_co_u32_e64 v4, s[0:1], s22, v2
	s_cmp_lg_u64 s[0:1], 0
	s_subb_u32 s2, s2, 0
	v_cmp_ne_u32_e64 s[0:1], 0, v3
	v_cndmask_b32_e64 v2, v2, v4, s[0:1]
	v_mov_b32_e32 v3, s25
	v_mov_b32_e32 v4, s2
	s_cmp_lg_u64 vcc, 0
	v_cndmask_b32_e64 v3, v3, v4, s[0:1]
	s_subb_u32 s0, s27, s9
	s_cmp_ge_u32 s0, s23
	s_cselect_b32 s1, -1, 0
	v_cmp_le_u32_e32 vcc, s22, v1
	s_cmp_eq_u32 s0, s23
	v_cndmask_b32_e64 v4, 0, -1, vcc
	v_mov_b32_e32 v5, s1
	s_cselect_b64 vcc, -1, 0
	v_cndmask_b32_e32 v4, v5, v4, vcc
	v_cmp_ne_u32_e32 vcc, 0, v4
	v_mov_b32_e32 v5, s0
	v_cndmask_b32_e32 v1, v1, v2, vcc
	v_cndmask_b32_e32 v3, v5, v3, vcc
	v_xor_b32_e32 v1, s24, v1
	v_xor_b32_e32 v3, s24, v3
	v_mov_b32_e32 v4, s24
	v_subrev_co_u32_e32 v2, vcc, s24, v1
	v_subb_co_u32_e32 v3, vcc, v3, v4, vcc
	s_cbranch_execnz .LBB68_59
.LBB68_58:
	v_cvt_f32_u32_e32 v1, s8
	s_sub_i32 s0, 0, s8
	v_mov_b32_e32 v3, 0
	v_rcp_iflag_f32_e32 v1, v1
	v_mul_f32_e32 v1, 0x4f7ffffe, v1
	v_cvt_u32_f32_e32 v1, v1
	v_mul_lo_u32 v2, s0, v1
	v_mul_hi_u32 v2, v1, v2
	v_add_u32_e32 v1, v1, v2
	v_mul_hi_u32 v1, s4, v1
	v_mul_lo_u32 v1, v1, s8
	v_sub_u32_e32 v1, s4, v1
	v_subrev_u32_e32 v2, s8, v1
	v_cmp_le_u32_e32 vcc, s8, v1
	v_cndmask_b32_e32 v1, v1, v2, vcc
	v_subrev_u32_e32 v2, s8, v1
	v_cmp_le_u32_e32 vcc, s8, v1
	v_cndmask_b32_e32 v2, v1, v2, vcc
.LBB68_59:
	s_add_u32 s11, s12, s20
	s_addc_u32 s16, s13, s21
	s_lshl_b64 s[0:1], s[6:7], 2
	s_add_u32 s14, s14, s0
	s_addc_u32 s15, s15, s1
	v_mov_b32_e32 v1, s5
	v_sub_co_u32_e32 v8, vcc, s4, v2
	v_subb_co_u32_e32 v9, vcc, v1, v3, vcc
	s_mul_i32 s17, s44, 3
	s_lshl_b32 s20, s44, 1
	s_mov_b64 s[2:3], 0
	v_mov_b32_e32 v10, s46
	v_mov_b32_e32 v11, s19
	;; [unrolled: 1-line block ×3, first 2 shown]
	s_movk_i32 s21, 0x7fff
	v_mov_b32_e32 v13, 0x7fc00000
	v_mov_b32_e32 v14, 0x7fc0
	;; [unrolled: 1-line block ×3, first 2 shown]
	s_mov_b32 s22, 0x42fe0000
	v_mov_b32_e32 v16, 0x42fe0000
	s_mov_b32 s23, 0xc3000000
	v_mov_b32_e32 v17, 0xc3000000
	v_mov_b32_e32 v18, s16
	;; [unrolled: 1-line block ×4, first 2 shown]
                                        ; implicit-def: $sgpr4_sgpr5
	s_branch .LBB68_63
.LBB68_60:                              ;   in Loop: Header=BB68_63 Depth=1
	s_or_b64 exec, exec, s[12:13]
	s_orn2_b64 s[0:1], s[0:1], exec
.LBB68_61:                              ;   in Loop: Header=BB68_63 Depth=1
	s_or_b64 exec, exec, s[8:9]
	s_andn2_b64 s[4:5], s[4:5], exec
	s_and_b64 s[0:1], s[0:1], exec
	s_or_b64 s[4:5], s[4:5], s[0:1]
.LBB68_62:                              ;   in Loop: Header=BB68_63 Depth=1
	s_or_b64 exec, exec, s[6:7]
	s_and_b64 s[0:1], exec, s[4:5]
	s_or_b64 s[2:3], s[0:1], s[2:3]
	s_andn2_b64 exec, exec, s[2:3]
	s_cbranch_execz .LBB68_67
.LBB68_63:                              ; =>This Inner Loop Header: Depth=1
	v_lshlrev_b64 v[2:3], 3, v[0:1]
	v_add_co_u32_e32 v4, vcc, s33, v2
	v_addc_co_u32_e32 v5, vcc, v10, v3, vcc
	v_bfe_u32 v25, v0, 5, 25
	global_load_dwordx2 v[6:7], v[4:5], off
	v_add_co_u32_e32 v4, vcc, s47, v2
	v_mad_u64_u32 v[22:23], s[0:1], v8, v25, 0
	v_addc_co_u32_e32 v5, vcc, v12, v3, vcc
	v_mov_b32_e32 v24, v23
	global_load_dwordx2 v[20:21], v[4:5], off
	v_mad_u64_u32 v[24:25], s[0:1], v9, v25, v[24:25]
	v_add_co_u32_e32 v2, vcc, s18, v2
	v_mov_b32_e32 v23, v24
	v_addc_co_u32_e32 v3, vcc, v11, v3, vcc
	v_lshlrev_b64 v[22:23], 2, v[22:23]
	v_add_co_u32_e32 v22, vcc, s14, v22
	v_addc_co_u32_e32 v23, vcc, v15, v23, vcc
	global_load_dword v22, v[22:23], off
	s_or_b64 s[4:5], s[4:5], exec
	global_load_dwordx2 v[2:3], v[2:3], off
	s_waitcnt vmcnt(3)
	v_and_b32_e32 v23, 0xffff0000, v6
	v_lshlrev_b32_e32 v24, 16, v6
	v_alignbit_b32 v6, v7, v6, 16
	v_and_b32_e32 v7, 0xffff0000, v7
	v_and_b32_e32 v6, 0xffff0000, v6
	s_waitcnt vmcnt(2)
	v_and_b32_e32 v25, 0xffff0000, v20
	v_lshlrev_b32_e32 v26, 16, v20
	v_alignbit_b32 v20, v21, v20, 16
	v_and_b32_e32 v21, 0xffff0000, v21
	v_add_f32_e32 v21, v7, v21
	v_add_f32_e32 v23, v23, v25
	v_and_b32_e32 v20, 0xffff0000, v20
	v_bfe_u32 v25, v21, 16, 1
	v_add_f32_e32 v24, v24, v26
	v_add_f32_e32 v20, v6, v20
	v_bfe_u32 v7, v23, 16, 1
	v_add3_u32 v25, v21, v25, s21
	v_bfe_u32 v6, v24, 16, 1
	v_mul_f32_e32 v26, v37, v24
	v_add3_u32 v7, v23, v7, s21
	v_bfe_u32 v29, v20, 16, 1
	v_and_b32_e32 v25, 0xffff0000, v25
	v_cmp_o_f32_e32 vcc, v21, v21
	v_mul_f32_e32 v28, v37, v23
	v_add3_u32 v6, v24, v6, s21
	v_bfe_u32 v30, v26, 16, 1
	v_and_b32_e32 v7, 0xffff0000, v7
	v_add3_u32 v29, v20, v29, s21
	v_cndmask_b32_e32 v25, v13, v25, vcc
	v_cmp_o_f32_e32 vcc, v23, v23
	s_waitcnt vmcnt(1)
	v_div_scale_f32 v23, s[0:1], v22, v22, 1.0
	v_lshrrev_b32_e32 v6, 16, v6
	v_add3_u32 v30, v26, v30, s21
	v_lshrrev_b32_e32 v29, 16, v29
	v_cndmask_b32_e32 v7, v13, v7, vcc
	v_cmp_o_f32_e32 vcc, v24, v24
	v_cmp_o_f32_e64 s[0:1], v20, v20
	v_cndmask_b32_e32 v6, v14, v6, vcc
	v_and_b32_e32 v30, 0xffff0000, v30
	v_cndmask_b32_e64 v29, v14, v29, s[0:1]
	v_rcp_f32_e32 v32, v23
	v_cmp_o_f32_e64 s[0:1], v26, v26
	s_waitcnt vmcnt(0)
	v_lshlrev_b32_e32 v27, 16, v2
	v_or_b32_e32 v6, v6, v7
	v_cndmask_b32_e64 v26, v13, v30, s[0:1]
	v_or3_b32 v7, 0, v29, v25
	v_or3_b32 v6, v6, 0, 0
	v_mul_f32_e32 v25, v26, v27
	global_store_dwordx2 v[4:5], v[6:7], off
	v_bfe_u32 v4, v25, 16, 1
	v_add3_u32 v4, v25, v4, s21
	v_fma_f32 v5, -v23, v32, 1.0
	v_div_scale_f32 v24, vcc, 1.0, v22, 1.0
	v_and_b32_e32 v4, 0xffff0000, v4
	v_fmac_f32_e32 v32, v5, v32
	v_cmp_o_f32_e64 s[0:1], v25, v25
	v_cndmask_b32_e64 v5, v13, v4, s[0:1]
	v_mul_f32_e32 v4, v24, v32
	v_fma_f32 v6, -v23, v4, v24
	v_fmac_f32_e32 v4, v6, v32
	v_fma_f32 v6, -v23, v4, v24
	v_div_fmas_f32 v4, v6, v32, v4
	v_div_fixup_f32 v4, v4, v22, 1.0
	v_mul_f32_e32 v5, v4, v5
	v_rndne_f32_e32 v5, v5
	v_cmp_nlt_f32_e32 vcc, s22, v5
	v_cndmask_b32_e32 v6, v16, v5, vcc
	v_cmp_ngt_f32_e32 vcc, s23, v5
	v_cndmask_b32_e32 v5, v17, v6, vcc
	v_mul_f32_e32 v6, v37, v20
	v_bfe_u32 v7, v6, 16, 1
	v_add3_u32 v7, v6, v7, s21
	v_and_b32_e32 v7, 0xffff0000, v7
	v_cmp_o_f32_e32 vcc, v6, v6
	v_cndmask_b32_e32 v6, v13, v7, vcc
	v_alignbit_b32 v7, v3, v2, 16
	v_and_b32_e32 v7, 0xffff0000, v7
	v_mul_f32_e32 v6, v6, v7
	v_bfe_u32 v7, v6, 16, 1
	v_add3_u32 v7, v6, v7, s21
	v_and_b32_e32 v7, 0xffff0000, v7
	v_cmp_o_f32_e32 vcc, v6, v6
	v_cndmask_b32_e32 v6, v13, v7, vcc
	v_mul_f32_e32 v6, v4, v6
	v_rndne_f32_e32 v6, v6
	v_cmp_nlt_f32_e32 vcc, s22, v6
	v_cndmask_b32_e32 v7, v16, v6, vcc
	v_cmp_ngt_f32_e32 vcc, s23, v6
	v_cndmask_b32_e32 v6, v17, v7, vcc
	v_mul_f32_e32 v20, v37, v21
	v_cvt_i32_f32_e32 v24, v6
	v_bfe_u32 v6, v20, 16, 1
	v_add3_u32 v6, v20, v6, s21
	v_and_b32_e32 v22, 0xffff0000, v6
	v_lshlrev_b64 v[6:7], 2, v[0:1]
	v_bfe_u32 v31, v28, 16, 1
	v_add_co_u32_e32 v6, vcc, s11, v6
	v_add3_u32 v31, v28, v31, s21
	v_addc_co_u32_e32 v7, vcc, v18, v7, vcc
	v_and_b32_e32 v31, 0xffff0000, v31
	v_cmp_o_f32_e32 vcc, v28, v28
	v_cndmask_b32_e32 v21, v13, v31, vcc
	v_cmp_o_f32_e32 vcc, v20, v20
	v_cndmask_b32_e32 v20, v13, v22, vcc
	v_and_b32_e32 v23, 0xffff0000, v2
	v_and_b32_e32 v22, 0xffff0000, v3
	v_pk_mul_f32 v[2:3], v[20:21], v[22:23]
	v_bfe_u32 v21, v3, 16, 1
	v_cvt_i32_f32_e32 v5, v5
	v_bfe_u32 v20, v2, 16, 1
	v_add3_u32 v21, v3, v21, s21
	v_add3_u32 v20, v2, v20, s21
	v_and_b32_e32 v21, 0xffff0000, v21
	v_cmp_o_f32_e32 vcc, v3, v3
	v_and_b32_e32 v20, 0xffff0000, v20
	v_cndmask_b32_e32 v3, v13, v21, vcc
	v_cmp_o_f32_e32 vcc, v2, v2
	v_cndmask_b32_e32 v2, v13, v20, vcc
	v_pk_mul_f32 v[2:3], v[4:5], v[2:3] op_sel_hi:[0,1]
	v_rndne_f32_e32 v2, v2
	v_rndne_f32_e32 v3, v3
	v_cmp_nlt_f32_e32 vcc, s22, v2
	v_cndmask_b32_e32 v4, v16, v2, vcc
	v_cmp_nlt_f32_e32 vcc, s22, v3
	v_cndmask_b32_e32 v20, v16, v3, vcc
	v_cmp_ngt_f32_e32 vcc, s23, v3
	v_cndmask_b32_e32 v3, v17, v20, vcc
	v_cmp_ngt_f32_e32 vcc, s23, v2
	v_cndmask_b32_e32 v2, v17, v4, vcc
	v_cvt_i32_f32_e32 v3, v3
	v_cvt_i32_f32_e32 v2, v2
	v_and_b32_e32 v4, 0xff, v24
	v_lshlrev_b32_e32 v4, 16, v4
	v_lshlrev_b32_sdwa v3, v19, v3 dst_sel:DWORD dst_unused:UNUSED_PAD src0_sel:DWORD src1_sel:BYTE_0
	v_lshl_or_b32 v2, v2, 24, v4
	v_and_b32_e32 v4, 0xff, v5
	v_or3_b32 v2, v2, v3, v4
	global_store_dword v[6:7], v2, off
	v_add_u32_e32 v2, s44, v0
	v_cmp_gt_u32_e32 vcc, s10, v2
	s_and_saveexec_b64 s[6:7], vcc
	s_cbranch_execz .LBB68_62
; %bb.64:                               ;   in Loop: Header=BB68_63 Depth=1
	v_mov_b32_e32 v3, v1
	v_lshlrev_b64 v[4:5], 3, v[2:3]
	v_mov_b32_e32 v7, s46
	v_add_co_u32_e32 v6, vcc, s33, v4
	v_addc_co_u32_e32 v7, vcc, v7, v5, vcc
	v_mov_b32_e32 v21, s48
	v_add_co_u32_e32 v20, vcc, s47, v4
	v_addc_co_u32_e32 v21, vcc, v21, v5, vcc
	v_mov_b32_e32 v24, s19
	v_add_co_u32_e32 v4, vcc, s18, v4
	v_bfe_u32 v27, v2, 5, 25
	v_addc_co_u32_e32 v5, vcc, v24, v5, vcc
	v_mad_u64_u32 v[24:25], s[0:1], v8, v27, 0
	v_mov_b32_e32 v26, v25
	v_mad_u64_u32 v[26:27], s[0:1], v9, v27, v[26:27]
	v_mov_b32_e32 v25, v26
	global_load_dwordx2 v[6:7], v[6:7], off
	v_lshlrev_b64 v[24:25], 2, v[24:25]
	global_load_dwordx2 v[22:23], v[20:21], off
	v_mov_b32_e32 v26, s15
	v_add_co_u32_e32 v24, vcc, s14, v24
	v_addc_co_u32_e32 v25, vcc, v26, v25, vcc
	global_load_dword v24, v[24:25], off
	s_waitcnt vmcnt(2)
	v_and_b32_e32 v25, 0xffff0000, v6
	global_load_dwordx2 v[4:5], v[4:5], off
	v_lshlrev_b32_e32 v26, 16, v6
	v_alignbit_b32 v6, v7, v6, 16
	v_and_b32_e32 v7, 0xffff0000, v7
	s_waitcnt vmcnt(2)
	v_and_b32_e32 v27, 0xffff0000, v22
	v_lshlrev_b32_e32 v28, 16, v22
	v_alignbit_b32 v22, v23, v22, 16
	v_and_b32_e32 v23, 0xffff0000, v23
	v_add_f32_e32 v23, v7, v23
	v_add_f32_e32 v25, v25, v27
	v_bfe_u32 v27, v23, 16, 1
	v_and_b32_e32 v6, 0xffff0000, v6
	v_add_f32_e32 v26, v26, v28
	v_and_b32_e32 v22, 0xffff0000, v22
	v_bfe_u32 v7, v25, 16, 1
	v_add3_u32 v27, v23, v27, s21
	s_waitcnt vmcnt(1)
	v_div_scale_f32 v32, s[0:1], v24, v24, 1.0
	v_add_f32_e32 v22, v6, v22
	v_bfe_u32 v6, v26, 16, 1
	v_add3_u32 v7, v25, v7, s21
	v_and_b32_e32 v27, 0xffff0000, v27
	v_cmp_o_f32_e64 s[0:1], v23, v23
	v_mul_f32_e32 v28, v37, v26
	v_add3_u32 v6, v26, v6, s21
	v_bfe_u32 v30, v22, 16, 1
	v_and_b32_e32 v7, 0xffff0000, v7
	v_cndmask_b32_e64 v27, v13, v27, s[0:1]
	v_cmp_o_f32_e64 s[0:1], v25, v25
	v_bfe_u32 v31, v28, 16, 1
	v_lshrrev_b32_e32 v6, 16, v6
	v_add3_u32 v30, v22, v30, s21
	v_cndmask_b32_e64 v7, v13, v7, s[0:1]
	v_cmp_o_f32_e64 s[0:1], v26, v26
	v_add3_u32 v31, v28, v31, s21
	v_lshrrev_b32_e32 v30, 16, v30
	v_cndmask_b32_e64 v6, v14, v6, s[0:1]
	v_rcp_f32_e32 v26, v32
	v_cmp_o_f32_e64 s[0:1], v22, v22
	v_and_b32_e32 v31, 0xffff0000, v31
	v_cndmask_b32_e64 v30, v14, v30, s[0:1]
	v_cmp_o_f32_e64 s[0:1], v28, v28
	v_or_b32_e32 v6, v6, v7
	v_cndmask_b32_e64 v28, v13, v31, s[0:1]
	v_or3_b32 v7, 0, v30, v27
	v_or3_b32 v6, v6, 0, 0
	global_store_dwordx2 v[20:21], v[6:7], off
	v_fma_f32 v7, -v32, v26, 1.0
	v_div_scale_f32 v33, vcc, 1.0, v24, 1.0
	v_fmac_f32_e32 v26, v7, v26
	v_mul_f32_e32 v7, v33, v26
	s_waitcnt vmcnt(1)
	v_lshlrev_b32_e32 v29, 16, v4
	v_mul_f32_e32 v27, v28, v29
	v_bfe_u32 v6, v27, 16, 1
	v_add3_u32 v6, v27, v6, s21
	v_and_b32_e32 v6, 0xffff0000, v6
	v_cmp_o_f32_e64 s[0:1], v27, v27
	v_cndmask_b32_e64 v20, v13, v6, s[0:1]
	v_fma_f32 v6, -v32, v7, v33
	v_fmac_f32_e32 v7, v6, v26
	v_fma_f32 v6, -v32, v7, v33
	v_div_fmas_f32 v6, v6, v26, v7
	v_div_fixup_f32 v6, v6, v24, 1.0
	v_mul_f32_e32 v7, v6, v20
	v_rndne_f32_e32 v7, v7
	v_cmp_nlt_f32_e32 vcc, s22, v7
	v_cndmask_b32_e32 v20, v16, v7, vcc
	v_cmp_ngt_f32_e32 vcc, s23, v7
	v_mul_f32_e32 v24, v37, v25
	v_cndmask_b32_e32 v7, v17, v20, vcc
	v_bfe_u32 v20, v24, 16, 1
	v_add3_u32 v20, v24, v20, s21
	v_and_b32_e32 v25, 0xffff0000, v20
	v_mul_f32_e32 v20, v37, v22
	v_bfe_u32 v21, v20, 16, 1
	v_add3_u32 v21, v20, v21, s21
	v_and_b32_e32 v21, 0xffff0000, v21
	v_cmp_o_f32_e32 vcc, v20, v20
	v_cndmask_b32_e32 v20, v13, v21, vcc
	v_alignbit_b32 v21, v5, v4, 16
	v_and_b32_e32 v21, 0xffff0000, v21
	v_mul_f32_e32 v20, v20, v21
	v_bfe_u32 v21, v20, 16, 1
	v_add3_u32 v21, v20, v21, s21
	v_and_b32_e32 v21, 0xffff0000, v21
	v_cmp_o_f32_e32 vcc, v20, v20
	v_cndmask_b32_e32 v20, v13, v21, vcc
	v_mul_f32_e32 v20, v6, v20
	v_rndne_f32_e32 v20, v20
	v_cmp_nlt_f32_e32 vcc, s22, v20
	v_cndmask_b32_e32 v21, v16, v20, vcc
	v_cmp_ngt_f32_e32 vcc, s23, v20
	v_cndmask_b32_e32 v20, v17, v21, vcc
	v_mul_f32_e32 v22, v37, v23
	v_cvt_i32_f32_e32 v26, v20
	v_bfe_u32 v20, v22, 16, 1
	v_add3_u32 v20, v22, v20, s21
	v_and_b32_e32 v27, 0xffff0000, v20
	v_lshlrev_b64 v[20:21], 2, v[2:3]
	v_mov_b32_e32 v3, s16
	v_add_co_u32_e32 v20, vcc, s11, v20
	v_addc_co_u32_e32 v21, vcc, v3, v21, vcc
	v_cmp_o_f32_e32 vcc, v24, v24
	v_cndmask_b32_e32 v23, v13, v25, vcc
	v_cmp_o_f32_e32 vcc, v22, v22
	v_cndmask_b32_e32 v22, v13, v27, vcc
	v_and_b32_e32 v25, 0xffff0000, v4
	v_and_b32_e32 v24, 0xffff0000, v5
	v_pk_mul_f32 v[4:5], v[22:23], v[24:25]
	v_bfe_u32 v22, v5, 16, 1
	v_cvt_i32_f32_e32 v7, v7
	v_bfe_u32 v3, v4, 16, 1
	v_add3_u32 v22, v5, v22, s21
	v_add3_u32 v3, v4, v3, s21
	v_and_b32_e32 v22, 0xffff0000, v22
	v_cmp_o_f32_e32 vcc, v5, v5
	v_and_b32_e32 v3, 0xffff0000, v3
	v_cndmask_b32_e32 v5, v13, v22, vcc
	v_cmp_o_f32_e32 vcc, v4, v4
	v_cndmask_b32_e32 v4, v13, v3, vcc
	v_pk_mul_f32 v[4:5], v[6:7], v[4:5] op_sel_hi:[0,1]
	v_rndne_f32_e32 v4, v4
	v_rndne_f32_e32 v3, v5
	v_cmp_nlt_f32_e32 vcc, s22, v4
	v_cndmask_b32_e32 v5, v16, v4, vcc
	v_cmp_nlt_f32_e32 vcc, s22, v3
	v_cndmask_b32_e32 v6, v16, v3, vcc
	v_cmp_ngt_f32_e32 vcc, s23, v3
	v_cndmask_b32_e32 v3, v17, v6, vcc
	v_cmp_ngt_f32_e32 vcc, s23, v4
	v_cndmask_b32_e32 v4, v17, v5, vcc
	v_cvt_i32_f32_e32 v3, v3
	v_cvt_i32_f32_e32 v4, v4
	v_and_b32_e32 v5, 0xff, v26
	v_lshlrev_b32_e32 v5, 16, v5
	v_lshlrev_b32_sdwa v3, v19, v3 dst_sel:DWORD dst_unused:UNUSED_PAD src0_sel:DWORD src1_sel:BYTE_0
	v_lshl_or_b32 v4, v4, 24, v5
	v_and_b32_e32 v5, 0xff, v7
	v_or3_b32 v3, v4, v3, v5
	v_add_u32_e32 v4, s20, v0
	v_cmp_gt_u32_e32 vcc, s10, v4
	s_mov_b64 s[0:1], -1
	global_store_dword v[20:21], v3, off
	s_and_saveexec_b64 s[8:9], vcc
	s_cbranch_execz .LBB68_61
; %bb.65:                               ;   in Loop: Header=BB68_63 Depth=1
	v_mov_b32_e32 v5, v1
	v_lshlrev_b64 v[6:7], 3, v[4:5]
	v_mov_b32_e32 v3, s46
	v_add_co_u32_e32 v20, vcc, s33, v6
	v_addc_co_u32_e32 v21, vcc, v3, v7, vcc
	v_mov_b32_e32 v23, s48
	v_add_co_u32_e32 v22, vcc, s47, v6
	v_addc_co_u32_e32 v23, vcc, v23, v7, vcc
	;; [unrolled: 3-line block ×3, first 2 shown]
	v_bfe_u32 v3, v4, 5, 25
	v_mad_u64_u32 v[26:27], s[0:1], v8, v3, 0
	v_mov_b32_e32 v28, v27
	v_mad_u64_u32 v[28:29], s[0:1], v9, v3, v[28:29]
	v_mov_b32_e32 v27, v28
	global_load_dwordx2 v[20:21], v[20:21], off
	v_lshlrev_b64 v[26:27], 2, v[26:27]
	global_load_dwordx2 v[24:25], v[22:23], off
	v_mov_b32_e32 v3, s15
	v_add_co_u32_e32 v26, vcc, s14, v26
	v_addc_co_u32_e32 v27, vcc, v3, v27, vcc
	global_load_dword v3, v[26:27], off
	v_lshlrev_b64 v[4:5], 2, v[4:5]
	global_load_dwordx2 v[6:7], v[6:7], off
	v_add_u32_e32 v0, s17, v0
	s_waitcnt vmcnt(3)
	v_and_b32_e32 v26, 0xffff0000, v20
	v_lshlrev_b32_e32 v27, 16, v20
	v_alignbit_b32 v20, v21, v20, 16
	v_and_b32_e32 v21, 0xffff0000, v21
	s_waitcnt vmcnt(2)
	v_and_b32_e32 v28, 0xffff0000, v24
	v_lshlrev_b32_e32 v29, 16, v24
	v_alignbit_b32 v24, v25, v24, 16
	v_and_b32_e32 v25, 0xffff0000, v25
	v_add_f32_e32 v25, v21, v25
	v_add_f32_e32 v26, v26, v28
	v_bfe_u32 v28, v25, 16, 1
	v_and_b32_e32 v20, 0xffff0000, v20
	v_add_f32_e32 v27, v27, v29
	v_and_b32_e32 v24, 0xffff0000, v24
	v_bfe_u32 v21, v26, 16, 1
	v_add3_u32 v28, v25, v28, s21
	s_waitcnt vmcnt(1)
	v_div_scale_f32 v33, s[0:1], v3, v3, 1.0
	v_add_f32_e32 v24, v20, v24
	v_bfe_u32 v20, v27, 16, 1
	v_add3_u32 v21, v26, v21, s21
	v_and_b32_e32 v28, 0xffff0000, v28
	v_cmp_o_f32_e64 s[0:1], v25, v25
	v_mul_f32_e32 v29, v37, v27
	v_add3_u32 v20, v27, v20, s21
	v_bfe_u32 v31, v24, 16, 1
	v_and_b32_e32 v21, 0xffff0000, v21
	v_cndmask_b32_e64 v28, v13, v28, s[0:1]
	v_cmp_o_f32_e64 s[0:1], v26, v26
	v_bfe_u32 v32, v29, 16, 1
	v_lshrrev_b32_e32 v20, 16, v20
	v_add3_u32 v31, v24, v31, s21
	v_cndmask_b32_e64 v21, v13, v21, s[0:1]
	v_cmp_o_f32_e64 s[0:1], v27, v27
	v_add3_u32 v32, v29, v32, s21
	v_lshrrev_b32_e32 v31, 16, v31
	v_cndmask_b32_e64 v20, v14, v20, s[0:1]
	v_rcp_f32_e32 v27, v33
	v_cmp_o_f32_e64 s[0:1], v24, v24
	v_and_b32_e32 v32, 0xffff0000, v32
	v_cndmask_b32_e64 v31, v14, v31, s[0:1]
	v_cmp_o_f32_e64 s[0:1], v29, v29
	s_waitcnt vmcnt(0)
	v_lshlrev_b32_e32 v30, 16, v6
	v_or_b32_e32 v20, v20, v21
	v_cndmask_b32_e64 v29, v13, v32, s[0:1]
	v_or3_b32 v21, 0, v31, v28
	v_or3_b32 v20, v20, 0, 0
	v_mul_f32_e32 v28, v29, v30
	global_store_dwordx2 v[22:23], v[20:21], off
	v_bfe_u32 v20, v28, 16, 1
	v_fma_f32 v21, -v33, v27, 1.0
	v_div_scale_f32 v34, vcc, 1.0, v3, 1.0
	v_add3_u32 v20, v28, v20, s21
	v_fmac_f32_e32 v27, v21, v27
	v_and_b32_e32 v20, 0xffff0000, v20
	v_mul_f32_e32 v21, v34, v27
	v_cmp_o_f32_e64 s[0:1], v28, v28
	v_cndmask_b32_e64 v22, v13, v20, s[0:1]
	v_fma_f32 v20, -v33, v21, v34
	v_fmac_f32_e32 v21, v20, v27
	v_fma_f32 v20, -v33, v21, v34
	v_div_fmas_f32 v20, v20, v27, v21
	v_div_fixup_f32 v20, v20, v3, 1.0
	v_mul_f32_e32 v3, v20, v22
	v_rndne_f32_e32 v3, v3
	v_mul_f32_e32 v23, v37, v24
	v_cmp_nlt_f32_e32 vcc, s22, v3
	v_bfe_u32 v24, v23, 16, 1
	v_cndmask_b32_e32 v21, v16, v3, vcc
	v_cmp_ngt_f32_e32 vcc, s23, v3
	v_add3_u32 v24, v23, v24, s21
	v_cndmask_b32_e32 v3, v17, v21, vcc
	v_and_b32_e32 v24, 0xffff0000, v24
	v_cmp_o_f32_e32 vcc, v23, v23
	v_cndmask_b32_e32 v23, v13, v24, vcc
	v_alignbit_b32 v24, v7, v6, 16
	v_and_b32_e32 v24, 0xffff0000, v24
	v_mul_f32_e32 v23, v23, v24
	v_bfe_u32 v24, v23, 16, 1
	v_add3_u32 v24, v23, v24, s21
	v_and_b32_e32 v24, 0xffff0000, v24
	v_cmp_o_f32_e32 vcc, v23, v23
	v_cndmask_b32_e32 v23, v13, v24, vcc
	v_mul_f32_e32 v23, v20, v23
	v_rndne_f32_e32 v23, v23
	v_cmp_nlt_f32_e32 vcc, s22, v23
	v_cndmask_b32_e32 v24, v16, v23, vcc
	v_cmp_ngt_f32_e32 vcc, s23, v23
	v_cndmask_b32_e32 v23, v17, v24, vcc
	v_mul_f32_e32 v24, v37, v25
	v_mul_f32_e32 v21, v37, v26
	v_cvt_i32_f32_e32 v26, v23
	v_bfe_u32 v23, v24, 16, 1
	v_add3_u32 v23, v24, v23, s21
	v_bfe_u32 v22, v21, 16, 1
	v_and_b32_e32 v25, 0xffff0000, v23
	v_mov_b32_e32 v23, s16
	v_add_co_u32_e32 v4, vcc, s11, v4
	v_add3_u32 v22, v21, v22, s21
	v_addc_co_u32_e32 v5, vcc, v23, v5, vcc
	v_and_b32_e32 v22, 0xffff0000, v22
	v_cmp_o_f32_e32 vcc, v21, v21
	v_cndmask_b32_e32 v23, v13, v22, vcc
	v_cmp_o_f32_e32 vcc, v24, v24
	v_cndmask_b32_e32 v22, v13, v25, vcc
	v_and_b32_e32 v25, 0xffff0000, v6
	v_and_b32_e32 v24, 0xffff0000, v7
	v_pk_mul_f32 v[6:7], v[22:23], v[24:25]
	v_bfe_u32 v22, v7, 16, 1
	v_bfe_u32 v21, v6, 16, 1
	v_add3_u32 v22, v7, v22, s21
	v_add3_u32 v21, v6, v21, s21
	v_and_b32_e32 v22, 0xffff0000, v22
	v_cmp_o_f32_e32 vcc, v7, v7
	v_and_b32_e32 v21, 0xffff0000, v21
	v_cndmask_b32_e32 v7, v13, v22, vcc
	v_cmp_o_f32_e32 vcc, v6, v6
	v_cndmask_b32_e32 v6, v13, v21, vcc
	v_pk_mul_f32 v[6:7], v[20:21], v[6:7] op_sel_hi:[0,1]
	v_rndne_f32_e32 v6, v6
	v_rndne_f32_e32 v7, v7
	v_cmp_nlt_f32_e32 vcc, s22, v6
	v_cndmask_b32_e32 v20, v16, v6, vcc
	v_cmp_nlt_f32_e32 vcc, s22, v7
	v_cndmask_b32_e32 v21, v16, v7, vcc
	v_cmp_ngt_f32_e32 vcc, s23, v7
	v_cndmask_b32_e32 v7, v17, v21, vcc
	v_cmp_ngt_f32_e32 vcc, s23, v6
	v_cndmask_b32_e32 v6, v17, v20, vcc
	v_cvt_i32_f32_e32 v3, v3
	v_cvt_i32_f32_e32 v7, v7
	;; [unrolled: 1-line block ×3, first 2 shown]
	v_and_b32_e32 v20, 0xff, v26
	v_lshlrev_b32_e32 v20, 16, v20
	v_lshlrev_b32_sdwa v7, v19, v7 dst_sel:DWORD dst_unused:UNUSED_PAD src0_sel:DWORD src1_sel:BYTE_0
	v_lshl_or_b32 v6, v6, 24, v20
	v_and_b32_e32 v3, 0xff, v3
	v_or3_b32 v3, v6, v7, v3
	v_cmp_gt_u32_e32 vcc, s10, v0
	s_mov_b64 s[0:1], -1
	global_store_dword v[4:5], v3, off
	s_and_saveexec_b64 s[12:13], vcc
	s_cbranch_execz .LBB68_60
; %bb.66:                               ;   in Loop: Header=BB68_63 Depth=1
	v_lshlrev_b64 v[4:5], 3, v[0:1]
	v_mov_b32_e32 v3, s46
	v_add_co_u32_e32 v6, vcc, s33, v4
	v_addc_co_u32_e32 v7, vcc, v3, v5, vcc
	global_load_dwordx2 v[20:21], v[6:7], off
	v_mov_b32_e32 v7, s48
	v_add_co_u32_e32 v6, vcc, s47, v4
	v_addc_co_u32_e32 v7, vcc, v7, v5, vcc
	v_mov_b32_e32 v3, s19
	v_add_co_u32_e32 v4, vcc, s18, v4
	v_addc_co_u32_e32 v5, vcc, v3, v5, vcc
	v_bfe_u32 v3, v0, 5, 25
	v_mad_u64_u32 v[24:25], s[0:1], v8, v3, 0
	global_load_dwordx2 v[22:23], v[6:7], off
	v_mov_b32_e32 v26, v25
	v_mad_u64_u32 v[26:27], s[0:1], v9, v3, v[26:27]
	v_mov_b32_e32 v25, v26
	v_lshlrev_b64 v[24:25], 2, v[24:25]
	v_mov_b32_e32 v28, s15
	v_add_co_u32_e32 v24, vcc, s14, v24
	v_addc_co_u32_e32 v25, vcc, v28, v25, vcc
	global_load_dword v3, v[24:25], off
	s_waitcnt vmcnt(2)
	v_and_b32_e32 v24, 0xffff0000, v20
	global_load_dwordx2 v[4:5], v[4:5], off
	v_lshlrev_b32_e32 v25, 16, v20
	v_alignbit_b32 v20, v21, v20, 16
	v_and_b32_e32 v21, 0xffff0000, v21
	v_and_b32_e32 v20, 0xffff0000, v20
	s_waitcnt vmcnt(2)
	v_and_b32_e32 v26, 0xffff0000, v22
	v_lshlrev_b32_e32 v27, 16, v22
	v_alignbit_b32 v22, v23, v22, 16
	v_and_b32_e32 v23, 0xffff0000, v23
	v_add_f32_e32 v23, v21, v23
	v_add_f32_e32 v24, v24, v26
	v_bfe_u32 v26, v23, 16, 1
	v_and_b32_e32 v22, 0xffff0000, v22
	v_bfe_u32 v21, v24, 16, 1
	v_add3_u32 v26, v23, v26, s21
	v_add_f32_e32 v25, v25, v27
	v_add_f32_e32 v22, v20, v22
	v_add3_u32 v21, v24, v21, s21
	v_and_b32_e32 v26, 0xffff0000, v26
	v_cmp_o_f32_e32 vcc, v23, v23
	v_bfe_u32 v20, v25, 16, 1
	v_mul_f32_e32 v27, v37, v25
	v_bfe_u32 v29, v22, 16, 1
	v_and_b32_e32 v21, 0xffff0000, v21
	v_cndmask_b32_e32 v26, v13, v26, vcc
	v_cmp_o_f32_e32 vcc, v24, v24
	v_add3_u32 v20, v25, v20, s21
	v_bfe_u32 v30, v27, 16, 1
	v_add3_u32 v29, v22, v29, s21
	v_cndmask_b32_e32 v21, v13, v21, vcc
	v_cmp_o_f32_e32 vcc, v25, v25
	s_waitcnt vmcnt(1)
	v_div_scale_f32 v25, s[0:1], v3, v3, 1.0
	v_lshrrev_b32_e32 v20, 16, v20
	v_add3_u32 v30, v27, v30, s21
	v_lshrrev_b32_e32 v29, 16, v29
	v_cmp_o_f32_e64 s[0:1], v22, v22
	v_cndmask_b32_e32 v20, v14, v20, vcc
	v_and_b32_e32 v30, 0xffff0000, v30
	v_cndmask_b32_e64 v29, v14, v29, s[0:1]
	v_rcp_f32_e32 v32, v25
	v_cmp_o_f32_e64 s[0:1], v27, v27
	v_or_b32_e32 v20, v20, v21
	v_cndmask_b32_e64 v27, v13, v30, s[0:1]
	v_or3_b32 v21, 0, v29, v26
	v_or3_b32 v20, v20, 0, 0
	global_store_dwordx2 v[6:7], v[20:21], off
	v_fma_f32 v7, -v25, v32, 1.0
	v_div_scale_f32 v31, vcc, 1.0, v3, 1.0
	v_fmac_f32_e32 v32, v7, v32
	s_waitcnt vmcnt(1)
	v_lshlrev_b32_e32 v28, 16, v4
	v_mul_f32_e32 v26, v27, v28
	v_bfe_u32 v6, v26, 16, 1
	v_add3_u32 v6, v26, v6, s21
	v_and_b32_e32 v6, 0xffff0000, v6
	v_cmp_o_f32_e64 s[0:1], v26, v26
	v_cndmask_b32_e64 v7, v13, v6, s[0:1]
	v_mul_f32_e32 v6, v31, v32
	v_fma_f32 v20, -v25, v6, v31
	v_fmac_f32_e32 v6, v20, v32
	v_fma_f32 v20, -v25, v6, v31
	v_div_fmas_f32 v6, v20, v32, v6
	v_div_fixup_f32 v6, v6, v3, 1.0
	v_mul_f32_e32 v3, v6, v7
	v_rndne_f32_e32 v3, v3
	v_cmp_nlt_f32_e32 vcc, s22, v3
	v_cndmask_b32_e32 v7, v16, v3, vcc
	v_cmp_ngt_f32_e32 vcc, s23, v3
	v_cndmask_b32_e32 v3, v17, v7, vcc
	v_mul_f32_e32 v7, v37, v24
	v_bfe_u32 v20, v7, 16, 1
	v_add3_u32 v20, v7, v20, s21
	v_and_b32_e32 v24, 0xffff0000, v20
	v_mul_f32_e32 v20, v37, v22
	v_bfe_u32 v21, v20, 16, 1
	v_add3_u32 v21, v20, v21, s21
	v_and_b32_e32 v21, 0xffff0000, v21
	v_cmp_o_f32_e32 vcc, v20, v20
	v_cndmask_b32_e32 v20, v13, v21, vcc
	v_alignbit_b32 v21, v5, v4, 16
	v_and_b32_e32 v21, 0xffff0000, v21
	v_mul_f32_e32 v20, v20, v21
	v_bfe_u32 v21, v20, 16, 1
	v_add3_u32 v21, v20, v21, s21
	v_and_b32_e32 v21, 0xffff0000, v21
	v_cmp_o_f32_e32 vcc, v20, v20
	v_cndmask_b32_e32 v20, v13, v21, vcc
	v_mul_f32_e32 v20, v6, v20
	v_rndne_f32_e32 v20, v20
	v_cmp_nlt_f32_e32 vcc, s22, v20
	v_cndmask_b32_e32 v21, v16, v20, vcc
	v_cmp_ngt_f32_e32 vcc, s23, v20
	v_cndmask_b32_e32 v20, v17, v21, vcc
	v_mul_f32_e32 v22, v37, v23
	v_cvt_i32_f32_e32 v26, v20
	v_bfe_u32 v20, v22, 16, 1
	v_add3_u32 v20, v22, v20, s21
	v_and_b32_e32 v25, 0xffff0000, v20
	v_lshlrev_b64 v[20:21], 2, v[0:1]
	v_mov_b32_e32 v0, s16
	v_add_co_u32_e32 v20, vcc, s11, v20
	v_addc_co_u32_e32 v21, vcc, v0, v21, vcc
	v_cmp_o_f32_e32 vcc, v7, v7
	v_cndmask_b32_e32 v23, v13, v24, vcc
	v_cmp_o_f32_e32 vcc, v22, v22
	v_cndmask_b32_e32 v22, v13, v25, vcc
	v_and_b32_e32 v25, 0xffff0000, v4
	v_and_b32_e32 v24, 0xffff0000, v5
	v_pk_mul_f32 v[4:5], v[22:23], v[24:25]
	v_bfe_u32 v7, v5, 16, 1
	v_bfe_u32 v0, v4, 16, 1
	v_add3_u32 v7, v5, v7, s21
	v_add3_u32 v0, v4, v0, s21
	v_and_b32_e32 v7, 0xffff0000, v7
	v_cmp_o_f32_e32 vcc, v5, v5
	v_and_b32_e32 v0, 0xffff0000, v0
	v_cndmask_b32_e32 v5, v13, v7, vcc
	v_cmp_o_f32_e32 vcc, v4, v4
	v_cndmask_b32_e32 v4, v13, v0, vcc
	v_pk_mul_f32 v[4:5], v[6:7], v[4:5] op_sel_hi:[0,1]
	v_rndne_f32_e32 v4, v4
	v_rndne_f32_e32 v0, v5
	v_cmp_nlt_f32_e32 vcc, s22, v4
	v_cndmask_b32_e32 v5, v16, v4, vcc
	v_cmp_nlt_f32_e32 vcc, s22, v0
	v_cndmask_b32_e32 v6, v16, v0, vcc
	v_cmp_ngt_f32_e32 vcc, s23, v0
	v_cndmask_b32_e32 v0, v17, v6, vcc
	v_cmp_ngt_f32_e32 vcc, s23, v4
	v_cndmask_b32_e32 v4, v17, v5, vcc
	v_cvt_i32_f32_e32 v3, v3
	v_cvt_i32_f32_e32 v0, v0
	;; [unrolled: 1-line block ×3, first 2 shown]
	v_and_b32_e32 v5, 0xff, v26
	v_lshlrev_b32_e32 v5, 16, v5
	v_lshlrev_b32_sdwa v0, v19, v0 dst_sel:DWORD dst_unused:UNUSED_PAD src0_sel:DWORD src1_sel:BYTE_0
	v_lshl_or_b32 v4, v4, 24, v5
	v_and_b32_e32 v3, 0xff, v3
	s_add_i32 s0, s44, s44
	v_or3_b32 v0, v4, v0, v3
	s_add_i32 s0, s0, s44
	global_store_dword v[20:21], v0, off
	v_add_u32_e32 v0, s0, v2
	v_cmp_le_u32_e32 vcc, s10, v0
	s_orn2_b64 s[0:1], vcc, exec
	s_branch .LBB68_60
.LBB68_67:
	s_endpgm
.LBB68_68:
                                        ; implicit-def: $vgpr4_vgpr5
	s_andn2_b64 vcc, exec, s[24:25]
	s_cbranch_vccz .LBB68_53
	s_branch .LBB68_54
.LBB68_69:
                                        ; implicit-def: $vgpr2_vgpr3
	s_andn2_b64 vcc, exec, s[16:17]
	s_cbranch_vccz .LBB68_58
	s_branch .LBB68_59
	.section	.rodata,"a",@progbits
	.p2align	6, 0x0
	.amdhsa_kernel _ZN4vllm31rms_norm_per_block_quant_kernelIN3c108BFloat16EaLb1ELb1ELi128EEEvPT0_PfPKT_S8_PKffiiPS6_l
		.amdhsa_group_segment_fixed_size 4164
		.amdhsa_private_segment_fixed_size 0
		.amdhsa_kernarg_size 328
		.amdhsa_user_sgpr_count 6
		.amdhsa_user_sgpr_private_segment_buffer 1
		.amdhsa_user_sgpr_dispatch_ptr 0
		.amdhsa_user_sgpr_queue_ptr 0
		.amdhsa_user_sgpr_kernarg_segment_ptr 1
		.amdhsa_user_sgpr_dispatch_id 0
		.amdhsa_user_sgpr_flat_scratch_init 0
		.amdhsa_user_sgpr_kernarg_preload_length 0
		.amdhsa_user_sgpr_kernarg_preload_offset 0
		.amdhsa_user_sgpr_private_segment_size 0
		.amdhsa_uses_dynamic_stack 0
		.amdhsa_system_sgpr_private_segment_wavefront_offset 0
		.amdhsa_system_sgpr_workgroup_id_x 1
		.amdhsa_system_sgpr_workgroup_id_y 0
		.amdhsa_system_sgpr_workgroup_id_z 0
		.amdhsa_system_sgpr_workgroup_info 0
		.amdhsa_system_vgpr_workitem_id 0
		.amdhsa_next_free_vgpr 55
		.amdhsa_next_free_sgpr 50
		.amdhsa_accum_offset 56
		.amdhsa_reserve_vcc 1
		.amdhsa_reserve_flat_scratch 0
		.amdhsa_float_round_mode_32 0
		.amdhsa_float_round_mode_16_64 0
		.amdhsa_float_denorm_mode_32 3
		.amdhsa_float_denorm_mode_16_64 3
		.amdhsa_dx10_clamp 1
		.amdhsa_ieee_mode 1
		.amdhsa_fp16_overflow 0
		.amdhsa_tg_split 0
		.amdhsa_exception_fp_ieee_invalid_op 0
		.amdhsa_exception_fp_denorm_src 0
		.amdhsa_exception_fp_ieee_div_zero 0
		.amdhsa_exception_fp_ieee_overflow 0
		.amdhsa_exception_fp_ieee_underflow 0
		.amdhsa_exception_fp_ieee_inexact 0
		.amdhsa_exception_int_div_zero 0
	.end_amdhsa_kernel
	.section	.text._ZN4vllm31rms_norm_per_block_quant_kernelIN3c108BFloat16EaLb1ELb1ELi128EEEvPT0_PfPKT_S8_PKffiiPS6_l,"axG",@progbits,_ZN4vllm31rms_norm_per_block_quant_kernelIN3c108BFloat16EaLb1ELb1ELi128EEEvPT0_PfPKT_S8_PKffiiPS6_l,comdat
.Lfunc_end68:
	.size	_ZN4vllm31rms_norm_per_block_quant_kernelIN3c108BFloat16EaLb1ELb1ELi128EEEvPT0_PfPKT_S8_PKffiiPS6_l, .Lfunc_end68-_ZN4vllm31rms_norm_per_block_quant_kernelIN3c108BFloat16EaLb1ELb1ELi128EEEvPT0_PfPKT_S8_PKffiiPS6_l
                                        ; -- End function
	.section	.AMDGPU.csdata,"",@progbits
; Kernel info:
; codeLenInByte = 12064
; NumSgprs: 54
; NumVgprs: 55
; NumAgprs: 0
; TotalNumVgprs: 55
; ScratchSize: 0
; MemoryBound: 0
; FloatMode: 240
; IeeeMode: 1
; LDSByteSize: 4164 bytes/workgroup (compile time only)
; SGPRBlocks: 6
; VGPRBlocks: 6
; NumSGPRsForWavesPerEU: 54
; NumVGPRsForWavesPerEU: 55
; AccumOffset: 56
; Occupancy: 8
; WaveLimiterHint : 0
; COMPUTE_PGM_RSRC2:SCRATCH_EN: 0
; COMPUTE_PGM_RSRC2:USER_SGPR: 6
; COMPUTE_PGM_RSRC2:TRAP_HANDLER: 0
; COMPUTE_PGM_RSRC2:TGID_X_EN: 1
; COMPUTE_PGM_RSRC2:TGID_Y_EN: 0
; COMPUTE_PGM_RSRC2:TGID_Z_EN: 0
; COMPUTE_PGM_RSRC2:TIDIG_COMP_CNT: 0
; COMPUTE_PGM_RSRC3_GFX90A:ACCUM_OFFSET: 13
; COMPUTE_PGM_RSRC3_GFX90A:TG_SPLIT: 0
	.section	.text._ZN4vllm31rms_norm_per_block_quant_kernelIN3c108BFloat16ENS1_13Float8_e4m3fnELb1ELb0ELi128EEEvPT0_PfPKT_S9_PKffiiPS7_l,"axG",@progbits,_ZN4vllm31rms_norm_per_block_quant_kernelIN3c108BFloat16ENS1_13Float8_e4m3fnELb1ELb0ELi128EEEvPT0_PfPKT_S9_PKffiiPS7_l,comdat
	.protected	_ZN4vllm31rms_norm_per_block_quant_kernelIN3c108BFloat16ENS1_13Float8_e4m3fnELb1ELb0ELi128EEEvPT0_PfPKT_S9_PKffiiPS7_l ; -- Begin function _ZN4vllm31rms_norm_per_block_quant_kernelIN3c108BFloat16ENS1_13Float8_e4m3fnELb1ELb0ELi128EEEvPT0_PfPKT_S9_PKffiiPS7_l
	.globl	_ZN4vllm31rms_norm_per_block_quant_kernelIN3c108BFloat16ENS1_13Float8_e4m3fnELb1ELb0ELi128EEEvPT0_PfPKT_S9_PKffiiPS7_l
	.p2align	8
	.type	_ZN4vllm31rms_norm_per_block_quant_kernelIN3c108BFloat16ENS1_13Float8_e4m3fnELb1ELb0ELi128EEEvPT0_PfPKT_S9_PKffiiPS7_l,@function
_ZN4vllm31rms_norm_per_block_quant_kernelIN3c108BFloat16ENS1_13Float8_e4m3fnELb1ELb0ELi128EEEvPT0_PfPKT_S9_PKffiiPS7_l: ; @_ZN4vllm31rms_norm_per_block_quant_kernelIN3c108BFloat16ENS1_13Float8_e4m3fnELb1ELb0ELi128EEEvPT0_PfPKT_S9_PKffiiPS7_l
; %bb.0:
	s_load_dwordx4 s[8:11], s[4:5], 0x28
	s_load_dwordx8 s[12:19], s[4:5], 0x0
	s_load_dwordx2 s[34:35], s[4:5], 0x38
	v_mov_b32_e32 v1, 0
	s_waitcnt lgkmcnt(0)
	s_ashr_i32 s0, s10, 31
	s_mul_hi_u32 s1, s10, s6
	s_mul_i32 s0, s0, s6
	s_ashr_i32 s23, s9, 31
	s_add_i32 s1, s1, s0
	s_mul_i32 s0, s10, s6
	s_mul_hi_u32 s2, s9, s6
	s_mul_i32 s3, s23, s6
	s_add_i32 s21, s2, s3
	s_lshl_b64 s[30:31], s[0:1], 1
	s_mul_i32 s20, s9, s6
	s_add_u32 s33, s16, s30
	s_addc_u32 s46, s17, s31
	s_lshl_b64 s[36:37], s[20:21], 1
	s_add_u32 s47, s34, s36
	s_addc_u32 s48, s35, s37
	s_ashr_i32 s10, s9, 2
	s_add_u32 s2, s4, 0x48
	s_mov_b32 s22, s9
	v_cmp_gt_u32_e64 s[0:1], s10, v0
	s_addc_u32 s3, s5, 0
	s_and_saveexec_b64 s[24:25], s[0:1]
	s_cbranch_execz .LBB69_10
; %bb.1:
	s_load_dword s7, s[2:3], 0x0
	v_mov_b32_e32 v3, 0
	v_mov_b32_e32 v9, s46
	;; [unrolled: 1-line block ×4, first 2 shown]
	s_waitcnt lgkmcnt(0)
	s_cmp_lt_u32 s6, s7
	s_cselect_b32 s7, 12, 18
	s_add_u32 s26, s2, s7
	s_addc_u32 s27, s3, 0
	global_load_ushort v8, v3, s[26:27]
	s_mov_b64 s[26:27], 0
                                        ; implicit-def: $sgpr28_sgpr29
	s_waitcnt vmcnt(0)
	v_add_u32_e32 v1, v8, v8
	v_mul_lo_u32 v11, v8, 3
	v_lshlrev_b32_e32 v12, 1, v8
	v_add_u32_e32 v13, v1, v8
	v_mov_b32_e32 v1, v3
	s_branch .LBB69_5
.LBB69_2:                               ;   in Loop: Header=BB69_5 Depth=1
	s_or_b64 exec, exec, s[42:43]
	s_orn2_b64 s[42:43], s[44:45], exec
.LBB69_3:                               ;   in Loop: Header=BB69_5 Depth=1
	s_or_b64 exec, exec, s[40:41]
	s_andn2_b64 s[28:29], s[28:29], exec
	s_and_b64 s[40:41], s[42:43], exec
	s_or_b64 s[28:29], s[28:29], s[40:41]
.LBB69_4:                               ;   in Loop: Header=BB69_5 Depth=1
	s_or_b64 exec, exec, s[38:39]
	s_and_b64 s[38:39], exec, s[28:29]
	s_or_b64 s[26:27], s[38:39], s[26:27]
	s_andn2_b64 exec, exec, s[26:27]
	s_cbranch_execz .LBB69_9
.LBB69_5:                               ; =>This Inner Loop Header: Depth=1
	v_lshlrev_b64 v[4:5], 3, v[2:3]
	v_add_co_u32_e32 v6, vcc, s33, v4
	v_addc_co_u32_e32 v7, vcc, v9, v5, vcc
	v_add_co_u32_e32 v4, vcc, s47, v4
	v_addc_co_u32_e32 v5, vcc, v10, v5, vcc
	global_load_dwordx2 v[6:7], v[6:7], off
	s_or_b64 s[28:29], s[28:29], exec
	global_load_dwordx2 v[14:15], v[4:5], off
	v_add_u32_e32 v4, v2, v8
	v_cmp_gt_u32_e32 vcc, s10, v4
	s_waitcnt vmcnt(1)
	v_lshlrev_b32_e32 v16, 16, v6
	v_and_b32_e32 v5, 0xffff0000, v6
	s_waitcnt vmcnt(0)
	v_lshlrev_b32_e32 v18, 16, v14
	v_alignbit_b32 v6, v7, v6, 16
	v_and_b32_e32 v17, 0xffff0000, v14
	v_alignbit_b32 v14, v15, v14, 16
	v_add_f32_e32 v16, v16, v18
	v_and_b32_e32 v6, 0xffff0000, v6
	v_add_f32_e32 v5, v5, v17
	v_and_b32_e32 v14, 0xffff0000, v14
	v_fmac_f32_e32 v1, v16, v16
	v_and_b32_e32 v7, 0xffff0000, v7
	v_and_b32_e32 v15, 0xffff0000, v15
	v_add_f32_e32 v6, v6, v14
	v_fmac_f32_e32 v1, v5, v5
	v_add_f32_e32 v7, v7, v15
	v_fmac_f32_e32 v1, v6, v6
	v_fmac_f32_e32 v1, v7, v7
	s_and_saveexec_b64 s[38:39], vcc
	s_cbranch_execz .LBB69_4
; %bb.6:                                ;   in Loop: Header=BB69_5 Depth=1
	v_mov_b32_e32 v5, v3
	v_lshlrev_b64 v[6:7], 3, v[4:5]
	v_add_co_u32_e32 v14, vcc, s33, v6
	v_addc_co_u32_e32 v15, vcc, v9, v7, vcc
	v_add_co_u32_e32 v6, vcc, s47, v6
	v_addc_co_u32_e32 v7, vcc, v10, v7, vcc
	global_load_dwordx2 v[14:15], v[14:15], off
	s_mov_b64 s[42:43], -1
	global_load_dwordx2 v[16:17], v[6:7], off
	v_add_u32_e32 v6, v12, v2
	v_cmp_gt_u32_e32 vcc, s10, v6
	s_waitcnt vmcnt(1)
	v_lshlrev_b32_e32 v7, 16, v14
	v_and_b32_e32 v5, 0xffff0000, v14
	s_waitcnt vmcnt(0)
	v_lshlrev_b32_e32 v19, 16, v16
	v_alignbit_b32 v14, v15, v14, 16
	v_and_b32_e32 v18, 0xffff0000, v16
	v_alignbit_b32 v16, v17, v16, 16
	v_add_f32_e32 v7, v7, v19
	v_and_b32_e32 v14, 0xffff0000, v14
	v_add_f32_e32 v5, v5, v18
	v_and_b32_e32 v16, 0xffff0000, v16
	v_fmac_f32_e32 v1, v7, v7
	v_and_b32_e32 v15, 0xffff0000, v15
	v_and_b32_e32 v17, 0xffff0000, v17
	v_add_f32_e32 v14, v14, v16
	v_fmac_f32_e32 v1, v5, v5
	v_add_f32_e32 v15, v15, v17
	v_fmac_f32_e32 v1, v14, v14
	v_fmac_f32_e32 v1, v15, v15
	s_and_saveexec_b64 s[40:41], vcc
	s_cbranch_execz .LBB69_3
; %bb.7:                                ;   in Loop: Header=BB69_5 Depth=1
	v_mov_b32_e32 v7, v3
	v_lshlrev_b64 v[6:7], 3, v[6:7]
	v_add_co_u32_e32 v14, vcc, s33, v6
	v_addc_co_u32_e32 v15, vcc, v9, v7, vcc
	v_add_co_u32_e32 v6, vcc, s47, v6
	v_addc_co_u32_e32 v7, vcc, v10, v7, vcc
	global_load_dwordx2 v[14:15], v[14:15], off
	v_add_u32_e32 v2, v11, v2
	global_load_dwordx2 v[6:7], v[6:7], off
	v_cmp_gt_u32_e32 vcc, s10, v2
	s_mov_b64 s[44:45], -1
	s_waitcnt vmcnt(1)
	v_lshlrev_b32_e32 v16, 16, v14
	v_and_b32_e32 v5, 0xffff0000, v14
	s_waitcnt vmcnt(0)
	v_lshlrev_b32_e32 v18, 16, v6
	v_alignbit_b32 v14, v15, v14, 16
	v_and_b32_e32 v17, 0xffff0000, v6
	v_alignbit_b32 v6, v7, v6, 16
	v_add_f32_e32 v16, v16, v18
	v_and_b32_e32 v14, 0xffff0000, v14
	v_add_f32_e32 v5, v5, v17
	v_and_b32_e32 v6, 0xffff0000, v6
	v_fmac_f32_e32 v1, v16, v16
	v_and_b32_e32 v15, 0xffff0000, v15
	v_and_b32_e32 v7, 0xffff0000, v7
	v_add_f32_e32 v6, v14, v6
	v_fmac_f32_e32 v1, v5, v5
	v_add_f32_e32 v7, v15, v7
	v_fmac_f32_e32 v1, v6, v6
	v_fmac_f32_e32 v1, v7, v7
	s_and_saveexec_b64 s[42:43], vcc
	s_xor_b64 s[42:43], exec, s[42:43]
	s_cbranch_execz .LBB69_2
; %bb.8:                                ;   in Loop: Header=BB69_5 Depth=1
	v_lshlrev_b64 v[6:7], 3, v[2:3]
	v_mov_b32_e32 v2, s46
	v_add_co_u32_e32 v14, vcc, s33, v6
	v_addc_co_u32_e32 v15, vcc, v2, v7, vcc
	v_mov_b32_e32 v2, s48
	v_add_co_u32_e32 v6, vcc, s47, v6
	v_addc_co_u32_e32 v7, vcc, v2, v7, vcc
	global_load_dwordx2 v[14:15], v[14:15], off
	v_add_u32_e32 v2, v13, v4
	global_load_dwordx2 v[6:7], v[6:7], off
	v_cmp_le_u32_e32 vcc, s10, v2
	s_orn2_b64 s[44:45], vcc, exec
	s_waitcnt vmcnt(1)
	v_lshlrev_b32_e32 v5, 16, v14
	v_and_b32_e32 v4, 0xffff0000, v14
	s_waitcnt vmcnt(0)
	v_lshlrev_b32_e32 v17, 16, v6
	v_alignbit_b32 v14, v15, v14, 16
	v_and_b32_e32 v16, 0xffff0000, v6
	v_alignbit_b32 v6, v7, v6, 16
	v_add_f32_e32 v5, v5, v17
	v_and_b32_e32 v14, 0xffff0000, v14
	v_add_f32_e32 v4, v4, v16
	v_and_b32_e32 v6, 0xffff0000, v6
	v_fmac_f32_e32 v1, v5, v5
	v_and_b32_e32 v15, 0xffff0000, v15
	v_and_b32_e32 v7, 0xffff0000, v7
	v_add_f32_e32 v6, v14, v6
	v_fmac_f32_e32 v1, v4, v4
	v_add_f32_e32 v7, v15, v7
	v_fmac_f32_e32 v1, v6, v6
	v_fmac_f32_e32 v1, v7, v7
	s_branch .LBB69_2
.LBB69_9:
	s_or_b64 exec, exec, s[26:27]
.LBB69_10:
	s_or_b64 exec, exec, s[24:25]
	v_mbcnt_lo_u32_b32 v2, -1, 0
	v_mbcnt_hi_u32_b32 v2, -1, v2
	v_and_b32_e32 v3, 63, v2
	v_cmp_ne_u32_e32 vcc, 63, v3
	s_load_dword s2, s[2:3], 0xc
	v_addc_co_u32_e32 v4, vcc, 0, v2, vcc
	v_lshlrev_b32_e32 v4, 2, v4
	ds_bpermute_b32 v4, v4, v1
	s_waitcnt lgkmcnt(0)
	s_and_b32 s44, s2, 0xffff
	v_and_b32_e32 v5, 0x3c0, v0
	v_sub_u32_e64 v5, s44, v5 clamp
	v_add_u32_e32 v6, 1, v2
	v_add_f32_e32 v4, v1, v4
	v_cmp_lt_u32_e32 vcc, v6, v5
	v_cndmask_b32_e32 v1, v1, v4, vcc
	v_cmp_gt_u32_e32 vcc, 62, v3
	v_cndmask_b32_e64 v4, 0, 1, vcc
	v_lshlrev_b32_e32 v4, 1, v4
	v_add_lshl_u32 v4, v4, v2, 2
	ds_bpermute_b32 v4, v4, v1
	v_add_u32_e32 v6, 2, v2
	v_cmp_lt_u32_e32 vcc, v6, v5
	v_add_u32_e32 v6, 4, v2
	s_waitcnt lgkmcnt(0)
	v_add_f32_e32 v4, v1, v4
	v_cndmask_b32_e32 v1, v1, v4, vcc
	v_cmp_gt_u32_e32 vcc, 60, v3
	v_cndmask_b32_e64 v4, 0, 1, vcc
	v_lshlrev_b32_e32 v4, 2, v4
	v_add_lshl_u32 v4, v4, v2, 2
	ds_bpermute_b32 v4, v4, v1
	v_cmp_lt_u32_e32 vcc, v6, v5
	v_add_u32_e32 v6, 8, v2
	s_waitcnt lgkmcnt(0)
	v_add_f32_e32 v4, v1, v4
	v_cndmask_b32_e32 v1, v1, v4, vcc
	v_cmp_gt_u32_e32 vcc, 56, v3
	v_cndmask_b32_e64 v4, 0, 1, vcc
	v_lshlrev_b32_e32 v4, 3, v4
	v_add_lshl_u32 v4, v4, v2, 2
	ds_bpermute_b32 v4, v4, v1
	;; [unrolled: 10-line block ×3, first 2 shown]
	v_cmp_lt_u32_e32 vcc, v6, v5
	s_waitcnt lgkmcnt(0)
	v_add_f32_e32 v4, v1, v4
	v_cndmask_b32_e32 v1, v1, v4, vcc
	v_cmp_gt_u32_e32 vcc, 32, v3
	v_cndmask_b32_e64 v3, 0, 1, vcc
	v_lshlrev_b32_e32 v3, 5, v3
	v_add_lshl_u32 v3, v3, v2, 2
	ds_bpermute_b32 v3, v3, v1
	v_add_u32_e32 v4, 32, v2
	v_cmp_lt_u32_e32 vcc, v4, v5
	s_waitcnt lgkmcnt(0)
	v_add_f32_e32 v3, v1, v3
	v_cndmask_b32_e32 v1, v1, v3, vcc
	v_cmp_eq_u32_e32 vcc, 0, v2
	s_and_saveexec_b64 s[2:3], vcc
	s_cbranch_execz .LBB69_12
; %bb.11:
	v_lshrrev_b32_e32 v3, 4, v0
	v_and_b32_e32 v3, 60, v3
	ds_write_b32 v3, v1 offset:4096
.LBB69_12:
	s_or_b64 exec, exec, s[2:3]
	v_cmp_gt_u32_e32 vcc, 16, v0
	s_waitcnt lgkmcnt(0)
	s_barrier
	s_and_saveexec_b64 s[24:25], vcc
	s_cbranch_execz .LBB69_14
; %bb.13:
	v_lshlrev_b32_e32 v1, 2, v2
	ds_read_b32 v1, v1 offset:4096
	v_and_b32_e32 v3, 15, v2
	v_cmp_ne_u32_e32 vcc, 15, v3
	v_addc_co_u32_e32 v4, vcc, 0, v2, vcc
	v_lshlrev_b32_e32 v4, 2, v4
	s_waitcnt lgkmcnt(0)
	ds_bpermute_b32 v4, v4, v1
	s_add_i32 s2, s44, 63
	s_lshr_b32 s7, s2, 6
	v_add_u32_e32 v5, 1, v3
	v_cmp_gt_u32_e64 s[2:3], 14, v3
	v_cmp_gt_u32_e32 vcc, s7, v5
	v_cndmask_b32_e64 v5, 0, 1, s[2:3]
	s_waitcnt lgkmcnt(0)
	v_add_f32_e32 v4, v1, v4
	v_lshlrev_b32_e32 v5, 1, v5
	v_cndmask_b32_e32 v4, v1, v4, vcc
	v_add_lshl_u32 v5, v5, v2, 2
	ds_bpermute_b32 v5, v5, v4
	v_add_u32_e32 v6, 2, v3
	v_cmp_gt_u32_e64 s[2:3], s7, v6
	v_add_u32_e32 v6, 4, v3
	s_waitcnt lgkmcnt(0)
	v_add_f32_e32 v5, v4, v5
	v_cndmask_b32_e64 v4, v4, v5, s[2:3]
	v_cmp_gt_u32_e64 s[2:3], 12, v3
	v_cndmask_b32_e64 v5, 0, 1, s[2:3]
	v_lshlrev_b32_e32 v5, 2, v5
	v_add_lshl_u32 v5, v5, v2, 2
	ds_bpermute_b32 v5, v5, v4
	v_cmp_gt_u32_e64 s[2:3], s7, v6
	s_waitcnt lgkmcnt(0)
	v_add_f32_e32 v5, v4, v5
	v_cndmask_b32_e64 v4, v4, v5, s[2:3]
	v_cmp_gt_u32_e64 s[2:3], 8, v3
	v_cndmask_b32_e64 v5, 0, 1, s[2:3]
	v_lshlrev_b32_e32 v5, 3, v5
	v_add_lshl_u32 v2, v5, v2, 2
	ds_bpermute_b32 v2, v2, v4
	v_add_u32_e32 v3, 8, v3
	v_cmp_gt_u32_e64 s[2:3], s7, v3
	s_waitcnt lgkmcnt(0)
	v_add_f32_e32 v2, v4, v2
	v_cndmask_b32_e64 v2, v4, v2, s[2:3]
	v_cndmask_b32_e32 v1, v1, v2, vcc
.LBB69_14:
	s_or_b64 exec, exec, s[24:25]
	v_cmp_eq_u32_e32 vcc, 0, v0
	s_and_saveexec_b64 s[2:3], vcc
	s_cbranch_execz .LBB69_16
; %bb.15:
	v_cvt_f32_i32_e32 v2, s22
	s_mov_b32 s7, 0x800000
	v_div_scale_f32 v3, s[24:25], v2, v2, v1
	v_rcp_f32_e32 v4, v3
	v_div_scale_f32 v5, vcc, v1, v2, v1
	v_fma_f32 v6, -v3, v4, 1.0
	v_fmac_f32_e32 v4, v6, v4
	v_mul_f32_e32 v6, v5, v4
	v_fma_f32 v7, -v3, v6, v5
	v_fmac_f32_e32 v6, v7, v4
	v_fma_f32 v3, -v3, v6, v5
	v_div_fmas_f32 v3, v3, v4, v6
	v_div_fixup_f32 v1, v3, v2, v1
	v_add_f32_e32 v1, s8, v1
	v_mul_f32_e32 v2, 0x4b800000, v1
	v_cmp_gt_f32_e32 vcc, s7, v1
	v_cndmask_b32_e32 v1, v1, v2, vcc
	v_rsq_f32_e32 v1, v1
	v_mul_f32_e32 v2, 0x45800000, v1
	v_cndmask_b32_e32 v1, v1, v2, vcc
	v_mov_b32_e32 v2, 0
	ds_write_b32 v2, v1 offset:4160
.LBB69_16:
	s_or_b64 exec, exec, s[2:3]
	s_ashr_i32 s2, s22, 31
	s_lshr_b32 s2, s2, 25
	s_add_i32 s2, s22, s2
	s_ashr_i32 s24, s2, 7
	s_abs_i32 s3, s24
	v_cvt_f32_u32_e32 v1, s3
	s_sub_i32 s7, 0, s3
	s_ashr_i32 s2, s2, 31
	v_mov_b32_e32 v5, 0
	v_rcp_iflag_f32_e32 v1, v1
	s_waitcnt lgkmcnt(0)
	s_barrier
	v_mul_f32_e32 v1, 0x4f7ffffe, v1
	v_cvt_u32_f32_e32 v1, v1
	ds_read_b32 v37, v5 offset:4160
	v_readfirstlane_b32 s8, v1
	s_mul_i32 s7, s7, s8
	s_mul_hi_u32 s7, s8, s7
	s_add_i32 s8, s8, s7
	s_mul_hi_u32 s7, s44, s8
	s_mul_i32 s8, s7, s3
	s_sub_i32 s8, s44, s8
	s_add_i32 s9, s7, 1
	s_sub_i32 s11, s8, s3
	s_cmp_ge_u32 s8, s3
	s_cselect_b32 s7, s9, s7
	s_cselect_b32 s8, s11, s8
	s_add_i32 s9, s7, 1
	s_cmp_ge_u32 s8, s3
	s_cselect_b32 s3, s9, s7
	s_xor_b32 s3, s3, s2
	s_sub_i32 s26, s3, s2
	s_abs_i32 s2, s26
	v_cvt_f32_u32_e32 v1, s2
	s_sub_i32 s3, 0, s2
	s_ashr_i32 s27, s26, 31
	s_ashr_i32 s11, s10, 31
	v_rcp_iflag_f32_e32 v1, v1
	v_mul_f32_e32 v1, 0x4f7ffffe, v1
	v_cvt_u32_f32_e32 v1, v1
	v_mul_lo_u32 v2, s3, v1
	v_mul_hi_u32 v2, v1, v2
	v_add_u32_e32 v1, v1, v2
	v_mul_hi_u32 v1, v0, v1
	v_mul_lo_u32 v2, v1, s2
	v_sub_u32_e32 v2, v0, v2
	v_add_u32_e32 v3, 1, v1
	v_cmp_le_u32_e32 vcc, s2, v2
	v_cndmask_b32_e32 v1, v1, v3, vcc
	v_subrev_u32_e32 v3, s2, v2
	v_cndmask_b32_e32 v2, v2, v3, vcc
	v_add_u32_e32 v3, 1, v1
	v_cmp_le_u32_e32 vcc, s2, v2
	v_cndmask_b32_e32 v1, v1, v3, vcc
	v_xor_b32_e32 v1, s27, v1
	v_subrev_u32_e32 v2, s27, v1
	v_mul_lo_u32 v1, v2, s26
	v_ashrrev_i32_e32 v3, 31, v2
	v_sub_u32_e32 v4, v0, v1
	v_lshlrev_b64 v[8:9], 5, v[2:3]
	v_add_co_u32_e32 v6, vcc, v8, v4
	v_addc_co_u32_e32 v7, vcc, 0, v9, vcc
	v_add_co_u32_e32 v8, vcc, 32, v8
	v_addc_co_u32_e32 v9, vcc, 0, v9, vcc
	v_mov_b32_e32 v1, s11
	v_cmp_gt_i64_e32 vcc, s[10:11], v[8:9]
	v_cndmask_b32_e32 v9, v1, v9, vcc
	v_mov_b32_e32 v1, s10
	v_cndmask_b32_e32 v8, v1, v8, vcc
	v_ashrrev_i32_e32 v11, 31, v8
	v_mov_b32_e32 v10, v8
	v_cmp_lt_i64_e32 vcc, v[6:7], v[10:11]
	s_and_saveexec_b64 s[28:29], vcc
	s_cbranch_execz .LBB69_26
; %bb.17:
	v_lshlrev_b64 v[30:31], 8, v[2:3]
	s_mul_i32 s11, s26, 24
	v_lshlrev_b64 v[12:13], 3, v[4:5]
	v_mov_b32_e32 v1, s31
	v_add_co_u32_e32 v5, vcc, s30, v30
	s_mul_hi_i32 s7, s26, 24
	s_add_u32 s2, s16, s11
	v_addc_co_u32_e32 v19, vcc, v1, v31, vcc
	s_addc_u32 s3, s17, s7
	v_mov_b32_e32 v1, s3
	v_add_co_u32_e32 v14, vcc, s2, v5
	s_lshl_b64 s[30:31], s[26:27], 5
	s_lshl_b64 s[2:3], s[26:27], 4
	s_add_u32 s8, s16, s2
	v_addc_co_u32_e32 v1, vcc, v1, v19, vcc
	s_addc_u32 s9, s17, s3
	v_mov_b32_e32 v15, s9
	v_add_co_u32_e32 v16, vcc, s8, v5
	s_lshl_b64 s[8:9], s[26:27], 3
	s_add_u32 s25, s16, s8
	v_addc_co_u32_e32 v15, vcc, v15, v19, vcc
	s_addc_u32 s38, s17, s9
	v_mov_b32_e32 v17, s38
	v_add_co_u32_e32 v18, vcc, s25, v5
	v_addc_co_u32_e32 v17, vcc, v17, v19, vcc
	v_mov_b32_e32 v21, s17
	v_add_co_u32_e32 v20, vcc, s16, v5
	s_add_u32 s16, s18, s11
	v_addc_co_u32_e32 v19, vcc, v21, v19, vcc
	s_addc_u32 s17, s19, s7
	v_mov_b32_e32 v5, s17
	v_add_co_u32_e32 v22, vcc, s16, v30
	s_add_u32 s16, s18, s2
	v_addc_co_u32_e32 v21, vcc, v5, v31, vcc
	s_addc_u32 s17, s19, s3
	;; [unrolled: 5-line block ×3, first 2 shown]
	v_mov_b32_e32 v5, s17
	v_add_co_u32_e32 v26, vcc, s16, v30
	v_addc_co_u32_e32 v25, vcc, v5, v31, vcc
	v_mov_b32_e32 v5, s19
	v_add_co_u32_e32 v28, vcc, s18, v30
	v_addc_co_u32_e32 v27, vcc, v5, v31, vcc
	v_mov_b32_e32 v5, s37
	v_add_co_u32_e32 v35, vcc, s36, v30
	s_add_u32 s11, s34, s11
	v_addc_co_u32_e32 v5, vcc, v5, v31, vcc
	s_addc_u32 s7, s35, s7
	v_mov_b32_e32 v29, s7
	v_add_co_u32_e32 v30, vcc, s11, v35
	s_add_u32 s2, s34, s2
	v_addc_co_u32_e32 v29, vcc, v29, v5, vcc
	s_addc_u32 s3, s35, s3
	;; [unrolled: 5-line block ×3, first 2 shown]
	v_mov_b32_e32 v33, s3
	v_add_co_u32_e32 v34, vcc, s2, v35
	v_addc_co_u32_e32 v33, vcc, v33, v5, vcc
	v_mov_b32_e32 v38, s35
	v_add_co_u32_e32 v36, vcc, s34, v35
	v_addc_co_u32_e32 v35, vcc, v38, v5, vcc
	s_mul_hi_i32 s7, s26, 3
	s_mul_i32 s11, s26, 3
	s_lshl_b64 s[34:35], s[26:27], 1
	s_mov_b64 s[16:17], 0
	v_mov_b32_e32 v5, 0
	s_movk_i32 s25, 0x7fff
	v_mov_b32_e32 v42, 0x7fc00000
	v_pk_mov_b32 v[38:39], v[6:7], v[6:7] op_sel:[0,1]
                                        ; implicit-def: $sgpr36_sgpr37
	s_branch .LBB69_21
.LBB69_18:                              ;   in Loop: Header=BB69_21 Depth=1
	s_or_b64 exec, exec, s[42:43]
	s_orn2_b64 s[2:3], s[2:3], exec
.LBB69_19:                              ;   in Loop: Header=BB69_21 Depth=1
	s_or_b64 exec, exec, s[40:41]
	s_andn2_b64 s[8:9], s[36:37], exec
	s_and_b64 s[2:3], s[2:3], exec
	s_or_b64 s[36:37], s[8:9], s[2:3]
.LBB69_20:                              ;   in Loop: Header=BB69_21 Depth=1
	s_or_b64 exec, exec, s[38:39]
	s_and_b64 s[2:3], exec, s[36:37]
	s_or_b64 s[16:17], s[2:3], s[16:17]
	s_andn2_b64 exec, exec, s[16:17]
	s_cbranch_execz .LBB69_25
.LBB69_21:                              ; =>This Inner Loop Header: Depth=1
	v_add_co_u32_e32 v40, vcc, v20, v12
	v_addc_co_u32_e32 v41, vcc, v19, v13, vcc
	global_load_dwordx2 v[44:45], v[40:41], off
	v_add_co_u32_e32 v40, vcc, v28, v12
	v_addc_co_u32_e32 v41, vcc, v27, v13, vcc
	global_load_dwordx2 v[46:47], v[40:41], off
	;; [unrolled: 3-line block ×3, first 2 shown]
	v_mov_b32_e32 v41, s27
	v_add_co_u32_e32 v40, vcc, s26, v38
	v_addc_co_u32_e32 v41, vcc, v39, v41, vcc
	v_cmp_lt_i64_e32 vcc, v[40:41], v[10:11]
	s_or_b64 s[36:37], s[36:37], exec
	s_waitcnt vmcnt(2)
	v_and_b32_e32 v43, 0xffff0000, v44
	v_lshlrev_b32_e32 v51, 16, v44
	v_alignbit_b32 v44, v45, v44, 16
	v_and_b32_e32 v44, 0xffff0000, v44
	v_and_b32_e32 v45, 0xffff0000, v45
	s_waitcnt vmcnt(1)
	v_lshlrev_b32_e32 v54, 16, v46
	v_and_b32_e32 v50, 0xffff0000, v46
	v_alignbit_b32 v46, v47, v46, 16
	v_and_b32_e32 v47, 0xffff0000, v47
	v_and_b32_e32 v46, 0xffff0000, v46
	s_waitcnt vmcnt(0)
	v_and_b32_e32 v52, 0xffff0000, v48
	v_lshlrev_b32_e32 v53, 16, v48
	v_alignbit_b32 v48, v49, v48, 16
	v_add_f32_e32 v51, v51, v53
	v_and_b32_e32 v48, 0xffff0000, v48
	v_and_b32_e32 v49, 0xffff0000, v49
	v_add_f32_e32 v43, v43, v52
	v_add_f32_e32 v44, v44, v48
	s_waitcnt lgkmcnt(0)
	v_mul_f32_e32 v48, v37, v51
	v_add_f32_e32 v45, v45, v49
	v_mul_f32_e32 v43, v37, v43
	v_bfe_u32 v49, v48, 16, 1
	v_mul_f32_e32 v45, v37, v45
	v_bfe_u32 v51, v43, 16, 1
	v_add3_u32 v49, v48, v49, s25
	v_bfe_u32 v52, v45, 16, 1
	v_add3_u32 v51, v43, v51, s25
	v_and_b32_e32 v49, 0xffff0000, v49
	v_cmp_o_f32_e64 s[2:3], v48, v48
	v_mul_f32_e32 v44, v37, v44
	v_add3_u32 v52, v45, v52, s25
	v_and_b32_e32 v51, 0xffff0000, v51
	v_cndmask_b32_e64 v48, v42, v49, s[2:3]
	v_cmp_o_f32_e64 s[2:3], v43, v43
	v_bfe_u32 v53, v44, 16, 1
	v_and_b32_e32 v52, 0xffff0000, v52
	v_cndmask_b32_e64 v43, v42, v51, s[2:3]
	v_cmp_o_f32_e64 s[2:3], v45, v45
	v_add3_u32 v53, v44, v53, s25
	v_cndmask_b32_e64 v45, v42, v52, s[2:3]
	v_mul_f32_e32 v48, v48, v54
	v_and_b32_e32 v49, 0xffff0000, v53
	v_mul_f32_e32 v43, v43, v50
	v_cmp_o_f32_e64 s[2:3], v44, v44
	v_mul_f32_e32 v45, v45, v47
	v_bfe_u32 v47, v48, 16, 1
	v_cndmask_b32_e64 v44, v42, v49, s[2:3]
	v_bfe_u32 v49, v43, 16, 1
	v_add3_u32 v47, v48, v47, s25
	v_mul_f32_e32 v44, v44, v46
	v_bfe_u32 v46, v45, 16, 1
	v_add3_u32 v49, v43, v49, s25
	v_and_b32_e32 v47, 0xffff0000, v47
	v_cmp_o_f32_e64 s[2:3], v48, v48
	v_bfe_u32 v50, v44, 16, 1
	v_add3_u32 v46, v45, v46, s25
	v_and_b32_e32 v49, 0xffff0000, v49
	v_cndmask_b32_e64 v47, v42, |v47|, s[2:3]
	v_cmp_o_f32_e64 s[2:3], v43, v43
	v_add3_u32 v50, v44, v50, s25
	v_and_b32_e32 v46, 0xffff0000, v46
	v_cndmask_b32_e64 v43, v42, |v49|, s[2:3]
	v_cmp_o_f32_e64 s[2:3], v45, v45
	v_and_b32_e32 v48, 0xffff0000, v50
	v_cndmask_b32_e64 v45, v42, |v46|, s[2:3]
	v_cmp_o_f32_e64 s[2:3], v44, v44
	v_max3_f32 v5, v5, v47, v43
	v_cndmask_b32_e64 v43, v42, |v48|, s[2:3]
	v_max3_f32 v5, v5, v43, v45
	s_and_saveexec_b64 s[38:39], vcc
	s_cbranch_execz .LBB69_20
; %bb.22:                               ;   in Loop: Header=BB69_21 Depth=1
	v_add_co_u32_e32 v44, vcc, v18, v12
	v_addc_co_u32_e32 v45, vcc, v17, v13, vcc
	v_add_co_u32_e32 v46, vcc, v26, v12
	v_addc_co_u32_e32 v47, vcc, v25, v13, vcc
	;; [unrolled: 2-line block ×3, first 2 shown]
	global_load_dwordx2 v[44:45], v[44:45], off
	v_mov_b32_e32 v43, s35
	global_load_dwordx2 v[48:49], v[48:49], off
	v_add_co_u32_e32 v50, vcc, s34, v38
	global_load_dwordx2 v[46:47], v[46:47], off
	v_addc_co_u32_e32 v51, vcc, v43, v39, vcc
	v_cmp_lt_i64_e32 vcc, v[50:51], v[10:11]
	s_waitcnt vmcnt(2)
	v_and_b32_e32 v43, 0xffff0000, v44
	v_lshlrev_b32_e32 v51, 16, v44
	v_alignbit_b32 v44, v45, v44, 16
	s_waitcnt vmcnt(1)
	v_and_b32_e32 v52, 0xffff0000, v48
	v_lshlrev_b32_e32 v53, 16, v48
	v_alignbit_b32 v48, v49, v48, 16
	v_and_b32_e32 v44, 0xffff0000, v44
	v_add_f32_e32 v51, v51, v53
	v_and_b32_e32 v48, 0xffff0000, v48
	v_and_b32_e32 v45, 0xffff0000, v45
	;; [unrolled: 1-line block ×3, first 2 shown]
	v_add_f32_e32 v43, v43, v52
	v_add_f32_e32 v44, v44, v48
	v_mul_f32_e32 v48, v37, v51
	v_add_f32_e32 v45, v45, v49
	v_mul_f32_e32 v43, v37, v43
	v_bfe_u32 v49, v48, 16, 1
	v_mul_f32_e32 v45, v37, v45
	v_bfe_u32 v51, v43, 16, 1
	v_add3_u32 v49, v48, v49, s25
	v_bfe_u32 v52, v45, 16, 1
	v_add3_u32 v51, v43, v51, s25
	v_and_b32_e32 v49, 0xffff0000, v49
	v_cmp_o_f32_e64 s[2:3], v48, v48
	v_mul_f32_e32 v44, v37, v44
	v_add3_u32 v52, v45, v52, s25
	v_and_b32_e32 v51, 0xffff0000, v51
	v_cndmask_b32_e64 v48, v42, v49, s[2:3]
	v_cmp_o_f32_e64 s[2:3], v43, v43
	s_waitcnt vmcnt(0)
	v_lshlrev_b32_e32 v54, 16, v46
	v_bfe_u32 v53, v44, 16, 1
	v_and_b32_e32 v52, 0xffff0000, v52
	v_cndmask_b32_e64 v43, v42, v51, s[2:3]
	v_cmp_o_f32_e64 s[2:3], v45, v45
	v_and_b32_e32 v50, 0xffff0000, v46
	v_alignbit_b32 v46, v47, v46, 16
	v_and_b32_e32 v47, 0xffff0000, v47
	v_add3_u32 v53, v44, v53, s25
	v_cndmask_b32_e64 v45, v42, v52, s[2:3]
	v_mul_f32_e32 v48, v48, v54
	v_and_b32_e32 v49, 0xffff0000, v53
	v_mul_f32_e32 v43, v43, v50
	v_cmp_o_f32_e64 s[2:3], v44, v44
	v_mul_f32_e32 v45, v45, v47
	v_bfe_u32 v47, v48, 16, 1
	v_and_b32_e32 v46, 0xffff0000, v46
	v_cndmask_b32_e64 v44, v42, v49, s[2:3]
	v_bfe_u32 v49, v43, 16, 1
	v_add3_u32 v47, v48, v47, s25
	v_mul_f32_e32 v44, v44, v46
	v_bfe_u32 v46, v45, 16, 1
	v_add3_u32 v49, v43, v49, s25
	v_and_b32_e32 v47, 0xffff0000, v47
	v_cmp_o_f32_e64 s[2:3], v48, v48
	v_bfe_u32 v50, v44, 16, 1
	v_add3_u32 v46, v45, v46, s25
	v_and_b32_e32 v49, 0xffff0000, v49
	v_cndmask_b32_e64 v47, v42, |v47|, s[2:3]
	v_cmp_o_f32_e64 s[2:3], v43, v43
	v_add3_u32 v50, v44, v50, s25
	v_and_b32_e32 v46, 0xffff0000, v46
	v_cndmask_b32_e64 v43, v42, |v49|, s[2:3]
	v_cmp_o_f32_e64 s[2:3], v45, v45
	v_and_b32_e32 v48, 0xffff0000, v50
	v_cndmask_b32_e64 v45, v42, |v46|, s[2:3]
	v_cmp_o_f32_e64 s[2:3], v44, v44
	v_max3_f32 v5, v5, v47, v43
	v_cndmask_b32_e64 v43, v42, |v48|, s[2:3]
	v_max3_f32 v5, v5, v43, v45
	s_mov_b64 s[2:3], -1
	s_and_saveexec_b64 s[40:41], vcc
	s_cbranch_execz .LBB69_19
; %bb.23:                               ;   in Loop: Header=BB69_21 Depth=1
	v_add_co_u32_e32 v44, vcc, v16, v12
	v_addc_co_u32_e32 v45, vcc, v15, v13, vcc
	v_add_co_u32_e32 v46, vcc, v24, v12
	v_addc_co_u32_e32 v47, vcc, v23, v13, vcc
	;; [unrolled: 2-line block ×3, first 2 shown]
	global_load_dwordx2 v[44:45], v[44:45], off
	v_mov_b32_e32 v43, s7
	global_load_dwordx2 v[48:49], v[48:49], off
	v_add_co_u32_e32 v38, vcc, s11, v38
	global_load_dwordx2 v[46:47], v[46:47], off
	v_addc_co_u32_e32 v39, vcc, v43, v39, vcc
	v_cmp_lt_i64_e32 vcc, v[38:39], v[10:11]
	s_waitcnt vmcnt(2)
	v_lshlrev_b32_e32 v43, 16, v44
	v_and_b32_e32 v38, 0xffff0000, v44
	s_waitcnt vmcnt(1)
	v_lshlrev_b32_e32 v51, 16, v48
	v_alignbit_b32 v44, v45, v44, 16
	v_and_b32_e32 v50, 0xffff0000, v48
	v_alignbit_b32 v48, v49, v48, 16
	v_add_f32_e32 v43, v43, v51
	v_and_b32_e32 v45, 0xffff0000, v45
	v_and_b32_e32 v49, 0xffff0000, v49
	v_and_b32_e32 v44, 0xffff0000, v44
	v_add_f32_e32 v38, v38, v50
	v_and_b32_e32 v48, 0xffff0000, v48
	v_mul_f32_e32 v43, v37, v43
	v_add_f32_e32 v45, v45, v49
	v_add_f32_e32 v44, v44, v48
	v_mul_f32_e32 v38, v37, v38
	v_bfe_u32 v48, v43, 16, 1
	v_mul_f32_e32 v45, v37, v45
	v_bfe_u32 v49, v38, 16, 1
	v_add3_u32 v48, v43, v48, s25
	v_bfe_u32 v50, v45, 16, 1
	v_add3_u32 v49, v38, v49, s25
	v_and_b32_e32 v48, 0xffff0000, v48
	v_cmp_o_f32_e64 s[2:3], v43, v43
	v_mul_f32_e32 v44, v37, v44
	v_add3_u32 v50, v45, v50, s25
	v_and_b32_e32 v49, 0xffff0000, v49
	v_cndmask_b32_e64 v43, v42, v48, s[2:3]
	v_cmp_o_f32_e64 s[2:3], v38, v38
	s_waitcnt vmcnt(0)
	v_lshlrev_b32_e32 v52, 16, v46
	v_bfe_u32 v51, v44, 16, 1
	v_and_b32_e32 v50, 0xffff0000, v50
	v_cndmask_b32_e64 v38, v42, v49, s[2:3]
	v_cmp_o_f32_e64 s[2:3], v45, v45
	v_and_b32_e32 v39, 0xffff0000, v46
	v_alignbit_b32 v46, v47, v46, 16
	v_and_b32_e32 v47, 0xffff0000, v47
	v_add3_u32 v51, v44, v51, s25
	v_cndmask_b32_e64 v45, v42, v50, s[2:3]
	v_mul_f32_e32 v43, v43, v52
	v_and_b32_e32 v48, 0xffff0000, v51
	v_mul_f32_e32 v38, v38, v39
	v_cmp_o_f32_e64 s[2:3], v44, v44
	v_mul_f32_e32 v44, v45, v47
	v_bfe_u32 v45, v43, 16, 1
	v_and_b32_e32 v46, 0xffff0000, v46
	v_cndmask_b32_e64 v39, v42, v48, s[2:3]
	v_bfe_u32 v47, v38, 16, 1
	v_add3_u32 v45, v43, v45, s25
	v_mul_f32_e32 v39, v39, v46
	v_bfe_u32 v46, v44, 16, 1
	v_add3_u32 v47, v38, v47, s25
	v_and_b32_e32 v45, 0xffff0000, v45
	v_cmp_o_f32_e64 s[2:3], v43, v43
	v_bfe_u32 v48, v39, 16, 1
	v_add3_u32 v46, v44, v46, s25
	v_and_b32_e32 v47, 0xffff0000, v47
	v_cndmask_b32_e64 v43, v42, |v45|, s[2:3]
	v_cmp_o_f32_e64 s[2:3], v38, v38
	v_add3_u32 v48, v39, v48, s25
	v_and_b32_e32 v46, 0xffff0000, v46
	v_cndmask_b32_e64 v38, v42, |v47|, s[2:3]
	v_cmp_o_f32_e64 s[2:3], v44, v44
	v_and_b32_e32 v45, 0xffff0000, v48
	v_cndmask_b32_e64 v44, v42, |v46|, s[2:3]
	v_cmp_o_f32_e64 s[2:3], v39, v39
	v_max3_f32 v5, v5, v43, v38
	v_cndmask_b32_e64 v38, v42, |v45|, s[2:3]
	v_max3_f32 v5, v5, v38, v44
	s_mov_b64 s[2:3], -1
                                        ; implicit-def: $vgpr38_vgpr39
	s_and_saveexec_b64 s[8:9], vcc
	s_xor_b64 s[42:43], exec, s[8:9]
	s_cbranch_execz .LBB69_18
; %bb.24:                               ;   in Loop: Header=BB69_21 Depth=1
	s_add_u32 s2, s26, s26
	s_addc_u32 s3, s27, s27
	s_add_u32 s2, s2, s26
	s_addc_u32 s3, s3, s27
	v_mov_b32_e32 v39, s3
	v_add_co_u32_e32 v38, vcc, s2, v40
	v_addc_co_u32_e32 v39, vcc, v39, v41, vcc
	v_add_co_u32_e32 v40, vcc, v14, v12
	v_addc_co_u32_e32 v41, vcc, v1, v13, vcc
	global_load_dwordx2 v[40:41], v[40:41], off
	s_waitcnt vmcnt(0)
	v_and_b32_e32 v43, 0xffff0000, v40
	v_lshlrev_b32_e32 v44, 16, v40
	v_alignbit_b32 v45, v41, v40, 16
	v_add_co_u32_e32 v40, vcc, v30, v12
	v_and_b32_e32 v46, 0xffff0000, v41
	v_addc_co_u32_e32 v41, vcc, v29, v13, vcc
	global_load_dwordx2 v[40:41], v[40:41], off
	v_and_b32_e32 v45, 0xffff0000, v45
	s_waitcnt vmcnt(0)
	v_and_b32_e32 v47, 0xffff0000, v40
	v_lshlrev_b32_e32 v48, 16, v40
	v_alignbit_b32 v49, v41, v40, 16
	v_add_co_u32_e32 v40, vcc, v22, v12
	v_and_b32_e32 v50, 0xffff0000, v41
	v_addc_co_u32_e32 v41, vcc, v21, v13, vcc
	global_load_dwordx2 v[40:41], v[40:41], off
	v_add_f32_e32 v44, v44, v48
	v_add_f32_e32 v43, v43, v47
	v_and_b32_e32 v47, 0xffff0000, v49
	v_mul_f32_e32 v44, v37, v44
	v_add_f32_e32 v45, v45, v47
	v_bfe_u32 v47, v44, 16, 1
	v_add3_u32 v47, v44, v47, s25
	v_and_b32_e32 v47, 0xffff0000, v47
	v_cmp_o_f32_e32 vcc, v44, v44
	v_mul_f32_e32 v43, v37, v43
	v_cndmask_b32_e32 v44, v42, v47, vcc
	v_bfe_u32 v47, v43, 16, 1
	v_add_f32_e32 v46, v46, v50
	v_add3_u32 v47, v43, v47, s25
	v_and_b32_e32 v47, 0xffff0000, v47
	v_cmp_o_f32_e32 vcc, v43, v43
	v_mul_f32_e32 v46, v37, v46
	v_cndmask_b32_e32 v43, v42, v47, vcc
	v_bfe_u32 v47, v46, 16, 1
	v_add3_u32 v47, v46, v47, s25
	v_and_b32_e32 v47, 0xffff0000, v47
	v_cmp_o_f32_e32 vcc, v46, v46
	v_cndmask_b32_e32 v46, v42, v47, vcc
	v_mul_f32_e32 v45, v37, v45
	v_cmp_o_f32_e32 vcc, v45, v45
	s_waitcnt vmcnt(0)
	v_and_b32_e32 v51, 0xffff0000, v40
	v_lshlrev_b32_e32 v52, 16, v40
	v_alignbit_b32 v40, v41, v40, 16
	v_and_b32_e32 v41, 0xffff0000, v41
	v_mul_f32_e32 v41, v46, v41
	v_bfe_u32 v46, v45, 16, 1
	v_add3_u32 v46, v45, v46, s25
	v_and_b32_e32 v46, 0xffff0000, v46
	v_mul_f32_e32 v43, v43, v51
	v_and_b32_e32 v40, 0xffff0000, v40
	v_cndmask_b32_e32 v45, v42, v46, vcc
	v_mul_f32_e32 v40, v45, v40
	v_bfe_u32 v45, v43, 16, 1
	v_mul_f32_e32 v44, v44, v52
	v_add3_u32 v45, v43, v45, s25
	v_cmp_o_f32_e32 vcc, v43, v43
	v_bfe_u32 v43, v40, 16, 1
	v_add3_u32 v43, v40, v43, s25
	v_cmp_o_f32_e64 s[2:3], v40, v40
	v_bfe_u32 v40, v44, 16, 1
	v_add3_u32 v40, v44, v40, s25
	v_and_b32_e32 v45, 0xffff0000, v45
	v_and_b32_e32 v40, 0xffff0000, v40
	v_cmp_o_f32_e64 s[8:9], v44, v44
	v_cndmask_b32_e64 v40, v42, |v40|, s[8:9]
	v_cndmask_b32_e64 v44, v42, |v45|, vcc
	v_max3_f32 v5, v5, v40, v44
	v_bfe_u32 v40, v41, 16, 1
	v_add3_u32 v40, v41, v40, s25
	v_and_b32_e32 v43, 0xffff0000, v43
	v_and_b32_e32 v40, 0xffff0000, v40
	v_cmp_o_f32_e32 vcc, v41, v41
	v_cndmask_b32_e64 v40, v42, |v40|, vcc
	v_cndmask_b32_e64 v41, v42, |v43|, s[2:3]
	v_max3_f32 v5, v5, v41, v40
	v_mov_b32_e32 v40, s31
	v_add_co_u32_e32 v14, vcc, s30, v14
	v_addc_co_u32_e32 v1, vcc, v1, v40, vcc
	v_add_co_u32_e32 v16, vcc, s30, v16
	v_addc_co_u32_e32 v15, vcc, v15, v40, vcc
	;; [unrolled: 2-line block ×12, first 2 shown]
	v_cmp_ge_i64_e32 vcc, v[38:39], v[10:11]
	s_orn2_b64 s[2:3], vcc, exec
	s_branch .LBB69_18
.LBB69_25:
	s_or_b64 exec, exec, s[16:17]
.LBB69_26:
	s_or_b64 exec, exec, s[28:29]
	s_lshr_b32 s7, s44, 6
	v_cvt_f32_u32_e32 v10, s7
	v_lshlrev_b32_e32 v1, 2, v0
	ds_write_b32 v1, v5
	s_sub_i32 s8, 0, s7
	v_rcp_iflag_f32_e32 v5, v10
	s_add_i32 s2, s24, s7
	s_add_i32 s2, s2, -1
	s_ashr_i32 s3, s2, 31
	v_mul_f32_e32 v5, 0x4f7ffffe, v5
	v_cvt_u32_f32_e32 v5, v5
	s_abs_i32 s2, s2
	s_ashr_i32 s25, s24, 31
	s_waitcnt lgkmcnt(0)
	v_readfirstlane_b32 s9, v5
	s_mul_i32 s8, s8, s9
	s_mul_hi_u32 s8, s9, s8
	s_add_i32 s9, s9, s8
	s_mul_hi_u32 s8, s2, s9
	s_mul_i32 s9, s8, s7
	s_sub_i32 s2, s2, s9
	s_add_i32 s9, s8, 1
	s_sub_i32 s11, s2, s7
	s_cmp_ge_u32 s2, s7
	s_cselect_b32 s8, s9, s8
	s_cselect_b32 s2, s11, s2
	s_add_i32 s9, s8, 1
	s_cmp_ge_u32 s2, s7
	s_cselect_b32 s2, s9, s8
	s_xor_b32 s2, s2, s3
	s_sub_i32 s2, s2, s3
	s_ashr_i32 s3, s2, 31
	v_cmp_lt_i64_e64 s[8:9], s[2:3], 1
	s_and_b64 vcc, exec, s[8:9]
	s_barrier
	s_cbranch_vccnz .LBB69_48
; %bb.27:
	v_and_b32_e32 v12, 63, v0
	v_add_co_u32_e32 v14, vcc, 32, v12
	v_addc_co_u32_e64 v15, s[8:9], 0, 0, vcc
	v_add_co_u32_e32 v16, vcc, 16, v12
	v_addc_co_u32_e64 v17, s[8:9], 0, 0, vcc
	;; [unrolled: 2-line block ×4, first 2 shown]
	v_add_co_u32_e32 v22, vcc, 2, v12
	v_lshrrev_b32_e32 v10, 6, v0
	v_addc_co_u32_e64 v23, s[8:9], 0, 0, vcc
	v_add_co_u32_e32 v24, vcc, 1, v12
	v_addc_co_u32_e64 v25, s[8:9], 0, 0, vcc
	v_mul_lo_u32 v5, s26, v10
	v_lshlrev_b32_e32 v5, 2, v5
	v_lshlrev_b32_e32 v26, 2, v12
	s_movk_i32 s8, 0x100
	v_mov_b32_e32 v11, 0
	v_add3_u32 v5, v5, v26, s8
	s_mul_i32 s8, s26, s7
	v_mov_b32_e32 v13, v11
	s_lshl_b32 s11, s8, 2
	s_mov_b64 s[8:9], 0
	v_mov_b32_e32 v36, s7
	s_mov_b64 s[16:17], src_shared_base
	s_branch .LBB69_30
.LBB69_28:                              ;   in Loop: Header=BB69_30 Depth=1
	s_or_b64 exec, exec, s[30:31]
	v_mov_b32_e32 v27, s17
	flat_load_dword v26, v[26:27] glc
	s_waitcnt vmcnt(0)
.LBB69_29:                              ;   in Loop: Header=BB69_30 Depth=1
	s_or_b64 exec, exec, s[28:29]
	s_add_u32 s8, s8, 1
	s_addc_u32 s9, s9, 0
	s_cmp_eq_u64 s[8:9], s[2:3]
	v_add_u32_e32 v5, s11, v5
	s_cbranch_scc1 .LBB69_48
.LBB69_30:                              ; =>This Loop Header: Depth=1
                                        ;     Child Loop BB69_33 Depth 2
	v_mad_u64_u32 v[30:31], s[28:29], s8, v36, v[10:11]
	s_mul_i32 s16, s9, s7
	v_add_u32_e32 v31, s16, v31
	v_cmp_gt_i64_e32 vcc, s[24:25], v[30:31]
	s_and_saveexec_b64 s[28:29], vcc
	s_cbranch_execz .LBB69_29
; %bb.31:                               ;   in Loop: Header=BB69_30 Depth=1
	v_pk_mov_b32 v[32:33], s[26:27], s[26:27] op_sel:[0,1]
	v_mul_lo_u32 v29, v31, s26
	v_mul_lo_u32 v38, v30, s27
	v_mad_u64_u32 v[32:33], s[30:31], v30, s26, v[32:33]
	v_add3_u32 v33, v29, v33, v38
	v_mov_b32_e32 v28, s23
	v_cmp_gt_i64_e32 vcc, s[22:23], v[32:33]
	s_waitcnt lgkmcnt(0)
	v_mad_u64_u32 v[26:27], s[30:31], v30, s26, v[12:13]
	v_cndmask_b32_e32 v33, v28, v33, vcc
	v_mov_b32_e32 v28, s22
	v_add3_u32 v27, v29, v27, v38
	v_cndmask_b32_e32 v32, v28, v32, vcc
	v_add_co_u32_e32 v34, vcc, 64, v26
	v_addc_co_u32_e32 v35, vcc, 0, v27, vcc
	v_cmp_lt_i64_e32 vcc, v[34:35], v[32:33]
	v_lshlrev_b32_e32 v28, 2, v26
	s_and_saveexec_b64 s[30:31], vcc
	s_cbranch_execz .LBB69_34
; %bb.32:                               ;   in Loop: Header=BB69_30 Depth=1
	ds_read_b32 v31, v28
	s_mov_b64 s[34:35], 0
	v_mov_b32_e32 v27, v5
.LBB69_33:                              ;   Parent Loop BB69_30 Depth=1
                                        ; =>  This Inner Loop Header: Depth=2
	ds_read_b32 v39, v27
	v_add_co_u32_e32 v34, vcc, 64, v34
	v_addc_co_u32_e32 v35, vcc, 0, v35, vcc
	s_waitcnt lgkmcnt(1)
	v_max_f32_e32 v31, v31, v31
	v_cmp_ge_i64_e32 vcc, v[34:35], v[32:33]
	s_waitcnt lgkmcnt(0)
	v_max_f32_e32 v39, v39, v39
	v_add_u32_e32 v27, 0x100, v27
	s_or_b64 s[34:35], vcc, s[34:35]
	v_max_f32_e32 v31, v31, v39
	ds_write_b32 v28, v31
	s_andn2_b64 exec, exec, s[34:35]
	s_cbranch_execnz .LBB69_33
.LBB69_34:                              ;   in Loop: Header=BB69_30 Depth=1
	s_or_b64 exec, exec, s[30:31]
	v_mad_u64_u32 v[30:31], s[30:31], v30, s26, 0
	v_add3_u32 v27, v31, v38, v29
	v_sub_co_u32_e32 v30, vcc, v32, v30
	v_subb_co_u32_e32 v31, vcc, v33, v27, vcc
	v_cmp_gt_i64_e32 vcc, 64, v[30:31]
	v_cndmask_b32_e32 v31, 0, v31, vcc
	v_cndmask_b32_e32 v30, 64, v30, vcc
	v_cmp_lt_i64_e32 vcc, v[14:15], v[30:31]
	s_and_saveexec_b64 s[30:31], vcc
	s_cbranch_execnz .LBB69_46
; %bb.35:                               ;   in Loop: Header=BB69_30 Depth=1
	s_or_b64 exec, exec, s[30:31]
	v_cmp_lt_i64_e32 vcc, v[16:17], v[30:31]
	s_and_saveexec_b64 s[30:31], vcc
	s_cbranch_execnz .LBB69_47
.LBB69_36:                              ;   in Loop: Header=BB69_30 Depth=1
	s_or_b64 exec, exec, s[30:31]
	v_cmp_lt_i64_e32 vcc, v[18:19], v[30:31]
	s_and_saveexec_b64 s[30:31], vcc
	s_cbranch_execz .LBB69_38
.LBB69_37:                              ;   in Loop: Header=BB69_30 Depth=1
	v_mov_b32_e32 v29, s17
	v_add_u32_e32 v32, 32, v28
	v_mov_b32_e32 v33, s17
	flat_load_dword v27, v[28:29] glc
	s_waitcnt vmcnt(0)
	flat_load_dword v34, v[32:33] glc
	s_waitcnt vmcnt(0) lgkmcnt(0)
	v_max_f32_e32 v27, v27, v27
	v_max_f32_e32 v32, v34, v34
	v_max_f32_e32 v27, v27, v32
	flat_store_dword v[28:29], v27
	s_waitcnt vmcnt(0)
.LBB69_38:                              ;   in Loop: Header=BB69_30 Depth=1
	s_or_b64 exec, exec, s[30:31]
	v_cmp_ge_i64_e32 vcc, v[20:21], v[30:31]
	s_and_saveexec_b64 s[30:31], vcc
	s_xor_b64 s[30:31], exec, s[30:31]
; %bb.39:                               ;   in Loop: Header=BB69_30 Depth=1
                                        ; implicit-def: $vgpr28
; %bb.40:                               ;   in Loop: Header=BB69_30 Depth=1
	s_andn2_saveexec_b64 s[30:31], s[30:31]
	s_cbranch_execz .LBB69_42
; %bb.41:                               ;   in Loop: Header=BB69_30 Depth=1
	v_mov_b32_e32 v29, s17
	v_add_u32_e32 v32, 16, v28
	v_mov_b32_e32 v33, s17
	flat_load_dword v27, v[28:29] glc
	s_waitcnt vmcnt(0)
	flat_load_dword v34, v[32:33] glc
	s_waitcnt vmcnt(0) lgkmcnt(0)
	v_max_f32_e32 v27, v27, v27
	v_max_f32_e32 v32, v34, v34
	;; [unrolled: 1-line block ×3, first 2 shown]
	flat_store_dword v[28:29], v27
	s_waitcnt vmcnt(0)
.LBB69_42:                              ;   in Loop: Header=BB69_30 Depth=1
	s_or_b64 exec, exec, s[30:31]
	v_cmp_lt_i64_e32 vcc, v[22:23], v[30:31]
	v_lshlrev_b32_e32 v26, 2, v26
	s_and_saveexec_b64 s[30:31], vcc
	s_cbranch_execz .LBB69_44
; %bb.43:                               ;   in Loop: Header=BB69_30 Depth=1
	v_mov_b32_e32 v27, s17
	v_add_u32_e32 v28, 8, v26
	v_mov_b32_e32 v29, s17
	flat_load_dword v32, v[26:27] glc
	s_waitcnt vmcnt(0)
	flat_load_dword v33, v[28:29] glc
	s_waitcnt vmcnt(0) lgkmcnt(0)
	v_max_f32_e32 v28, v32, v32
	v_max_f32_e32 v29, v33, v33
	;; [unrolled: 1-line block ×3, first 2 shown]
	flat_store_dword v[26:27], v28
	s_waitcnt vmcnt(0)
.LBB69_44:                              ;   in Loop: Header=BB69_30 Depth=1
	s_or_b64 exec, exec, s[30:31]
	v_cmp_lt_i64_e32 vcc, v[24:25], v[30:31]
	s_and_saveexec_b64 s[30:31], vcc
	s_cbranch_execz .LBB69_28
; %bb.45:                               ;   in Loop: Header=BB69_30 Depth=1
	v_mov_b32_e32 v27, s17
	v_add_u32_e32 v28, 4, v26
	v_mov_b32_e32 v29, s17
	flat_load_dword v30, v[26:27] glc
	s_waitcnt vmcnt(0)
	flat_load_dword v31, v[28:29] glc
	s_waitcnt vmcnt(0) lgkmcnt(0)
	v_max_f32_e32 v28, v30, v30
	v_max_f32_e32 v29, v31, v31
	;; [unrolled: 1-line block ×3, first 2 shown]
	flat_store_dword v[26:27], v28
	s_waitcnt vmcnt(0)
	s_branch .LBB69_28
.LBB69_46:                              ;   in Loop: Header=BB69_30 Depth=1
	v_mov_b32_e32 v29, s17
	v_add_u32_e32 v32, 0x80, v28
	v_mov_b32_e32 v33, s17
	flat_load_dword v27, v[28:29] glc
	s_waitcnt vmcnt(0)
	flat_load_dword v34, v[32:33] glc
	s_waitcnt vmcnt(0) lgkmcnt(0)
	v_max_f32_e32 v27, v27, v27
	v_max_f32_e32 v32, v34, v34
	;; [unrolled: 1-line block ×3, first 2 shown]
	flat_store_dword v[28:29], v27
	s_waitcnt vmcnt(0)
	s_or_b64 exec, exec, s[30:31]
	v_cmp_lt_i64_e32 vcc, v[16:17], v[30:31]
	s_and_saveexec_b64 s[30:31], vcc
	s_cbranch_execz .LBB69_36
.LBB69_47:                              ;   in Loop: Header=BB69_30 Depth=1
	v_mov_b32_e32 v29, s17
	v_add_u32_e32 v32, 64, v28
	v_mov_b32_e32 v33, s17
	flat_load_dword v27, v[28:29] glc
	s_waitcnt vmcnt(0)
	flat_load_dword v34, v[32:33] glc
	s_waitcnt vmcnt(0) lgkmcnt(0)
	v_max_f32_e32 v27, v27, v27
	v_max_f32_e32 v32, v34, v34
	;; [unrolled: 1-line block ×3, first 2 shown]
	flat_store_dword v[28:29], v27
	s_waitcnt vmcnt(0)
	s_or_b64 exec, exec, s[30:31]
	v_cmp_lt_i64_e32 vcc, v[18:19], v[30:31]
	s_and_saveexec_b64 s[30:31], vcc
	s_cbranch_execnz .LBB69_37
	s_branch .LBB69_38
.LBB69_48:
	v_cmp_eq_u32_e32 vcc, 0, v4
	v_cmp_lt_i64_e64 s[2:3], v[6:7], v[8:9]
	s_and_b64 s[16:17], vcc, s[2:3]
	s_mul_i32 s8, s25, s6
	s_mul_hi_u32 s9, s24, s6
	s_mul_i32 s2, s24, s6
	s_waitcnt lgkmcnt(0)
	s_barrier
	s_and_saveexec_b64 s[6:7], s[16:17]
	s_cbranch_execz .LBB69_52
; %bb.49:
	s_load_dwordx2 s[4:5], s[4:5], 0x20
	ds_read_b32 v1, v1
	s_waitcnt lgkmcnt(0)
	s_cmp_eq_u64 s[4:5], 0
	s_cbranch_scc1 .LBB69_51
; %bb.50:
	s_load_dword s3, s[4:5], 0x0
	v_max_f32_e32 v1, v1, v1
	s_waitcnt lgkmcnt(0)
	v_max_f32_e64 v4, s3, s3
	v_min_f32_e32 v1, v1, v4
.LBB69_51:
	s_mov_b32 s3, 0x43e00000
	v_div_scale_f32 v4, s[4:5], s3, s3, v1
	v_rcp_f32_e32 v5, v4
	v_div_scale_f32 v6, vcc, v1, s3, v1
	v_lshlrev_b64 v[2:3], 2, v[2:3]
	v_fma_f32 v7, -v4, v5, 1.0
	v_fmac_f32_e32 v5, v7, v5
	v_mul_f32_e32 v7, v6, v5
	v_fma_f32 v8, -v4, v7, v6
	v_fmac_f32_e32 v7, v8, v5
	v_fma_f32 v4, -v4, v7, v6
	v_div_fmas_f32 v4, v4, v5, v7
	v_div_fixup_f32 v1, v4, s3, v1
	s_add_i32 s3, s9, s8
	s_lshl_b64 s[4:5], s[2:3], 2
	s_add_u32 s3, s14, s4
	s_addc_u32 s4, s15, s5
	v_mov_b32_e32 v4, s4
	v_add_co_u32_e32 v2, vcc, s3, v2
	v_max_f32_e32 v1, 0x36924925, v1
	v_addc_co_u32_e32 v3, vcc, v4, v3, vcc
	global_store_dword v[2:3], v1, off
.LBB69_52:
	s_or_b64 exec, exec, s[6:7]
	s_barrier
	s_and_saveexec_b64 s[4:5], s[0:1]
	s_cbranch_execz .LBB69_157
; %bb.53:
	s_add_u32 s11, s12, s20
	s_addc_u32 s16, s13, s21
	s_add_i32 s3, s9, s8
	s_lshl_b64 s[0:1], s[2:3], 2
	s_add_u32 s0, s14, s0
	s_addc_u32 s1, s15, s1
	s_mul_i32 s17, s44, 3
	s_lshl_b32 s20, s44, 1
	s_mov_b64 s[2:3], 0
	v_mov_b32_e32 v10, s46
	v_mov_b32_e32 v11, s19
	;; [unrolled: 1-line block ×3, first 2 shown]
	s_movk_i32 s21, 0x7fff
	v_mov_b32_e32 v13, 0x7fc00000
	v_mov_b32_e32 v14, 0x7fc0
	s_mov_b32 s22, 0x43f00000
	s_mov_b32 s23, 0x3c7fffff
	;; [unrolled: 1-line block ×4, first 2 shown]
	s_movk_i32 s26, 0x80
	s_movk_i32 s27, 0xff
	v_mov_b32_e32 v1, 0
	s_branch .LBB69_59
.LBB69_54:                              ;   in Loop: Header=BB69_59 Depth=1
	s_or_b64 exec, exec, s[14:15]
.LBB69_55:                              ;   in Loop: Header=BB69_59 Depth=1
	s_or_b64 exec, exec, s[12:13]
	v_and_b32_sdwa v17, v17, s26 dst_sel:DWORD dst_unused:UNUSED_PAD src0_sel:BYTE_3 src1_sel:DWORD
	v_lshlrev_b64 v[8:9], 2, v[0:1]
	v_mov_b32_e32 v0, s16
	v_add_co_u32_e32 v8, vcc, s11, v8
	v_and_or_b32 v4, v4, s27, v17
	v_and_b32_sdwa v15, v15, s26 dst_sel:DWORD dst_unused:UNUSED_PAD src0_sel:BYTE_3 src1_sel:DWORD
	v_addc_co_u32_e32 v9, vcc, v0, v9, vcc
	v_lshlrev_b32_e32 v0, 24, v16
	v_and_b32_e32 v5, 0x80000000, v5
	v_lshlrev_b32_e32 v4, 16, v4
	v_lshrrev_b32_e32 v7, 24, v7
	v_or3_b32 v0, v5, v0, v4
	v_and_or_b32 v3, v3, s27, v15
	v_and_b32_e32 v4, 0xff, v6
	v_lshlrev_b32_e32 v3, 8, v3
	v_and_or_b32 v4, v7, s26, v4
	s_add_i32 s12, s44, s44
	v_or3_b32 v0, v0, v3, v4
	s_add_i32 s12, s12, s44
	global_store_dword v[8:9], v0, off
	v_add_u32_e32 v0, s12, v2
	v_cmp_le_u32_e32 vcc, s10, v0
	s_orn2_b64 s[12:13], vcc, exec
.LBB69_56:                              ;   in Loop: Header=BB69_59 Depth=1
	s_or_b64 exec, exec, s[8:9]
	s_orn2_b64 s[8:9], s[12:13], exec
.LBB69_57:                              ;   in Loop: Header=BB69_59 Depth=1
	s_or_b64 exec, exec, s[6:7]
	s_orn2_b64 s[6:7], s[8:9], exec
.LBB69_58:                              ;   in Loop: Header=BB69_59 Depth=1
	s_or_b64 exec, exec, s[4:5]
	s_and_b64 s[4:5], exec, s[6:7]
	s_or_b64 s[2:3], s[4:5], s[2:3]
	s_andn2_b64 exec, exec, s[2:3]
	s_cbranch_execz .LBB69_157
.LBB69_59:                              ; =>This Inner Loop Header: Depth=1
	v_lshlrev_b64 v[2:3], 3, v[0:1]
	v_add_co_u32_e32 v4, vcc, s33, v2
	v_addc_co_u32_e32 v5, vcc, v10, v3, vcc
	global_load_dwordx2 v[8:9], v[4:5], off
	v_add_co_u32_e32 v4, vcc, s47, v2
	v_addc_co_u32_e32 v5, vcc, v12, v3, vcc
	global_load_dwordx2 v[16:17], v[4:5], off
	;; [unrolled: 3-line block ×3, first 2 shown]
	v_lshrrev_b32_e32 v6, 3, v0
	v_and_b32_e32 v6, 0x7fffffc, v6
	global_load_dword v7, v6, s[0:1]
	v_mov_b32_e32 v6, 0x7f
	s_waitcnt vmcnt(3)
	v_and_b32_e32 v15, 0xffff0000, v8
	v_lshlrev_b32_e32 v18, 16, v8
	v_alignbit_b32 v8, v9, v8, 16
	v_and_b32_e32 v19, 0xffff0000, v9
	v_and_b32_e32 v22, 0xffff0000, v8
	s_waitcnt vmcnt(2)
	v_and_b32_e32 v9, 0xffff0000, v16
	v_lshlrev_b32_e32 v20, 16, v16
	v_alignbit_b32 v16, v17, v16, 16
	v_and_b32_e32 v17, 0xffff0000, v17
	v_add_f32_e32 v8, v19, v17
	v_add_f32_e32 v9, v15, v9
	v_bfe_u32 v19, v8, 16, 1
	v_add_f32_e32 v18, v18, v20
	v_and_b32_e32 v15, 0xffff0000, v16
	v_bfe_u32 v17, v9, 16, 1
	v_add3_u32 v19, v8, v19, s21
	v_add_f32_e32 v15, v22, v15
	v_bfe_u32 v16, v18, 16, 1
	v_add3_u32 v17, v9, v17, s21
	v_and_b32_e32 v19, 0xffff0000, v19
	v_cmp_o_f32_e32 vcc, v8, v8
	v_mul_f32_e32 v20, v37, v18
	v_add3_u32 v16, v18, v16, s21
	v_bfe_u32 v22, v15, 16, 1
	v_and_b32_e32 v17, 0xffff0000, v17
	v_cndmask_b32_e32 v19, v13, v19, vcc
	v_cmp_o_f32_e32 vcc, v9, v9
	v_bfe_u32 v23, v20, 16, 1
	v_lshrrev_b32_e32 v16, 16, v16
	v_add3_u32 v22, v15, v22, s21
	v_cndmask_b32_e32 v17, v13, v17, vcc
	v_cmp_o_f32_e32 vcc, v18, v18
	v_add3_u32 v23, v20, v23, s21
	v_lshrrev_b32_e32 v22, 16, v22
	v_cndmask_b32_e32 v16, v14, v16, vcc
	v_cmp_o_f32_e32 vcc, v15, v15
	v_and_b32_e32 v18, 0xffff0000, v23
	v_cndmask_b32_e32 v22, v14, v22, vcc
	v_cmp_o_f32_e32 vcc, v20, v20
	s_waitcnt vmcnt(1)
	v_lshlrev_b32_e32 v21, 16, v2
	v_cndmask_b32_e32 v18, v13, v18, vcc
	v_mul_f32_e32 v18, v18, v21
	v_or_b32_e32 v16, v16, v17
	v_or3_b32 v17, 0, v22, v19
	v_bfe_u32 v19, v18, 16, 1
	v_add3_u32 v19, v18, v19, s21
	v_and_b32_e32 v19, 0xffff0000, v19
	v_cmp_o_f32_e32 vcc, v18, v18
	v_cndmask_b32_e32 v18, v13, v19, vcc
	s_waitcnt vmcnt(0)
	v_div_scale_f32 v19, s[4:5], v7, v7, v18
	v_rcp_f32_e32 v20, v19
	v_or3_b32 v16, v16, 0, 0
	global_store_dwordx2 v[4:5], v[16:17], off
	v_div_scale_f32 v4, vcc, v18, v7, v18
	v_fma_f32 v5, -v19, v20, 1.0
	v_fmac_f32_e32 v20, v5, v20
	v_mul_f32_e32 v5, v4, v20
	v_fma_f32 v16, -v19, v5, v4
	v_fmac_f32_e32 v5, v16, v20
	v_fma_f32 v4, -v19, v5, v4
	v_div_fmas_f32 v4, v4, v20, v5
	v_div_fixup_f32 v4, v4, v7, v18
	v_min_f32_e32 v4, 0x43e00000, v4
	v_max_f32_e32 v5, 0xc3e00000, v4
	v_and_b32_e32 v16, 0x7fffffff, v5
	v_cmp_gt_u32_e32 vcc, s22, v16
	v_mov_b32_e32 v4, 0x7f
	s_and_saveexec_b64 s[4:5], vcc
	s_cbranch_execz .LBB69_65
; %bb.60:                               ;   in Loop: Header=BB69_59 Depth=1
	v_cmp_lt_u32_e32 vcc, s23, v16
                                        ; implicit-def: $vgpr4
	s_and_saveexec_b64 s[6:7], vcc
	s_xor_b64 s[6:7], exec, s[6:7]
; %bb.61:                               ;   in Loop: Header=BB69_59 Depth=1
	v_bfe_u32 v4, v5, 20, 1
	v_add3_u32 v4, v5, v4, s24
	v_lshrrev_b32_e32 v4, 20, v4
; %bb.62:                               ;   in Loop: Header=BB69_59 Depth=1
	s_andn2_saveexec_b64 s[6:7], s[6:7]
; %bb.63:                               ;   in Loop: Header=BB69_59 Depth=1
	v_add_f32_e64 v4, |v5|, s25
; %bb.64:                               ;   in Loop: Header=BB69_59 Depth=1
	s_or_b64 exec, exec, s[6:7]
.LBB69_65:                              ;   in Loop: Header=BB69_59 Depth=1
	s_or_b64 exec, exec, s[4:5]
	v_mul_f32_e32 v9, v37, v9
	v_bfe_u32 v17, v9, 16, 1
	v_add3_u32 v17, v9, v17, s21
	v_and_b32_e32 v17, 0xffff0000, v17
	v_cmp_o_f32_e32 vcc, v9, v9
	v_and_b32_e32 v16, 0xffff0000, v2
	v_cndmask_b32_e32 v9, v13, v17, vcc
	v_mul_f32_e32 v9, v9, v16
	v_bfe_u32 v16, v9, 16, 1
	v_add3_u32 v16, v9, v16, s21
	v_and_b32_e32 v16, 0xffff0000, v16
	v_cmp_o_f32_e32 vcc, v9, v9
	v_cndmask_b32_e32 v9, v13, v16, vcc
	v_div_scale_f32 v16, s[4:5], v7, v7, v9
	v_rcp_f32_e32 v17, v16
	v_fma_f32 v18, -v16, v17, 1.0
	v_fmac_f32_e32 v17, v18, v17
	v_div_scale_f32 v18, vcc, v9, v7, v9
	v_mul_f32_e32 v19, v18, v17
	v_fma_f32 v20, -v16, v19, v18
	v_fmac_f32_e32 v19, v20, v17
	v_fma_f32 v16, -v16, v19, v18
	v_div_fmas_f32 v16, v16, v17, v19
	v_div_fixup_f32 v9, v16, v7, v9
	v_min_f32_e32 v9, 0x43e00000, v9
	v_max_f32_e32 v9, 0xc3e00000, v9
	v_and_b32_e32 v16, 0x7fffffff, v9
	v_cmp_gt_u32_e32 vcc, s22, v16
	s_and_saveexec_b64 s[4:5], vcc
	s_cbranch_execz .LBB69_71
; %bb.66:                               ;   in Loop: Header=BB69_59 Depth=1
	v_cmp_lt_u32_e32 vcc, s23, v16
                                        ; implicit-def: $vgpr6
	s_and_saveexec_b64 s[6:7], vcc
	s_xor_b64 s[6:7], exec, s[6:7]
; %bb.67:                               ;   in Loop: Header=BB69_59 Depth=1
	v_bfe_u32 v6, v9, 20, 1
	v_add3_u32 v6, v9, v6, s24
	v_lshrrev_b32_e32 v6, 20, v6
; %bb.68:                               ;   in Loop: Header=BB69_59 Depth=1
	s_andn2_saveexec_b64 s[6:7], s[6:7]
; %bb.69:                               ;   in Loop: Header=BB69_59 Depth=1
	v_add_f32_e64 v6, |v9|, s25
; %bb.70:                               ;   in Loop: Header=BB69_59 Depth=1
	s_or_b64 exec, exec, s[6:7]
.LBB69_71:                              ;   in Loop: Header=BB69_59 Depth=1
	s_or_b64 exec, exec, s[4:5]
	v_mul_f32_e32 v15, v37, v15
	v_bfe_u32 v16, v15, 16, 1
	v_add3_u32 v16, v15, v16, s21
	v_and_b32_e32 v16, 0xffff0000, v16
	v_cmp_o_f32_e32 vcc, v15, v15
	v_alignbit_b32 v2, v3, v2, 16
	v_cndmask_b32_e32 v15, v13, v16, vcc
	v_and_b32_e32 v2, 0xffff0000, v2
	v_mul_f32_e32 v2, v15, v2
	v_bfe_u32 v15, v2, 16, 1
	v_add3_u32 v15, v2, v15, s21
	v_and_b32_e32 v15, 0xffff0000, v15
	v_cmp_o_f32_e32 vcc, v2, v2
	v_cndmask_b32_e32 v2, v13, v15, vcc
	v_div_scale_f32 v15, s[4:5], v7, v7, v2
	v_rcp_f32_e32 v16, v15
	v_fma_f32 v17, -v15, v16, 1.0
	v_fmac_f32_e32 v16, v17, v16
	v_div_scale_f32 v17, vcc, v2, v7, v2
	v_mul_f32_e32 v18, v17, v16
	v_fma_f32 v19, -v15, v18, v17
	v_fmac_f32_e32 v18, v19, v16
	v_fma_f32 v15, -v15, v18, v17
	v_div_fmas_f32 v15, v15, v16, v18
	v_div_fixup_f32 v2, v15, v7, v2
	v_min_f32_e32 v2, 0x43e00000, v2
	v_max_f32_e32 v16, 0xc3e00000, v2
	v_and_b32_e32 v17, 0x7fffffff, v16
	v_cmp_gt_u32_e32 vcc, s22, v17
	v_mov_b32_e32 v15, 0x7f
	v_mov_b32_e32 v2, 0x7f
	s_and_saveexec_b64 s[4:5], vcc
	s_cbranch_execz .LBB69_77
; %bb.72:                               ;   in Loop: Header=BB69_59 Depth=1
	v_cmp_lt_u32_e32 vcc, s23, v17
                                        ; implicit-def: $vgpr2
	s_and_saveexec_b64 s[6:7], vcc
	s_xor_b64 s[6:7], exec, s[6:7]
; %bb.73:                               ;   in Loop: Header=BB69_59 Depth=1
	v_bfe_u32 v2, v16, 20, 1
	v_add3_u32 v2, v16, v2, s24
	v_lshrrev_b32_e32 v2, 20, v2
; %bb.74:                               ;   in Loop: Header=BB69_59 Depth=1
	s_andn2_saveexec_b64 s[6:7], s[6:7]
; %bb.75:                               ;   in Loop: Header=BB69_59 Depth=1
	v_add_f32_e64 v2, |v16|, s25
; %bb.76:                               ;   in Loop: Header=BB69_59 Depth=1
	s_or_b64 exec, exec, s[6:7]
.LBB69_77:                              ;   in Loop: Header=BB69_59 Depth=1
	s_or_b64 exec, exec, s[4:5]
	v_mul_f32_e32 v8, v37, v8
	v_bfe_u32 v17, v8, 16, 1
	v_add3_u32 v17, v8, v17, s21
	v_and_b32_e32 v17, 0xffff0000, v17
	v_cmp_o_f32_e32 vcc, v8, v8
	v_cndmask_b32_e32 v8, v13, v17, vcc
	v_and_b32_e32 v3, 0xffff0000, v3
	v_mul_f32_e32 v3, v8, v3
	v_bfe_u32 v8, v3, 16, 1
	v_add3_u32 v8, v3, v8, s21
	v_and_b32_e32 v8, 0xffff0000, v8
	v_cmp_o_f32_e32 vcc, v3, v3
	v_cndmask_b32_e32 v3, v13, v8, vcc
	v_div_scale_f32 v8, s[4:5], v7, v7, v3
	v_rcp_f32_e32 v17, v8
	v_fma_f32 v18, -v8, v17, 1.0
	v_fmac_f32_e32 v17, v18, v17
	v_div_scale_f32 v18, vcc, v3, v7, v3
	v_mul_f32_e32 v19, v18, v17
	v_fma_f32 v20, -v8, v19, v18
	v_fmac_f32_e32 v19, v20, v17
	v_fma_f32 v8, -v8, v19, v18
	v_div_fmas_f32 v8, v8, v17, v19
	v_div_fixup_f32 v3, v8, v7, v3
	v_min_f32_e32 v3, 0x43e00000, v3
	v_max_f32_e32 v3, 0xc3e00000, v3
	v_and_b32_e32 v7, 0x7fffffff, v3
	v_cmp_gt_u32_e32 vcc, s22, v7
	s_and_saveexec_b64 s[4:5], vcc
	s_cbranch_execz .LBB69_83
; %bb.78:                               ;   in Loop: Header=BB69_59 Depth=1
	v_cmp_lt_u32_e32 vcc, s23, v7
                                        ; implicit-def: $vgpr15
	s_and_saveexec_b64 s[6:7], vcc
	s_xor_b64 s[6:7], exec, s[6:7]
; %bb.79:                               ;   in Loop: Header=BB69_59 Depth=1
	v_bfe_u32 v7, v3, 20, 1
	v_add3_u32 v7, v3, v7, s24
	v_lshrrev_b32_e32 v15, 20, v7
; %bb.80:                               ;   in Loop: Header=BB69_59 Depth=1
	s_andn2_saveexec_b64 s[6:7], s[6:7]
; %bb.81:                               ;   in Loop: Header=BB69_59 Depth=1
	v_add_f32_e64 v15, |v3|, s25
; %bb.82:                               ;   in Loop: Header=BB69_59 Depth=1
	s_or_b64 exec, exec, s[6:7]
.LBB69_83:                              ;   in Loop: Header=BB69_59 Depth=1
	s_or_b64 exec, exec, s[4:5]
	v_and_b32_sdwa v7, v16, s26 dst_sel:DWORD dst_unused:UNUSED_PAD src0_sel:BYTE_3 src1_sel:DWORD
	v_and_or_b32 v2, v2, s27, v7
	v_and_b32_sdwa v16, v9, s26 dst_sel:DWORD dst_unused:UNUSED_PAD src0_sel:BYTE_3 src1_sel:DWORD
	v_lshlrev_b32_e32 v15, 24, v15
	v_and_b32_e32 v3, 0x80000000, v3
	v_lshlrev_b32_e32 v2, 16, v2
	v_lshrrev_b32_e32 v5, 24, v5
	v_lshlrev_b64 v[8:9], 2, v[0:1]
	v_or3_b32 v2, v3, v15, v2
	v_and_or_b32 v3, v6, s27, v16
	v_and_b32_e32 v4, 0xff, v4
	v_mov_b32_e32 v17, s16
	v_add_co_u32_e32 v8, vcc, s11, v8
	v_lshlrev_b32_e32 v3, 8, v3
	v_and_or_b32 v4, v5, s26, v4
	v_addc_co_u32_e32 v9, vcc, v17, v9, vcc
	v_or3_b32 v2, v2, v3, v4
	global_store_dword v[8:9], v2, off
	v_add_u32_e32 v2, s44, v0
	v_cmp_gt_u32_e32 vcc, s10, v2
	s_mov_b64 s[6:7], -1
	s_and_saveexec_b64 s[4:5], vcc
	s_cbranch_execz .LBB69_58
; %bb.84:                               ;   in Loop: Header=BB69_59 Depth=1
	v_mov_b32_e32 v3, v1
	v_lshlrev_b64 v[4:5], 3, v[2:3]
	v_mov_b32_e32 v7, s46
	v_add_co_u32_e32 v6, vcc, s33, v4
	v_addc_co_u32_e32 v7, vcc, v7, v5, vcc
	global_load_dwordx2 v[16:17], v[6:7], off
	v_mov_b32_e32 v7, s48
	v_add_co_u32_e32 v6, vcc, s47, v4
	v_addc_co_u32_e32 v7, vcc, v7, v5, vcc
	global_load_dwordx2 v[18:19], v[6:7], off
	;; [unrolled: 4-line block ×3, first 2 shown]
	v_lshrrev_b32_e32 v8, 3, v2
	v_and_b32_e32 v8, 0x7fffffc, v8
	global_load_dword v9, v8, s[0:1]
	v_mov_b32_e32 v8, 0x7f
	s_waitcnt vmcnt(3)
	v_and_b32_e32 v15, 0xffff0000, v16
	v_lshlrev_b32_e32 v20, 16, v16
	v_alignbit_b32 v16, v17, v16, 16
	v_and_b32_e32 v17, 0xffff0000, v17
	v_and_b32_e32 v24, 0xffff0000, v16
	s_waitcnt vmcnt(2)
	v_and_b32_e32 v21, 0xffff0000, v18
	v_lshlrev_b32_e32 v22, 16, v18
	v_alignbit_b32 v18, v19, v18, 16
	v_and_b32_e32 v19, 0xffff0000, v19
	v_add_f32_e32 v16, v15, v21
	v_add_f32_e32 v15, v17, v19
	v_bfe_u32 v21, v15, 16, 1
	v_add_f32_e32 v20, v20, v22
	v_and_b32_e32 v18, 0xffff0000, v18
	v_bfe_u32 v19, v16, 16, 1
	v_add3_u32 v21, v15, v21, s21
	v_add_f32_e32 v17, v24, v18
	v_bfe_u32 v18, v20, 16, 1
	v_add3_u32 v19, v16, v19, s21
	v_and_b32_e32 v21, 0xffff0000, v21
	v_cmp_o_f32_e32 vcc, v15, v15
	v_mul_f32_e32 v22, v37, v20
	v_add3_u32 v18, v20, v18, s21
	v_bfe_u32 v24, v17, 16, 1
	v_and_b32_e32 v19, 0xffff0000, v19
	v_cndmask_b32_e32 v21, v13, v21, vcc
	v_cmp_o_f32_e32 vcc, v16, v16
	v_bfe_u32 v25, v22, 16, 1
	v_lshrrev_b32_e32 v18, 16, v18
	v_add3_u32 v24, v17, v24, s21
	v_cndmask_b32_e32 v19, v13, v19, vcc
	v_cmp_o_f32_e32 vcc, v20, v20
	v_add3_u32 v25, v22, v25, s21
	v_lshrrev_b32_e32 v24, 16, v24
	v_cndmask_b32_e32 v18, v14, v18, vcc
	v_cmp_o_f32_e32 vcc, v17, v17
	v_and_b32_e32 v20, 0xffff0000, v25
	v_cndmask_b32_e32 v24, v14, v24, vcc
	v_cmp_o_f32_e32 vcc, v22, v22
	s_waitcnt vmcnt(1)
	v_lshlrev_b32_e32 v23, 16, v4
	v_cndmask_b32_e32 v20, v13, v20, vcc
	v_mul_f32_e32 v20, v20, v23
	v_or_b32_e32 v18, v18, v19
	v_or3_b32 v19, 0, v24, v21
	v_bfe_u32 v21, v20, 16, 1
	v_add3_u32 v21, v20, v21, s21
	v_and_b32_e32 v21, 0xffff0000, v21
	v_cmp_o_f32_e32 vcc, v20, v20
	v_cndmask_b32_e32 v20, v13, v21, vcc
	s_waitcnt vmcnt(0)
	v_div_scale_f32 v21, s[6:7], v9, v9, v20
	v_rcp_f32_e32 v22, v21
	v_or3_b32 v18, v18, 0, 0
	global_store_dwordx2 v[6:7], v[18:19], off
	v_div_scale_f32 v6, vcc, v20, v9, v20
	v_fma_f32 v7, -v21, v22, 1.0
	v_fmac_f32_e32 v22, v7, v22
	v_mul_f32_e32 v7, v6, v22
	v_fma_f32 v18, -v21, v7, v6
	v_fmac_f32_e32 v7, v18, v22
	v_fma_f32 v6, -v21, v7, v6
	v_div_fmas_f32 v6, v6, v22, v7
	v_div_fixup_f32 v6, v6, v9, v20
	v_min_f32_e32 v6, 0x43e00000, v6
	v_max_f32_e32 v7, 0xc3e00000, v6
	v_and_b32_e32 v18, 0x7fffffff, v7
	v_cmp_gt_u32_e32 vcc, s22, v18
	v_mov_b32_e32 v6, 0x7f
	s_and_saveexec_b64 s[6:7], vcc
	s_cbranch_execz .LBB69_90
; %bb.85:                               ;   in Loop: Header=BB69_59 Depth=1
	v_cmp_lt_u32_e32 vcc, s23, v18
                                        ; implicit-def: $vgpr6
	s_and_saveexec_b64 s[8:9], vcc
	s_xor_b64 s[8:9], exec, s[8:9]
; %bb.86:                               ;   in Loop: Header=BB69_59 Depth=1
	v_bfe_u32 v6, v7, 20, 1
	v_add3_u32 v6, v7, v6, s24
	v_lshrrev_b32_e32 v6, 20, v6
; %bb.87:                               ;   in Loop: Header=BB69_59 Depth=1
	s_andn2_saveexec_b64 s[8:9], s[8:9]
; %bb.88:                               ;   in Loop: Header=BB69_59 Depth=1
	v_add_f32_e64 v6, |v7|, s25
; %bb.89:                               ;   in Loop: Header=BB69_59 Depth=1
	s_or_b64 exec, exec, s[8:9]
.LBB69_90:                              ;   in Loop: Header=BB69_59 Depth=1
	s_or_b64 exec, exec, s[6:7]
	v_mul_f32_e32 v16, v37, v16
	v_bfe_u32 v19, v16, 16, 1
	v_add3_u32 v19, v16, v19, s21
	v_and_b32_e32 v19, 0xffff0000, v19
	v_cmp_o_f32_e32 vcc, v16, v16
	v_and_b32_e32 v18, 0xffff0000, v4
	v_cndmask_b32_e32 v16, v13, v19, vcc
	v_mul_f32_e32 v16, v16, v18
	v_bfe_u32 v18, v16, 16, 1
	v_add3_u32 v18, v16, v18, s21
	v_and_b32_e32 v18, 0xffff0000, v18
	v_cmp_o_f32_e32 vcc, v16, v16
	v_cndmask_b32_e32 v16, v13, v18, vcc
	v_div_scale_f32 v18, s[6:7], v9, v9, v16
	v_rcp_f32_e32 v19, v18
	v_fma_f32 v20, -v18, v19, 1.0
	v_fmac_f32_e32 v19, v20, v19
	v_div_scale_f32 v20, vcc, v16, v9, v16
	v_mul_f32_e32 v21, v20, v19
	v_fma_f32 v22, -v18, v21, v20
	v_fmac_f32_e32 v21, v22, v19
	v_fma_f32 v18, -v18, v21, v20
	v_div_fmas_f32 v18, v18, v19, v21
	v_div_fixup_f32 v16, v18, v9, v16
	v_min_f32_e32 v16, 0x43e00000, v16
	v_max_f32_e32 v16, 0xc3e00000, v16
	v_and_b32_e32 v18, 0x7fffffff, v16
	v_cmp_gt_u32_e32 vcc, s22, v18
	s_and_saveexec_b64 s[6:7], vcc
	s_cbranch_execz .LBB69_96
; %bb.91:                               ;   in Loop: Header=BB69_59 Depth=1
	v_cmp_lt_u32_e32 vcc, s23, v18
                                        ; implicit-def: $vgpr8
	s_and_saveexec_b64 s[8:9], vcc
	s_xor_b64 s[8:9], exec, s[8:9]
; %bb.92:                               ;   in Loop: Header=BB69_59 Depth=1
	v_bfe_u32 v8, v16, 20, 1
	v_add3_u32 v8, v16, v8, s24
	v_lshrrev_b32_e32 v8, 20, v8
; %bb.93:                               ;   in Loop: Header=BB69_59 Depth=1
	s_andn2_saveexec_b64 s[8:9], s[8:9]
; %bb.94:                               ;   in Loop: Header=BB69_59 Depth=1
	v_add_f32_e64 v8, |v16|, s25
; %bb.95:                               ;   in Loop: Header=BB69_59 Depth=1
	s_or_b64 exec, exec, s[8:9]
.LBB69_96:                              ;   in Loop: Header=BB69_59 Depth=1
	s_or_b64 exec, exec, s[6:7]
	v_mul_f32_e32 v17, v37, v17
	v_bfe_u32 v18, v17, 16, 1
	v_add3_u32 v18, v17, v18, s21
	v_and_b32_e32 v18, 0xffff0000, v18
	v_cmp_o_f32_e32 vcc, v17, v17
	v_alignbit_b32 v4, v5, v4, 16
	v_cndmask_b32_e32 v17, v13, v18, vcc
	v_and_b32_e32 v4, 0xffff0000, v4
	v_mul_f32_e32 v4, v17, v4
	v_bfe_u32 v17, v4, 16, 1
	v_add3_u32 v17, v4, v17, s21
	v_and_b32_e32 v17, 0xffff0000, v17
	v_cmp_o_f32_e32 vcc, v4, v4
	v_cndmask_b32_e32 v4, v13, v17, vcc
	v_div_scale_f32 v17, s[6:7], v9, v9, v4
	v_rcp_f32_e32 v18, v17
	v_fma_f32 v19, -v17, v18, 1.0
	v_fmac_f32_e32 v18, v19, v18
	v_div_scale_f32 v19, vcc, v4, v9, v4
	v_mul_f32_e32 v20, v19, v18
	v_fma_f32 v21, -v17, v20, v19
	v_fmac_f32_e32 v20, v21, v18
	v_fma_f32 v17, -v17, v20, v19
	v_div_fmas_f32 v17, v17, v18, v20
	v_div_fixup_f32 v4, v17, v9, v4
	v_min_f32_e32 v4, 0x43e00000, v4
	v_max_f32_e32 v18, 0xc3e00000, v4
	v_and_b32_e32 v19, 0x7fffffff, v18
	v_cmp_gt_u32_e32 vcc, s22, v19
	v_mov_b32_e32 v17, 0x7f
	v_mov_b32_e32 v4, 0x7f
	s_and_saveexec_b64 s[6:7], vcc
	s_cbranch_execz .LBB69_102
; %bb.97:                               ;   in Loop: Header=BB69_59 Depth=1
	v_cmp_lt_u32_e32 vcc, s23, v19
                                        ; implicit-def: $vgpr4
	s_and_saveexec_b64 s[8:9], vcc
	s_xor_b64 s[8:9], exec, s[8:9]
; %bb.98:                               ;   in Loop: Header=BB69_59 Depth=1
	v_bfe_u32 v4, v18, 20, 1
	v_add3_u32 v4, v18, v4, s24
	v_lshrrev_b32_e32 v4, 20, v4
; %bb.99:                               ;   in Loop: Header=BB69_59 Depth=1
	s_andn2_saveexec_b64 s[8:9], s[8:9]
; %bb.100:                              ;   in Loop: Header=BB69_59 Depth=1
	v_add_f32_e64 v4, |v18|, s25
; %bb.101:                              ;   in Loop: Header=BB69_59 Depth=1
	s_or_b64 exec, exec, s[8:9]
.LBB69_102:                             ;   in Loop: Header=BB69_59 Depth=1
	s_or_b64 exec, exec, s[6:7]
	v_mul_f32_e32 v15, v37, v15
	v_bfe_u32 v19, v15, 16, 1
	v_add3_u32 v19, v15, v19, s21
	v_and_b32_e32 v19, 0xffff0000, v19
	v_cmp_o_f32_e32 vcc, v15, v15
	v_cndmask_b32_e32 v15, v13, v19, vcc
	v_and_b32_e32 v5, 0xffff0000, v5
	v_mul_f32_e32 v5, v15, v5
	v_bfe_u32 v15, v5, 16, 1
	v_add3_u32 v15, v5, v15, s21
	v_and_b32_e32 v15, 0xffff0000, v15
	v_cmp_o_f32_e32 vcc, v5, v5
	v_cndmask_b32_e32 v5, v13, v15, vcc
	v_div_scale_f32 v15, s[6:7], v9, v9, v5
	v_rcp_f32_e32 v19, v15
	v_fma_f32 v20, -v15, v19, 1.0
	v_fmac_f32_e32 v19, v20, v19
	v_div_scale_f32 v20, vcc, v5, v9, v5
	v_mul_f32_e32 v21, v20, v19
	v_fma_f32 v22, -v15, v21, v20
	v_fmac_f32_e32 v21, v22, v19
	v_fma_f32 v15, -v15, v21, v20
	v_div_fmas_f32 v15, v15, v19, v21
	v_div_fixup_f32 v5, v15, v9, v5
	v_min_f32_e32 v5, 0x43e00000, v5
	v_max_f32_e32 v5, 0xc3e00000, v5
	v_and_b32_e32 v9, 0x7fffffff, v5
	v_cmp_gt_u32_e32 vcc, s22, v9
	s_and_saveexec_b64 s[6:7], vcc
	s_cbranch_execz .LBB69_108
; %bb.103:                              ;   in Loop: Header=BB69_59 Depth=1
	v_cmp_lt_u32_e32 vcc, s23, v9
                                        ; implicit-def: $vgpr17
	s_and_saveexec_b64 s[8:9], vcc
	s_xor_b64 s[8:9], exec, s[8:9]
; %bb.104:                              ;   in Loop: Header=BB69_59 Depth=1
	v_bfe_u32 v9, v5, 20, 1
	v_add3_u32 v9, v5, v9, s24
	v_lshrrev_b32_e32 v17, 20, v9
; %bb.105:                              ;   in Loop: Header=BB69_59 Depth=1
	s_andn2_saveexec_b64 s[8:9], s[8:9]
; %bb.106:                              ;   in Loop: Header=BB69_59 Depth=1
	v_add_f32_e64 v17, |v5|, s25
; %bb.107:                              ;   in Loop: Header=BB69_59 Depth=1
	s_or_b64 exec, exec, s[8:9]
.LBB69_108:                             ;   in Loop: Header=BB69_59 Depth=1
	s_or_b64 exec, exec, s[6:7]
	v_and_b32_sdwa v9, v18, s26 dst_sel:DWORD dst_unused:UNUSED_PAD src0_sel:BYTE_3 src1_sel:DWORD
	v_lshlrev_b64 v[18:19], 2, v[2:3]
	v_mov_b32_e32 v3, s16
	v_add_co_u32_e32 v18, vcc, s11, v18
	v_and_or_b32 v4, v4, s27, v9
	v_and_b32_sdwa v15, v16, s26 dst_sel:DWORD dst_unused:UNUSED_PAD src0_sel:BYTE_3 src1_sel:DWORD
	v_addc_co_u32_e32 v19, vcc, v3, v19, vcc
	v_lshlrev_b32_e32 v3, 24, v17
	v_and_b32_e32 v5, 0x80000000, v5
	v_lshlrev_b32_e32 v4, 16, v4
	v_lshrrev_b32_e32 v7, 24, v7
	v_or3_b32 v3, v5, v3, v4
	v_and_or_b32 v4, v8, s27, v15
	v_and_b32_e32 v5, 0xff, v6
	v_lshlrev_b32_e32 v4, 8, v4
	v_and_or_b32 v5, v7, s26, v5
	v_or3_b32 v3, v3, v4, v5
	v_add_u32_e32 v4, s20, v0
	v_cmp_gt_u32_e32 vcc, s10, v4
	s_mov_b64 s[8:9], -1
	global_store_dword v[18:19], v3, off
	s_and_saveexec_b64 s[6:7], vcc
	s_cbranch_execz .LBB69_57
; %bb.109:                              ;   in Loop: Header=BB69_59 Depth=1
	v_mov_b32_e32 v5, v1
	v_lshlrev_b64 v[6:7], 3, v[4:5]
	v_mov_b32_e32 v3, s46
	v_add_co_u32_e32 v8, vcc, s33, v6
	v_addc_co_u32_e32 v9, vcc, v3, v7, vcc
	global_load_dwordx2 v[16:17], v[8:9], off
	v_mov_b32_e32 v9, s48
	v_add_co_u32_e32 v8, vcc, s47, v6
	v_addc_co_u32_e32 v9, vcc, v9, v7, vcc
	global_load_dwordx2 v[18:19], v[8:9], off
	;; [unrolled: 4-line block ×3, first 2 shown]
	v_lshrrev_b32_e32 v3, 3, v4
	v_and_b32_e32 v3, 0x7fffffc, v3
	global_load_dword v15, v3, s[0:1]
	v_mov_b32_e32 v3, 0x7f
	s_waitcnt vmcnt(3)
	v_and_b32_e32 v20, 0xffff0000, v16
	v_lshlrev_b32_e32 v21, 16, v16
	v_alignbit_b32 v16, v17, v16, 16
	v_and_b32_e32 v22, 0xffff0000, v17
	v_and_b32_e32 v25, 0xffff0000, v16
	s_waitcnt vmcnt(2)
	v_and_b32_e32 v17, 0xffff0000, v18
	v_lshlrev_b32_e32 v23, 16, v18
	v_alignbit_b32 v18, v19, v18, 16
	v_and_b32_e32 v19, 0xffff0000, v19
	v_add_f32_e32 v16, v22, v19
	v_add_f32_e32 v17, v20, v17
	v_bfe_u32 v22, v16, 16, 1
	v_add_f32_e32 v21, v21, v23
	v_and_b32_e32 v18, 0xffff0000, v18
	v_bfe_u32 v20, v17, 16, 1
	v_add3_u32 v22, v16, v22, s21
	v_add_f32_e32 v18, v25, v18
	v_bfe_u32 v19, v21, 16, 1
	v_add3_u32 v20, v17, v20, s21
	v_and_b32_e32 v22, 0xffff0000, v22
	v_cmp_o_f32_e32 vcc, v16, v16
	v_mul_f32_e32 v23, v37, v21
	v_add3_u32 v19, v21, v19, s21
	v_bfe_u32 v25, v18, 16, 1
	v_and_b32_e32 v20, 0xffff0000, v20
	v_cndmask_b32_e32 v22, v13, v22, vcc
	v_cmp_o_f32_e32 vcc, v17, v17
	v_bfe_u32 v26, v23, 16, 1
	v_lshrrev_b32_e32 v19, 16, v19
	v_add3_u32 v25, v18, v25, s21
	v_cndmask_b32_e32 v20, v13, v20, vcc
	v_cmp_o_f32_e32 vcc, v21, v21
	v_add3_u32 v26, v23, v26, s21
	v_lshrrev_b32_e32 v25, 16, v25
	v_cndmask_b32_e32 v19, v14, v19, vcc
	v_cmp_o_f32_e32 vcc, v18, v18
	v_and_b32_e32 v21, 0xffff0000, v26
	v_cndmask_b32_e32 v25, v14, v25, vcc
	v_cmp_o_f32_e32 vcc, v23, v23
	s_waitcnt vmcnt(1)
	v_lshlrev_b32_e32 v24, 16, v6
	v_or_b32_e32 v19, v19, v20
	v_cndmask_b32_e32 v23, v13, v21, vcc
	v_or3_b32 v20, v19, 0, 0
	v_mul_f32_e32 v19, v23, v24
	v_or3_b32 v21, 0, v25, v22
	v_bfe_u32 v22, v19, 16, 1
	v_add3_u32 v22, v19, v22, s21
	v_and_b32_e32 v22, 0xffff0000, v22
	v_cmp_o_f32_e32 vcc, v19, v19
	v_cndmask_b32_e32 v19, v13, v22, vcc
	s_waitcnt vmcnt(0)
	v_div_scale_f32 v22, s[8:9], v15, v15, v19
	v_rcp_f32_e32 v23, v22
	global_store_dwordx2 v[8:9], v[20:21], off
	v_div_scale_f32 v8, vcc, v19, v15, v19
	v_fma_f32 v9, -v22, v23, 1.0
	v_fmac_f32_e32 v23, v9, v23
	v_mul_f32_e32 v9, v8, v23
	v_fma_f32 v20, -v22, v9, v8
	v_fmac_f32_e32 v9, v20, v23
	v_fma_f32 v8, -v22, v9, v8
	v_div_fmas_f32 v8, v8, v23, v9
	v_div_fixup_f32 v8, v8, v15, v19
	v_min_f32_e32 v8, 0x43e00000, v8
	v_max_f32_e32 v9, 0xc3e00000, v8
	v_and_b32_e32 v19, 0x7fffffff, v9
	v_cmp_gt_u32_e32 vcc, s22, v19
	v_mov_b32_e32 v8, 0x7f
	s_and_saveexec_b64 s[8:9], vcc
	s_cbranch_execz .LBB69_115
; %bb.110:                              ;   in Loop: Header=BB69_59 Depth=1
	v_cmp_lt_u32_e32 vcc, s23, v19
                                        ; implicit-def: $vgpr8
	s_and_saveexec_b64 s[12:13], vcc
	s_xor_b64 s[12:13], exec, s[12:13]
; %bb.111:                              ;   in Loop: Header=BB69_59 Depth=1
	v_bfe_u32 v8, v9, 20, 1
	v_add3_u32 v8, v9, v8, s24
	v_lshrrev_b32_e32 v8, 20, v8
; %bb.112:                              ;   in Loop: Header=BB69_59 Depth=1
	s_andn2_saveexec_b64 s[12:13], s[12:13]
; %bb.113:                              ;   in Loop: Header=BB69_59 Depth=1
	v_add_f32_e64 v8, |v9|, s25
; %bb.114:                              ;   in Loop: Header=BB69_59 Depth=1
	s_or_b64 exec, exec, s[12:13]
.LBB69_115:                             ;   in Loop: Header=BB69_59 Depth=1
	s_or_b64 exec, exec, s[8:9]
	v_mul_f32_e32 v17, v37, v17
	v_bfe_u32 v20, v17, 16, 1
	v_add3_u32 v20, v17, v20, s21
	v_and_b32_e32 v20, 0xffff0000, v20
	v_cmp_o_f32_e32 vcc, v17, v17
	v_and_b32_e32 v19, 0xffff0000, v6
	v_cndmask_b32_e32 v17, v13, v20, vcc
	v_mul_f32_e32 v17, v17, v19
	v_bfe_u32 v19, v17, 16, 1
	v_add3_u32 v19, v17, v19, s21
	v_and_b32_e32 v19, 0xffff0000, v19
	v_cmp_o_f32_e32 vcc, v17, v17
	v_cndmask_b32_e32 v17, v13, v19, vcc
	v_div_scale_f32 v19, s[8:9], v15, v15, v17
	v_rcp_f32_e32 v20, v19
	v_fma_f32 v21, -v19, v20, 1.0
	v_fmac_f32_e32 v20, v21, v20
	v_div_scale_f32 v21, vcc, v17, v15, v17
	v_mul_f32_e32 v22, v21, v20
	v_fma_f32 v23, -v19, v22, v21
	v_fmac_f32_e32 v22, v23, v20
	v_fma_f32 v19, -v19, v22, v21
	v_div_fmas_f32 v19, v19, v20, v22
	v_div_fixup_f32 v17, v19, v15, v17
	v_min_f32_e32 v17, 0x43e00000, v17
	v_max_f32_e32 v17, 0xc3e00000, v17
	v_and_b32_e32 v19, 0x7fffffff, v17
	v_cmp_gt_u32_e32 vcc, s22, v19
	s_and_saveexec_b64 s[8:9], vcc
	s_cbranch_execz .LBB69_121
; %bb.116:                              ;   in Loop: Header=BB69_59 Depth=1
	v_cmp_lt_u32_e32 vcc, s23, v19
                                        ; implicit-def: $vgpr3
	s_and_saveexec_b64 s[12:13], vcc
	s_xor_b64 s[12:13], exec, s[12:13]
; %bb.117:                              ;   in Loop: Header=BB69_59 Depth=1
	v_bfe_u32 v3, v17, 20, 1
	v_add3_u32 v3, v17, v3, s24
	v_lshrrev_b32_e32 v3, 20, v3
; %bb.118:                              ;   in Loop: Header=BB69_59 Depth=1
	s_andn2_saveexec_b64 s[12:13], s[12:13]
; %bb.119:                              ;   in Loop: Header=BB69_59 Depth=1
	v_add_f32_e64 v3, |v17|, s25
; %bb.120:                              ;   in Loop: Header=BB69_59 Depth=1
	s_or_b64 exec, exec, s[12:13]
.LBB69_121:                             ;   in Loop: Header=BB69_59 Depth=1
	s_or_b64 exec, exec, s[8:9]
	v_mul_f32_e32 v18, v37, v18
	v_bfe_u32 v19, v18, 16, 1
	v_add3_u32 v19, v18, v19, s21
	v_and_b32_e32 v19, 0xffff0000, v19
	v_cmp_o_f32_e32 vcc, v18, v18
	v_alignbit_b32 v6, v7, v6, 16
	v_cndmask_b32_e32 v18, v13, v19, vcc
	v_and_b32_e32 v6, 0xffff0000, v6
	v_mul_f32_e32 v6, v18, v6
	v_bfe_u32 v18, v6, 16, 1
	v_add3_u32 v18, v6, v18, s21
	v_and_b32_e32 v18, 0xffff0000, v18
	v_cmp_o_f32_e32 vcc, v6, v6
	v_cndmask_b32_e32 v6, v13, v18, vcc
	v_div_scale_f32 v18, s[8:9], v15, v15, v6
	v_rcp_f32_e32 v19, v18
	v_fma_f32 v20, -v18, v19, 1.0
	v_fmac_f32_e32 v19, v20, v19
	v_div_scale_f32 v20, vcc, v6, v15, v6
	v_mul_f32_e32 v21, v20, v19
	v_fma_f32 v22, -v18, v21, v20
	v_fmac_f32_e32 v21, v22, v19
	v_fma_f32 v18, -v18, v21, v20
	v_div_fmas_f32 v18, v18, v19, v21
	v_div_fixup_f32 v6, v18, v15, v6
	v_min_f32_e32 v6, 0x43e00000, v6
	v_max_f32_e32 v19, 0xc3e00000, v6
	v_and_b32_e32 v20, 0x7fffffff, v19
	v_cmp_gt_u32_e32 vcc, s22, v20
	v_mov_b32_e32 v18, 0x7f
	v_mov_b32_e32 v6, 0x7f
	s_and_saveexec_b64 s[8:9], vcc
	s_cbranch_execz .LBB69_127
; %bb.122:                              ;   in Loop: Header=BB69_59 Depth=1
	v_cmp_lt_u32_e32 vcc, s23, v20
                                        ; implicit-def: $vgpr6
	s_and_saveexec_b64 s[12:13], vcc
	s_xor_b64 s[12:13], exec, s[12:13]
; %bb.123:                              ;   in Loop: Header=BB69_59 Depth=1
	v_bfe_u32 v6, v19, 20, 1
	v_add3_u32 v6, v19, v6, s24
	v_lshrrev_b32_e32 v6, 20, v6
; %bb.124:                              ;   in Loop: Header=BB69_59 Depth=1
	s_andn2_saveexec_b64 s[12:13], s[12:13]
; %bb.125:                              ;   in Loop: Header=BB69_59 Depth=1
	v_add_f32_e64 v6, |v19|, s25
; %bb.126:                              ;   in Loop: Header=BB69_59 Depth=1
	s_or_b64 exec, exec, s[12:13]
.LBB69_127:                             ;   in Loop: Header=BB69_59 Depth=1
	s_or_b64 exec, exec, s[8:9]
	v_mul_f32_e32 v16, v37, v16
	v_bfe_u32 v20, v16, 16, 1
	v_add3_u32 v20, v16, v20, s21
	v_and_b32_e32 v20, 0xffff0000, v20
	v_cmp_o_f32_e32 vcc, v16, v16
	v_cndmask_b32_e32 v16, v13, v20, vcc
	v_and_b32_e32 v7, 0xffff0000, v7
	v_mul_f32_e32 v7, v16, v7
	v_bfe_u32 v16, v7, 16, 1
	v_add3_u32 v16, v7, v16, s21
	v_and_b32_e32 v16, 0xffff0000, v16
	v_cmp_o_f32_e32 vcc, v7, v7
	v_cndmask_b32_e32 v7, v13, v16, vcc
	v_div_scale_f32 v16, s[8:9], v15, v15, v7
	v_rcp_f32_e32 v20, v16
	v_fma_f32 v21, -v16, v20, 1.0
	v_fmac_f32_e32 v20, v21, v20
	v_div_scale_f32 v21, vcc, v7, v15, v7
	v_mul_f32_e32 v22, v21, v20
	v_fma_f32 v23, -v16, v22, v21
	v_fmac_f32_e32 v22, v23, v20
	v_fma_f32 v16, -v16, v22, v21
	v_div_fmas_f32 v16, v16, v20, v22
	v_div_fixup_f32 v7, v16, v15, v7
	v_min_f32_e32 v7, 0x43e00000, v7
	v_max_f32_e32 v7, 0xc3e00000, v7
	v_and_b32_e32 v15, 0x7fffffff, v7
	v_cmp_gt_u32_e32 vcc, s22, v15
	s_and_saveexec_b64 s[8:9], vcc
	s_cbranch_execz .LBB69_133
; %bb.128:                              ;   in Loop: Header=BB69_59 Depth=1
	v_cmp_lt_u32_e32 vcc, s23, v15
                                        ; implicit-def: $vgpr18
	s_and_saveexec_b64 s[12:13], vcc
	s_xor_b64 s[12:13], exec, s[12:13]
; %bb.129:                              ;   in Loop: Header=BB69_59 Depth=1
	v_bfe_u32 v15, v7, 20, 1
	v_add3_u32 v15, v7, v15, s24
	v_lshrrev_b32_e32 v18, 20, v15
; %bb.130:                              ;   in Loop: Header=BB69_59 Depth=1
	s_andn2_saveexec_b64 s[12:13], s[12:13]
; %bb.131:                              ;   in Loop: Header=BB69_59 Depth=1
	v_add_f32_e64 v18, |v7|, s25
; %bb.132:                              ;   in Loop: Header=BB69_59 Depth=1
	s_or_b64 exec, exec, s[12:13]
.LBB69_133:                             ;   in Loop: Header=BB69_59 Depth=1
	s_or_b64 exec, exec, s[8:9]
	v_and_b32_sdwa v15, v19, s26 dst_sel:DWORD dst_unused:UNUSED_PAD src0_sel:BYTE_3 src1_sel:DWORD
	v_lshlrev_b64 v[4:5], 2, v[4:5]
	v_and_b32_sdwa v16, v17, s26 dst_sel:DWORD dst_unused:UNUSED_PAD src0_sel:BYTE_3 src1_sel:DWORD
	v_mov_b32_e32 v17, s16
	v_add_co_u32_e32 v4, vcc, s11, v4
	v_and_or_b32 v6, v6, s27, v15
	v_addc_co_u32_e32 v5, vcc, v17, v5, vcc
	v_lshlrev_b32_e32 v17, 24, v18
	v_and_b32_e32 v7, 0x80000000, v7
	v_lshlrev_b32_e32 v6, 16, v6
	v_lshrrev_b32_e32 v9, 24, v9
	v_or3_b32 v6, v7, v17, v6
	v_and_or_b32 v3, v3, s27, v16
	v_and_b32_e32 v7, 0xff, v8
	v_lshlrev_b32_e32 v3, 8, v3
	v_and_or_b32 v7, v9, s26, v7
	v_add_u32_e32 v0, s17, v0
	v_or3_b32 v3, v6, v3, v7
	v_cmp_gt_u32_e32 vcc, s10, v0
	s_mov_b64 s[12:13], -1
	global_store_dword v[4:5], v3, off
	s_and_saveexec_b64 s[8:9], vcc
	s_cbranch_execz .LBB69_56
; %bb.134:                              ;   in Loop: Header=BB69_59 Depth=1
	v_lshlrev_b64 v[4:5], 3, v[0:1]
	v_mov_b32_e32 v3, s46
	v_add_co_u32_e32 v6, vcc, s33, v4
	v_addc_co_u32_e32 v7, vcc, v3, v5, vcc
	global_load_dwordx2 v[16:17], v[6:7], off
	v_mov_b32_e32 v7, s48
	v_add_co_u32_e32 v6, vcc, s47, v4
	v_addc_co_u32_e32 v7, vcc, v7, v5, vcc
	global_load_dwordx2 v[18:19], v[6:7], off
	;; [unrolled: 4-line block ×3, first 2 shown]
	v_lshrrev_b32_e32 v3, 3, v0
	v_and_b32_e32 v3, 0x7fffffc, v3
	global_load_dword v8, v3, s[0:1]
	v_mov_b32_e32 v3, 0x7f
	s_waitcnt vmcnt(3)
	v_and_b32_e32 v9, 0xffff0000, v16
	v_lshlrev_b32_e32 v15, 16, v16
	v_alignbit_b32 v16, v17, v16, 16
	v_and_b32_e32 v17, 0xffff0000, v17
	v_and_b32_e32 v16, 0xffff0000, v16
	s_waitcnt vmcnt(2)
	v_and_b32_e32 v20, 0xffff0000, v18
	v_lshlrev_b32_e32 v21, 16, v18
	v_alignbit_b32 v18, v19, v18, 16
	v_and_b32_e32 v19, 0xffff0000, v19
	v_add_f32_e32 v21, v15, v21
	v_add_f32_e32 v15, v9, v20
	v_add_f32_e32 v9, v17, v19
	v_and_b32_e32 v18, 0xffff0000, v18
	v_bfe_u32 v19, v9, 16, 1
	v_add_f32_e32 v16, v16, v18
	v_bfe_u32 v18, v15, 16, 1
	v_add3_u32 v19, v9, v19, s21
	v_bfe_u32 v17, v21, 16, 1
	v_add3_u32 v18, v15, v18, s21
	v_and_b32_e32 v19, 0xffff0000, v19
	v_cmp_o_f32_e32 vcc, v9, v9
	v_mul_f32_e32 v20, v37, v21
	v_add3_u32 v17, v21, v17, s21
	v_bfe_u32 v23, v16, 16, 1
	v_and_b32_e32 v18, 0xffff0000, v18
	v_cndmask_b32_e32 v19, v13, v19, vcc
	v_cmp_o_f32_e32 vcc, v15, v15
	v_bfe_u32 v24, v20, 16, 1
	v_lshrrev_b32_e32 v17, 16, v17
	v_add3_u32 v23, v16, v23, s21
	v_cndmask_b32_e32 v18, v13, v18, vcc
	v_cmp_o_f32_e32 vcc, v21, v21
	v_add3_u32 v24, v20, v24, s21
	v_lshrrev_b32_e32 v23, 16, v23
	v_cndmask_b32_e32 v17, v14, v17, vcc
	v_cmp_o_f32_e32 vcc, v16, v16
	v_and_b32_e32 v21, 0xffff0000, v24
	v_cndmask_b32_e32 v23, v14, v23, vcc
	v_cmp_o_f32_e32 vcc, v20, v20
	s_waitcnt vmcnt(1)
	v_lshlrev_b32_e32 v22, 16, v4
	v_or_b32_e32 v17, v17, v18
	v_cndmask_b32_e32 v20, v13, v21, vcc
	v_or3_b32 v18, v17, 0, 0
	v_mul_f32_e32 v17, v20, v22
	v_bfe_u32 v20, v17, 16, 1
	v_add3_u32 v20, v17, v20, s21
	v_and_b32_e32 v20, 0xffff0000, v20
	v_cmp_o_f32_e32 vcc, v17, v17
	v_cndmask_b32_e32 v17, v13, v20, vcc
	s_waitcnt vmcnt(0)
	v_div_scale_f32 v20, s[12:13], v8, v8, v17
	v_rcp_f32_e32 v21, v20
	v_or3_b32 v19, 0, v23, v19
	global_store_dwordx2 v[6:7], v[18:19], off
	v_div_scale_f32 v6, vcc, v17, v8, v17
	v_fma_f32 v7, -v20, v21, 1.0
	v_fmac_f32_e32 v21, v7, v21
	v_mul_f32_e32 v7, v6, v21
	v_fma_f32 v18, -v20, v7, v6
	v_fmac_f32_e32 v7, v18, v21
	v_fma_f32 v6, -v20, v7, v6
	v_div_fmas_f32 v6, v6, v21, v7
	v_div_fixup_f32 v6, v6, v8, v17
	v_min_f32_e32 v6, 0x43e00000, v6
	v_max_f32_e32 v7, 0xc3e00000, v6
	v_and_b32_e32 v17, 0x7fffffff, v7
	v_cmp_gt_u32_e32 vcc, s22, v17
	v_mov_b32_e32 v6, 0x7f
	s_and_saveexec_b64 s[12:13], vcc
	s_cbranch_execz .LBB69_140
; %bb.135:                              ;   in Loop: Header=BB69_59 Depth=1
	v_cmp_lt_u32_e32 vcc, s23, v17
                                        ; implicit-def: $vgpr6
	s_and_saveexec_b64 s[14:15], vcc
	s_xor_b64 s[14:15], exec, s[14:15]
; %bb.136:                              ;   in Loop: Header=BB69_59 Depth=1
	v_bfe_u32 v6, v7, 20, 1
	v_add3_u32 v6, v7, v6, s24
	v_lshrrev_b32_e32 v6, 20, v6
; %bb.137:                              ;   in Loop: Header=BB69_59 Depth=1
	s_andn2_saveexec_b64 s[14:15], s[14:15]
; %bb.138:                              ;   in Loop: Header=BB69_59 Depth=1
	v_add_f32_e64 v6, |v7|, s25
; %bb.139:                              ;   in Loop: Header=BB69_59 Depth=1
	s_or_b64 exec, exec, s[14:15]
.LBB69_140:                             ;   in Loop: Header=BB69_59 Depth=1
	s_or_b64 exec, exec, s[12:13]
	v_mul_f32_e32 v15, v37, v15
	v_bfe_u32 v18, v15, 16, 1
	v_add3_u32 v18, v15, v18, s21
	v_and_b32_e32 v18, 0xffff0000, v18
	v_cmp_o_f32_e32 vcc, v15, v15
	v_and_b32_e32 v17, 0xffff0000, v4
	v_cndmask_b32_e32 v15, v13, v18, vcc
	v_mul_f32_e32 v15, v15, v17
	v_bfe_u32 v17, v15, 16, 1
	v_add3_u32 v17, v15, v17, s21
	v_and_b32_e32 v17, 0xffff0000, v17
	v_cmp_o_f32_e32 vcc, v15, v15
	v_cndmask_b32_e32 v15, v13, v17, vcc
	v_div_scale_f32 v17, s[12:13], v8, v8, v15
	v_rcp_f32_e32 v18, v17
	v_fma_f32 v19, -v17, v18, 1.0
	v_fmac_f32_e32 v18, v19, v18
	v_div_scale_f32 v19, vcc, v15, v8, v15
	v_mul_f32_e32 v20, v19, v18
	v_fma_f32 v21, -v17, v20, v19
	v_fmac_f32_e32 v20, v21, v18
	v_fma_f32 v17, -v17, v20, v19
	v_div_fmas_f32 v17, v17, v18, v20
	v_div_fixup_f32 v15, v17, v8, v15
	v_min_f32_e32 v15, 0x43e00000, v15
	v_max_f32_e32 v15, 0xc3e00000, v15
	v_and_b32_e32 v17, 0x7fffffff, v15
	v_cmp_gt_u32_e32 vcc, s22, v17
	s_and_saveexec_b64 s[12:13], vcc
	s_cbranch_execz .LBB69_146
; %bb.141:                              ;   in Loop: Header=BB69_59 Depth=1
	v_cmp_lt_u32_e32 vcc, s23, v17
                                        ; implicit-def: $vgpr3
	s_and_saveexec_b64 s[14:15], vcc
	s_xor_b64 s[14:15], exec, s[14:15]
; %bb.142:                              ;   in Loop: Header=BB69_59 Depth=1
	v_bfe_u32 v3, v15, 20, 1
	v_add3_u32 v3, v15, v3, s24
	v_lshrrev_b32_e32 v3, 20, v3
; %bb.143:                              ;   in Loop: Header=BB69_59 Depth=1
	s_andn2_saveexec_b64 s[14:15], s[14:15]
; %bb.144:                              ;   in Loop: Header=BB69_59 Depth=1
	v_add_f32_e64 v3, |v15|, s25
; %bb.145:                              ;   in Loop: Header=BB69_59 Depth=1
	s_or_b64 exec, exec, s[14:15]
.LBB69_146:                             ;   in Loop: Header=BB69_59 Depth=1
	s_or_b64 exec, exec, s[12:13]
	v_mul_f32_e32 v16, v37, v16
	v_bfe_u32 v17, v16, 16, 1
	v_add3_u32 v17, v16, v17, s21
	v_and_b32_e32 v17, 0xffff0000, v17
	v_cmp_o_f32_e32 vcc, v16, v16
	v_alignbit_b32 v4, v5, v4, 16
	v_cndmask_b32_e32 v16, v13, v17, vcc
	v_and_b32_e32 v4, 0xffff0000, v4
	v_mul_f32_e32 v4, v16, v4
	v_bfe_u32 v16, v4, 16, 1
	v_add3_u32 v16, v4, v16, s21
	v_and_b32_e32 v16, 0xffff0000, v16
	v_cmp_o_f32_e32 vcc, v4, v4
	v_cndmask_b32_e32 v4, v13, v16, vcc
	v_div_scale_f32 v16, s[12:13], v8, v8, v4
	v_rcp_f32_e32 v17, v16
	v_fma_f32 v18, -v16, v17, 1.0
	v_fmac_f32_e32 v17, v18, v17
	v_div_scale_f32 v18, vcc, v4, v8, v4
	v_mul_f32_e32 v19, v18, v17
	v_fma_f32 v20, -v16, v19, v18
	v_fmac_f32_e32 v19, v20, v17
	v_fma_f32 v16, -v16, v19, v18
	v_div_fmas_f32 v16, v16, v17, v19
	v_div_fixup_f32 v4, v16, v8, v4
	v_min_f32_e32 v4, 0x43e00000, v4
	v_max_f32_e32 v17, 0xc3e00000, v4
	v_and_b32_e32 v18, 0x7fffffff, v17
	v_cmp_gt_u32_e32 vcc, s22, v18
	v_mov_b32_e32 v16, 0x7f
	v_mov_b32_e32 v4, 0x7f
	s_and_saveexec_b64 s[12:13], vcc
	s_cbranch_execz .LBB69_152
; %bb.147:                              ;   in Loop: Header=BB69_59 Depth=1
	v_cmp_lt_u32_e32 vcc, s23, v18
                                        ; implicit-def: $vgpr4
	s_and_saveexec_b64 s[14:15], vcc
	s_xor_b64 s[14:15], exec, s[14:15]
; %bb.148:                              ;   in Loop: Header=BB69_59 Depth=1
	v_bfe_u32 v4, v17, 20, 1
	v_add3_u32 v4, v17, v4, s24
	v_lshrrev_b32_e32 v4, 20, v4
; %bb.149:                              ;   in Loop: Header=BB69_59 Depth=1
	s_andn2_saveexec_b64 s[14:15], s[14:15]
; %bb.150:                              ;   in Loop: Header=BB69_59 Depth=1
	v_add_f32_e64 v4, |v17|, s25
; %bb.151:                              ;   in Loop: Header=BB69_59 Depth=1
	s_or_b64 exec, exec, s[14:15]
.LBB69_152:                             ;   in Loop: Header=BB69_59 Depth=1
	s_or_b64 exec, exec, s[12:13]
	v_mul_f32_e32 v9, v37, v9
	v_bfe_u32 v18, v9, 16, 1
	v_add3_u32 v18, v9, v18, s21
	v_and_b32_e32 v18, 0xffff0000, v18
	v_cmp_o_f32_e32 vcc, v9, v9
	v_cndmask_b32_e32 v9, v13, v18, vcc
	v_and_b32_e32 v5, 0xffff0000, v5
	v_mul_f32_e32 v5, v9, v5
	v_bfe_u32 v9, v5, 16, 1
	v_add3_u32 v9, v5, v9, s21
	v_and_b32_e32 v9, 0xffff0000, v9
	v_cmp_o_f32_e32 vcc, v5, v5
	v_cndmask_b32_e32 v5, v13, v9, vcc
	v_div_scale_f32 v9, s[12:13], v8, v8, v5
	v_rcp_f32_e32 v18, v9
	v_fma_f32 v19, -v9, v18, 1.0
	v_fmac_f32_e32 v18, v19, v18
	v_div_scale_f32 v19, vcc, v5, v8, v5
	v_mul_f32_e32 v20, v19, v18
	v_fma_f32 v21, -v9, v20, v19
	v_fmac_f32_e32 v20, v21, v18
	v_fma_f32 v9, -v9, v20, v19
	v_div_fmas_f32 v9, v9, v18, v20
	v_div_fixup_f32 v5, v9, v8, v5
	v_min_f32_e32 v5, 0x43e00000, v5
	v_max_f32_e32 v5, 0xc3e00000, v5
	v_and_b32_e32 v8, 0x7fffffff, v5
	v_cmp_gt_u32_e32 vcc, s22, v8
	s_and_saveexec_b64 s[12:13], vcc
	s_cbranch_execz .LBB69_55
; %bb.153:                              ;   in Loop: Header=BB69_59 Depth=1
	v_cmp_lt_u32_e32 vcc, s23, v8
                                        ; implicit-def: $vgpr16
	s_and_saveexec_b64 s[14:15], vcc
	s_xor_b64 s[14:15], exec, s[14:15]
; %bb.154:                              ;   in Loop: Header=BB69_59 Depth=1
	v_bfe_u32 v8, v5, 20, 1
	v_add3_u32 v8, v5, v8, s24
	v_lshrrev_b32_e32 v16, 20, v8
; %bb.155:                              ;   in Loop: Header=BB69_59 Depth=1
	s_andn2_saveexec_b64 s[14:15], s[14:15]
	s_cbranch_execz .LBB69_54
; %bb.156:                              ;   in Loop: Header=BB69_59 Depth=1
	v_add_f32_e64 v16, |v5|, s25
	s_branch .LBB69_54
.LBB69_157:
	s_endpgm
	.section	.rodata,"a",@progbits
	.p2align	6, 0x0
	.amdhsa_kernel _ZN4vllm31rms_norm_per_block_quant_kernelIN3c108BFloat16ENS1_13Float8_e4m3fnELb1ELb0ELi128EEEvPT0_PfPKT_S9_PKffiiPS7_l
		.amdhsa_group_segment_fixed_size 4164
		.amdhsa_private_segment_fixed_size 0
		.amdhsa_kernarg_size 328
		.amdhsa_user_sgpr_count 6
		.amdhsa_user_sgpr_private_segment_buffer 1
		.amdhsa_user_sgpr_dispatch_ptr 0
		.amdhsa_user_sgpr_queue_ptr 0
		.amdhsa_user_sgpr_kernarg_segment_ptr 1
		.amdhsa_user_sgpr_dispatch_id 0
		.amdhsa_user_sgpr_flat_scratch_init 0
		.amdhsa_user_sgpr_kernarg_preload_length 0
		.amdhsa_user_sgpr_kernarg_preload_offset 0
		.amdhsa_user_sgpr_private_segment_size 0
		.amdhsa_uses_dynamic_stack 0
		.amdhsa_system_sgpr_private_segment_wavefront_offset 0
		.amdhsa_system_sgpr_workgroup_id_x 1
		.amdhsa_system_sgpr_workgroup_id_y 0
		.amdhsa_system_sgpr_workgroup_id_z 0
		.amdhsa_system_sgpr_workgroup_info 0
		.amdhsa_system_vgpr_workitem_id 0
		.amdhsa_next_free_vgpr 55
		.amdhsa_next_free_sgpr 49
		.amdhsa_accum_offset 56
		.amdhsa_reserve_vcc 1
		.amdhsa_reserve_flat_scratch 0
		.amdhsa_float_round_mode_32 0
		.amdhsa_float_round_mode_16_64 0
		.amdhsa_float_denorm_mode_32 3
		.amdhsa_float_denorm_mode_16_64 3
		.amdhsa_dx10_clamp 1
		.amdhsa_ieee_mode 1
		.amdhsa_fp16_overflow 0
		.amdhsa_tg_split 0
		.amdhsa_exception_fp_ieee_invalid_op 0
		.amdhsa_exception_fp_denorm_src 0
		.amdhsa_exception_fp_ieee_div_zero 0
		.amdhsa_exception_fp_ieee_overflow 0
		.amdhsa_exception_fp_ieee_underflow 0
		.amdhsa_exception_fp_ieee_inexact 0
		.amdhsa_exception_int_div_zero 0
	.end_amdhsa_kernel
	.section	.text._ZN4vllm31rms_norm_per_block_quant_kernelIN3c108BFloat16ENS1_13Float8_e4m3fnELb1ELb0ELi128EEEvPT0_PfPKT_S9_PKffiiPS7_l,"axG",@progbits,_ZN4vllm31rms_norm_per_block_quant_kernelIN3c108BFloat16ENS1_13Float8_e4m3fnELb1ELb0ELi128EEEvPT0_PfPKT_S9_PKffiiPS7_l,comdat
.Lfunc_end69:
	.size	_ZN4vllm31rms_norm_per_block_quant_kernelIN3c108BFloat16ENS1_13Float8_e4m3fnELb1ELb0ELi128EEEvPT0_PfPKT_S9_PKffiiPS7_l, .Lfunc_end69-_ZN4vllm31rms_norm_per_block_quant_kernelIN3c108BFloat16ENS1_13Float8_e4m3fnELb1ELb0ELi128EEEvPT0_PfPKT_S9_PKffiiPS7_l
                                        ; -- End function
	.section	.AMDGPU.csdata,"",@progbits
; Kernel info:
; codeLenInByte = 12300
; NumSgprs: 53
; NumVgprs: 55
; NumAgprs: 0
; TotalNumVgprs: 55
; ScratchSize: 0
; MemoryBound: 0
; FloatMode: 240
; IeeeMode: 1
; LDSByteSize: 4164 bytes/workgroup (compile time only)
; SGPRBlocks: 6
; VGPRBlocks: 6
; NumSGPRsForWavesPerEU: 53
; NumVGPRsForWavesPerEU: 55
; AccumOffset: 56
; Occupancy: 8
; WaveLimiterHint : 0
; COMPUTE_PGM_RSRC2:SCRATCH_EN: 0
; COMPUTE_PGM_RSRC2:USER_SGPR: 6
; COMPUTE_PGM_RSRC2:TRAP_HANDLER: 0
; COMPUTE_PGM_RSRC2:TGID_X_EN: 1
; COMPUTE_PGM_RSRC2:TGID_Y_EN: 0
; COMPUTE_PGM_RSRC2:TGID_Z_EN: 0
; COMPUTE_PGM_RSRC2:TIDIG_COMP_CNT: 0
; COMPUTE_PGM_RSRC3_GFX90A:ACCUM_OFFSET: 13
; COMPUTE_PGM_RSRC3_GFX90A:TG_SPLIT: 0
	.section	.text._ZN4vllm31rms_norm_per_block_quant_kernelIN3c108BFloat16ENS1_15Float8_e4m3fnuzELb1ELb0ELi128EEEvPT0_PfPKT_S9_PKffiiPS7_l,"axG",@progbits,_ZN4vllm31rms_norm_per_block_quant_kernelIN3c108BFloat16ENS1_15Float8_e4m3fnuzELb1ELb0ELi128EEEvPT0_PfPKT_S9_PKffiiPS7_l,comdat
	.protected	_ZN4vllm31rms_norm_per_block_quant_kernelIN3c108BFloat16ENS1_15Float8_e4m3fnuzELb1ELb0ELi128EEEvPT0_PfPKT_S9_PKffiiPS7_l ; -- Begin function _ZN4vllm31rms_norm_per_block_quant_kernelIN3c108BFloat16ENS1_15Float8_e4m3fnuzELb1ELb0ELi128EEEvPT0_PfPKT_S9_PKffiiPS7_l
	.globl	_ZN4vllm31rms_norm_per_block_quant_kernelIN3c108BFloat16ENS1_15Float8_e4m3fnuzELb1ELb0ELi128EEEvPT0_PfPKT_S9_PKffiiPS7_l
	.p2align	8
	.type	_ZN4vllm31rms_norm_per_block_quant_kernelIN3c108BFloat16ENS1_15Float8_e4m3fnuzELb1ELb0ELi128EEEvPT0_PfPKT_S9_PKffiiPS7_l,@function
_ZN4vllm31rms_norm_per_block_quant_kernelIN3c108BFloat16ENS1_15Float8_e4m3fnuzELb1ELb0ELi128EEEvPT0_PfPKT_S9_PKffiiPS7_l: ; @_ZN4vllm31rms_norm_per_block_quant_kernelIN3c108BFloat16ENS1_15Float8_e4m3fnuzELb1ELb0ELi128EEEvPT0_PfPKT_S9_PKffiiPS7_l
; %bb.0:
	s_load_dwordx4 s[8:11], s[4:5], 0x28
	s_load_dwordx8 s[12:19], s[4:5], 0x0
	s_load_dwordx2 s[34:35], s[4:5], 0x38
	v_mov_b32_e32 v1, 0
	s_waitcnt lgkmcnt(0)
	s_ashr_i32 s0, s10, 31
	s_mul_hi_u32 s1, s10, s6
	s_mul_i32 s0, s0, s6
	s_ashr_i32 s23, s9, 31
	s_add_i32 s1, s1, s0
	s_mul_i32 s0, s10, s6
	s_mul_hi_u32 s2, s9, s6
	s_mul_i32 s3, s23, s6
	s_add_i32 s21, s2, s3
	s_lshl_b64 s[30:31], s[0:1], 1
	s_mul_i32 s20, s9, s6
	s_add_u32 s33, s16, s30
	s_addc_u32 s46, s17, s31
	s_lshl_b64 s[36:37], s[20:21], 1
	s_add_u32 s47, s34, s36
	s_addc_u32 s48, s35, s37
	s_ashr_i32 s10, s9, 2
	s_add_u32 s2, s4, 0x48
	s_mov_b32 s22, s9
	v_cmp_gt_u32_e64 s[0:1], s10, v0
	s_addc_u32 s3, s5, 0
	s_and_saveexec_b64 s[24:25], s[0:1]
	s_cbranch_execz .LBB70_10
; %bb.1:
	s_load_dword s7, s[2:3], 0x0
	v_mov_b32_e32 v3, 0
	v_mov_b32_e32 v9, s46
	;; [unrolled: 1-line block ×4, first 2 shown]
	s_waitcnt lgkmcnt(0)
	s_cmp_lt_u32 s6, s7
	s_cselect_b32 s7, 12, 18
	s_add_u32 s26, s2, s7
	s_addc_u32 s27, s3, 0
	global_load_ushort v8, v3, s[26:27]
	s_mov_b64 s[26:27], 0
                                        ; implicit-def: $sgpr28_sgpr29
	s_waitcnt vmcnt(0)
	v_add_u32_e32 v1, v8, v8
	v_mul_lo_u32 v11, v8, 3
	v_lshlrev_b32_e32 v12, 1, v8
	v_add_u32_e32 v13, v1, v8
	v_mov_b32_e32 v1, v3
	s_branch .LBB70_5
.LBB70_2:                               ;   in Loop: Header=BB70_5 Depth=1
	s_or_b64 exec, exec, s[42:43]
	s_orn2_b64 s[42:43], s[44:45], exec
.LBB70_3:                               ;   in Loop: Header=BB70_5 Depth=1
	s_or_b64 exec, exec, s[40:41]
	s_andn2_b64 s[28:29], s[28:29], exec
	s_and_b64 s[40:41], s[42:43], exec
	s_or_b64 s[28:29], s[28:29], s[40:41]
.LBB70_4:                               ;   in Loop: Header=BB70_5 Depth=1
	s_or_b64 exec, exec, s[38:39]
	s_and_b64 s[38:39], exec, s[28:29]
	s_or_b64 s[26:27], s[38:39], s[26:27]
	s_andn2_b64 exec, exec, s[26:27]
	s_cbranch_execz .LBB70_9
.LBB70_5:                               ; =>This Inner Loop Header: Depth=1
	v_lshlrev_b64 v[4:5], 3, v[2:3]
	v_add_co_u32_e32 v6, vcc, s33, v4
	v_addc_co_u32_e32 v7, vcc, v9, v5, vcc
	v_add_co_u32_e32 v4, vcc, s47, v4
	v_addc_co_u32_e32 v5, vcc, v10, v5, vcc
	global_load_dwordx2 v[6:7], v[6:7], off
	s_or_b64 s[28:29], s[28:29], exec
	global_load_dwordx2 v[14:15], v[4:5], off
	v_add_u32_e32 v4, v2, v8
	v_cmp_gt_u32_e32 vcc, s10, v4
	s_waitcnt vmcnt(1)
	v_lshlrev_b32_e32 v16, 16, v6
	v_and_b32_e32 v5, 0xffff0000, v6
	s_waitcnt vmcnt(0)
	v_lshlrev_b32_e32 v18, 16, v14
	v_alignbit_b32 v6, v7, v6, 16
	v_and_b32_e32 v17, 0xffff0000, v14
	v_alignbit_b32 v14, v15, v14, 16
	v_add_f32_e32 v16, v16, v18
	v_and_b32_e32 v6, 0xffff0000, v6
	v_add_f32_e32 v5, v5, v17
	v_and_b32_e32 v14, 0xffff0000, v14
	v_fmac_f32_e32 v1, v16, v16
	v_and_b32_e32 v7, 0xffff0000, v7
	v_and_b32_e32 v15, 0xffff0000, v15
	v_add_f32_e32 v6, v6, v14
	v_fmac_f32_e32 v1, v5, v5
	v_add_f32_e32 v7, v7, v15
	v_fmac_f32_e32 v1, v6, v6
	v_fmac_f32_e32 v1, v7, v7
	s_and_saveexec_b64 s[38:39], vcc
	s_cbranch_execz .LBB70_4
; %bb.6:                                ;   in Loop: Header=BB70_5 Depth=1
	v_mov_b32_e32 v5, v3
	v_lshlrev_b64 v[6:7], 3, v[4:5]
	v_add_co_u32_e32 v14, vcc, s33, v6
	v_addc_co_u32_e32 v15, vcc, v9, v7, vcc
	v_add_co_u32_e32 v6, vcc, s47, v6
	v_addc_co_u32_e32 v7, vcc, v10, v7, vcc
	global_load_dwordx2 v[14:15], v[14:15], off
	s_mov_b64 s[42:43], -1
	global_load_dwordx2 v[16:17], v[6:7], off
	v_add_u32_e32 v6, v12, v2
	v_cmp_gt_u32_e32 vcc, s10, v6
	s_waitcnt vmcnt(1)
	v_lshlrev_b32_e32 v7, 16, v14
	v_and_b32_e32 v5, 0xffff0000, v14
	s_waitcnt vmcnt(0)
	v_lshlrev_b32_e32 v19, 16, v16
	v_alignbit_b32 v14, v15, v14, 16
	v_and_b32_e32 v18, 0xffff0000, v16
	v_alignbit_b32 v16, v17, v16, 16
	v_add_f32_e32 v7, v7, v19
	v_and_b32_e32 v14, 0xffff0000, v14
	v_add_f32_e32 v5, v5, v18
	v_and_b32_e32 v16, 0xffff0000, v16
	v_fmac_f32_e32 v1, v7, v7
	v_and_b32_e32 v15, 0xffff0000, v15
	v_and_b32_e32 v17, 0xffff0000, v17
	v_add_f32_e32 v14, v14, v16
	v_fmac_f32_e32 v1, v5, v5
	v_add_f32_e32 v15, v15, v17
	v_fmac_f32_e32 v1, v14, v14
	v_fmac_f32_e32 v1, v15, v15
	s_and_saveexec_b64 s[40:41], vcc
	s_cbranch_execz .LBB70_3
; %bb.7:                                ;   in Loop: Header=BB70_5 Depth=1
	v_mov_b32_e32 v7, v3
	v_lshlrev_b64 v[6:7], 3, v[6:7]
	v_add_co_u32_e32 v14, vcc, s33, v6
	v_addc_co_u32_e32 v15, vcc, v9, v7, vcc
	v_add_co_u32_e32 v6, vcc, s47, v6
	v_addc_co_u32_e32 v7, vcc, v10, v7, vcc
	global_load_dwordx2 v[14:15], v[14:15], off
	v_add_u32_e32 v2, v11, v2
	global_load_dwordx2 v[6:7], v[6:7], off
	v_cmp_gt_u32_e32 vcc, s10, v2
	s_mov_b64 s[44:45], -1
	s_waitcnt vmcnt(1)
	v_lshlrev_b32_e32 v16, 16, v14
	v_and_b32_e32 v5, 0xffff0000, v14
	s_waitcnt vmcnt(0)
	v_lshlrev_b32_e32 v18, 16, v6
	v_alignbit_b32 v14, v15, v14, 16
	v_and_b32_e32 v17, 0xffff0000, v6
	v_alignbit_b32 v6, v7, v6, 16
	v_add_f32_e32 v16, v16, v18
	v_and_b32_e32 v14, 0xffff0000, v14
	v_add_f32_e32 v5, v5, v17
	v_and_b32_e32 v6, 0xffff0000, v6
	v_fmac_f32_e32 v1, v16, v16
	v_and_b32_e32 v15, 0xffff0000, v15
	v_and_b32_e32 v7, 0xffff0000, v7
	v_add_f32_e32 v6, v14, v6
	v_fmac_f32_e32 v1, v5, v5
	v_add_f32_e32 v7, v15, v7
	v_fmac_f32_e32 v1, v6, v6
	v_fmac_f32_e32 v1, v7, v7
	s_and_saveexec_b64 s[42:43], vcc
	s_xor_b64 s[42:43], exec, s[42:43]
	s_cbranch_execz .LBB70_2
; %bb.8:                                ;   in Loop: Header=BB70_5 Depth=1
	v_lshlrev_b64 v[6:7], 3, v[2:3]
	v_mov_b32_e32 v2, s46
	v_add_co_u32_e32 v14, vcc, s33, v6
	v_addc_co_u32_e32 v15, vcc, v2, v7, vcc
	v_mov_b32_e32 v2, s48
	v_add_co_u32_e32 v6, vcc, s47, v6
	v_addc_co_u32_e32 v7, vcc, v2, v7, vcc
	global_load_dwordx2 v[14:15], v[14:15], off
	v_add_u32_e32 v2, v13, v4
	global_load_dwordx2 v[6:7], v[6:7], off
	v_cmp_le_u32_e32 vcc, s10, v2
	s_orn2_b64 s[44:45], vcc, exec
	s_waitcnt vmcnt(1)
	v_lshlrev_b32_e32 v5, 16, v14
	v_and_b32_e32 v4, 0xffff0000, v14
	s_waitcnt vmcnt(0)
	v_lshlrev_b32_e32 v17, 16, v6
	v_alignbit_b32 v14, v15, v14, 16
	v_and_b32_e32 v16, 0xffff0000, v6
	v_alignbit_b32 v6, v7, v6, 16
	v_add_f32_e32 v5, v5, v17
	v_and_b32_e32 v14, 0xffff0000, v14
	v_add_f32_e32 v4, v4, v16
	v_and_b32_e32 v6, 0xffff0000, v6
	v_fmac_f32_e32 v1, v5, v5
	v_and_b32_e32 v15, 0xffff0000, v15
	v_and_b32_e32 v7, 0xffff0000, v7
	v_add_f32_e32 v6, v14, v6
	v_fmac_f32_e32 v1, v4, v4
	v_add_f32_e32 v7, v15, v7
	v_fmac_f32_e32 v1, v6, v6
	v_fmac_f32_e32 v1, v7, v7
	s_branch .LBB70_2
.LBB70_9:
	s_or_b64 exec, exec, s[26:27]
.LBB70_10:
	s_or_b64 exec, exec, s[24:25]
	v_mbcnt_lo_u32_b32 v2, -1, 0
	v_mbcnt_hi_u32_b32 v2, -1, v2
	v_and_b32_e32 v3, 63, v2
	v_cmp_ne_u32_e32 vcc, 63, v3
	s_load_dword s2, s[2:3], 0xc
	v_addc_co_u32_e32 v4, vcc, 0, v2, vcc
	v_lshlrev_b32_e32 v4, 2, v4
	ds_bpermute_b32 v4, v4, v1
	s_waitcnt lgkmcnt(0)
	s_and_b32 s44, s2, 0xffff
	v_and_b32_e32 v5, 0x3c0, v0
	v_sub_u32_e64 v5, s44, v5 clamp
	v_add_u32_e32 v6, 1, v2
	v_add_f32_e32 v4, v1, v4
	v_cmp_lt_u32_e32 vcc, v6, v5
	v_cndmask_b32_e32 v1, v1, v4, vcc
	v_cmp_gt_u32_e32 vcc, 62, v3
	v_cndmask_b32_e64 v4, 0, 1, vcc
	v_lshlrev_b32_e32 v4, 1, v4
	v_add_lshl_u32 v4, v4, v2, 2
	ds_bpermute_b32 v4, v4, v1
	v_add_u32_e32 v6, 2, v2
	v_cmp_lt_u32_e32 vcc, v6, v5
	v_add_u32_e32 v6, 4, v2
	s_waitcnt lgkmcnt(0)
	v_add_f32_e32 v4, v1, v4
	v_cndmask_b32_e32 v1, v1, v4, vcc
	v_cmp_gt_u32_e32 vcc, 60, v3
	v_cndmask_b32_e64 v4, 0, 1, vcc
	v_lshlrev_b32_e32 v4, 2, v4
	v_add_lshl_u32 v4, v4, v2, 2
	ds_bpermute_b32 v4, v4, v1
	v_cmp_lt_u32_e32 vcc, v6, v5
	v_add_u32_e32 v6, 8, v2
	s_waitcnt lgkmcnt(0)
	v_add_f32_e32 v4, v1, v4
	v_cndmask_b32_e32 v1, v1, v4, vcc
	v_cmp_gt_u32_e32 vcc, 56, v3
	v_cndmask_b32_e64 v4, 0, 1, vcc
	v_lshlrev_b32_e32 v4, 3, v4
	v_add_lshl_u32 v4, v4, v2, 2
	ds_bpermute_b32 v4, v4, v1
	v_cmp_lt_u32_e32 vcc, v6, v5
	v_add_u32_e32 v6, 16, v2
	s_waitcnt lgkmcnt(0)
	v_add_f32_e32 v4, v1, v4
	v_cndmask_b32_e32 v1, v1, v4, vcc
	v_cmp_gt_u32_e32 vcc, 48, v3
	v_cndmask_b32_e64 v4, 0, 1, vcc
	v_lshlrev_b32_e32 v4, 4, v4
	v_add_lshl_u32 v4, v4, v2, 2
	ds_bpermute_b32 v4, v4, v1
	v_cmp_lt_u32_e32 vcc, v6, v5
	s_waitcnt lgkmcnt(0)
	v_add_f32_e32 v4, v1, v4
	v_cndmask_b32_e32 v1, v1, v4, vcc
	v_cmp_gt_u32_e32 vcc, 32, v3
	v_cndmask_b32_e64 v3, 0, 1, vcc
	v_lshlrev_b32_e32 v3, 5, v3
	v_add_lshl_u32 v3, v3, v2, 2
	ds_bpermute_b32 v3, v3, v1
	v_add_u32_e32 v4, 32, v2
	v_cmp_lt_u32_e32 vcc, v4, v5
	s_waitcnt lgkmcnt(0)
	v_add_f32_e32 v3, v1, v3
	v_cndmask_b32_e32 v1, v1, v3, vcc
	v_cmp_eq_u32_e32 vcc, 0, v2
	s_and_saveexec_b64 s[2:3], vcc
	s_cbranch_execz .LBB70_12
; %bb.11:
	v_lshrrev_b32_e32 v3, 4, v0
	v_and_b32_e32 v3, 60, v3
	ds_write_b32 v3, v1 offset:4096
.LBB70_12:
	s_or_b64 exec, exec, s[2:3]
	v_cmp_gt_u32_e32 vcc, 16, v0
	s_waitcnt lgkmcnt(0)
	s_barrier
	s_and_saveexec_b64 s[24:25], vcc
	s_cbranch_execz .LBB70_14
; %bb.13:
	v_lshlrev_b32_e32 v1, 2, v2
	ds_read_b32 v1, v1 offset:4096
	v_and_b32_e32 v3, 15, v2
	v_cmp_ne_u32_e32 vcc, 15, v3
	v_addc_co_u32_e32 v4, vcc, 0, v2, vcc
	v_lshlrev_b32_e32 v4, 2, v4
	s_waitcnt lgkmcnt(0)
	ds_bpermute_b32 v4, v4, v1
	s_add_i32 s2, s44, 63
	s_lshr_b32 s7, s2, 6
	v_add_u32_e32 v5, 1, v3
	v_cmp_gt_u32_e64 s[2:3], 14, v3
	v_cmp_gt_u32_e32 vcc, s7, v5
	v_cndmask_b32_e64 v5, 0, 1, s[2:3]
	s_waitcnt lgkmcnt(0)
	v_add_f32_e32 v4, v1, v4
	v_lshlrev_b32_e32 v5, 1, v5
	v_cndmask_b32_e32 v4, v1, v4, vcc
	v_add_lshl_u32 v5, v5, v2, 2
	ds_bpermute_b32 v5, v5, v4
	v_add_u32_e32 v6, 2, v3
	v_cmp_gt_u32_e64 s[2:3], s7, v6
	v_add_u32_e32 v6, 4, v3
	s_waitcnt lgkmcnt(0)
	v_add_f32_e32 v5, v4, v5
	v_cndmask_b32_e64 v4, v4, v5, s[2:3]
	v_cmp_gt_u32_e64 s[2:3], 12, v3
	v_cndmask_b32_e64 v5, 0, 1, s[2:3]
	v_lshlrev_b32_e32 v5, 2, v5
	v_add_lshl_u32 v5, v5, v2, 2
	ds_bpermute_b32 v5, v5, v4
	v_cmp_gt_u32_e64 s[2:3], s7, v6
	s_waitcnt lgkmcnt(0)
	v_add_f32_e32 v5, v4, v5
	v_cndmask_b32_e64 v4, v4, v5, s[2:3]
	v_cmp_gt_u32_e64 s[2:3], 8, v3
	v_cndmask_b32_e64 v5, 0, 1, s[2:3]
	v_lshlrev_b32_e32 v5, 3, v5
	v_add_lshl_u32 v2, v5, v2, 2
	ds_bpermute_b32 v2, v2, v4
	v_add_u32_e32 v3, 8, v3
	v_cmp_gt_u32_e64 s[2:3], s7, v3
	s_waitcnt lgkmcnt(0)
	v_add_f32_e32 v2, v4, v2
	v_cndmask_b32_e64 v2, v4, v2, s[2:3]
	v_cndmask_b32_e32 v1, v1, v2, vcc
.LBB70_14:
	s_or_b64 exec, exec, s[24:25]
	v_cmp_eq_u32_e32 vcc, 0, v0
	s_and_saveexec_b64 s[2:3], vcc
	s_cbranch_execz .LBB70_16
; %bb.15:
	v_cvt_f32_i32_e32 v2, s22
	s_mov_b32 s7, 0x800000
	v_div_scale_f32 v3, s[24:25], v2, v2, v1
	v_rcp_f32_e32 v4, v3
	v_div_scale_f32 v5, vcc, v1, v2, v1
	v_fma_f32 v6, -v3, v4, 1.0
	v_fmac_f32_e32 v4, v6, v4
	v_mul_f32_e32 v6, v5, v4
	v_fma_f32 v7, -v3, v6, v5
	v_fmac_f32_e32 v6, v7, v4
	v_fma_f32 v3, -v3, v6, v5
	v_div_fmas_f32 v3, v3, v4, v6
	v_div_fixup_f32 v1, v3, v2, v1
	v_add_f32_e32 v1, s8, v1
	v_mul_f32_e32 v2, 0x4b800000, v1
	v_cmp_gt_f32_e32 vcc, s7, v1
	v_cndmask_b32_e32 v1, v1, v2, vcc
	v_rsq_f32_e32 v1, v1
	v_mul_f32_e32 v2, 0x45800000, v1
	v_cndmask_b32_e32 v1, v1, v2, vcc
	v_mov_b32_e32 v2, 0
	ds_write_b32 v2, v1 offset:4160
.LBB70_16:
	s_or_b64 exec, exec, s[2:3]
	s_ashr_i32 s2, s22, 31
	s_lshr_b32 s2, s2, 25
	s_add_i32 s2, s22, s2
	s_ashr_i32 s24, s2, 7
	s_abs_i32 s3, s24
	v_cvt_f32_u32_e32 v1, s3
	s_sub_i32 s7, 0, s3
	s_ashr_i32 s2, s2, 31
	v_mov_b32_e32 v5, 0
	v_rcp_iflag_f32_e32 v1, v1
	s_waitcnt lgkmcnt(0)
	s_barrier
	v_mul_f32_e32 v1, 0x4f7ffffe, v1
	v_cvt_u32_f32_e32 v1, v1
	ds_read_b32 v37, v5 offset:4160
	v_readfirstlane_b32 s8, v1
	s_mul_i32 s7, s7, s8
	s_mul_hi_u32 s7, s8, s7
	s_add_i32 s8, s8, s7
	s_mul_hi_u32 s7, s44, s8
	s_mul_i32 s8, s7, s3
	s_sub_i32 s8, s44, s8
	s_add_i32 s9, s7, 1
	s_sub_i32 s11, s8, s3
	s_cmp_ge_u32 s8, s3
	s_cselect_b32 s7, s9, s7
	s_cselect_b32 s8, s11, s8
	s_add_i32 s9, s7, 1
	s_cmp_ge_u32 s8, s3
	s_cselect_b32 s3, s9, s7
	s_xor_b32 s3, s3, s2
	s_sub_i32 s26, s3, s2
	s_abs_i32 s2, s26
	v_cvt_f32_u32_e32 v1, s2
	s_sub_i32 s3, 0, s2
	s_ashr_i32 s27, s26, 31
	s_ashr_i32 s11, s10, 31
	v_rcp_iflag_f32_e32 v1, v1
	v_mul_f32_e32 v1, 0x4f7ffffe, v1
	v_cvt_u32_f32_e32 v1, v1
	v_mul_lo_u32 v2, s3, v1
	v_mul_hi_u32 v2, v1, v2
	v_add_u32_e32 v1, v1, v2
	v_mul_hi_u32 v1, v0, v1
	v_mul_lo_u32 v2, v1, s2
	v_sub_u32_e32 v2, v0, v2
	v_add_u32_e32 v3, 1, v1
	v_cmp_le_u32_e32 vcc, s2, v2
	v_cndmask_b32_e32 v1, v1, v3, vcc
	v_subrev_u32_e32 v3, s2, v2
	v_cndmask_b32_e32 v2, v2, v3, vcc
	v_add_u32_e32 v3, 1, v1
	v_cmp_le_u32_e32 vcc, s2, v2
	v_cndmask_b32_e32 v1, v1, v3, vcc
	v_xor_b32_e32 v1, s27, v1
	v_subrev_u32_e32 v2, s27, v1
	v_mul_lo_u32 v1, v2, s26
	v_ashrrev_i32_e32 v3, 31, v2
	v_sub_u32_e32 v4, v0, v1
	v_lshlrev_b64 v[8:9], 5, v[2:3]
	v_add_co_u32_e32 v6, vcc, v8, v4
	v_addc_co_u32_e32 v7, vcc, 0, v9, vcc
	v_add_co_u32_e32 v8, vcc, 32, v8
	v_addc_co_u32_e32 v9, vcc, 0, v9, vcc
	v_mov_b32_e32 v1, s11
	v_cmp_gt_i64_e32 vcc, s[10:11], v[8:9]
	v_cndmask_b32_e32 v9, v1, v9, vcc
	v_mov_b32_e32 v1, s10
	v_cndmask_b32_e32 v8, v1, v8, vcc
	v_ashrrev_i32_e32 v11, 31, v8
	v_mov_b32_e32 v10, v8
	v_cmp_lt_i64_e32 vcc, v[6:7], v[10:11]
	s_and_saveexec_b64 s[28:29], vcc
	s_cbranch_execz .LBB70_26
; %bb.17:
	v_lshlrev_b64 v[30:31], 8, v[2:3]
	s_mul_i32 s11, s26, 24
	v_lshlrev_b64 v[12:13], 3, v[4:5]
	v_mov_b32_e32 v1, s31
	v_add_co_u32_e32 v5, vcc, s30, v30
	s_mul_hi_i32 s7, s26, 24
	s_add_u32 s2, s16, s11
	v_addc_co_u32_e32 v19, vcc, v1, v31, vcc
	s_addc_u32 s3, s17, s7
	v_mov_b32_e32 v1, s3
	v_add_co_u32_e32 v14, vcc, s2, v5
	s_lshl_b64 s[30:31], s[26:27], 5
	s_lshl_b64 s[2:3], s[26:27], 4
	s_add_u32 s8, s16, s2
	v_addc_co_u32_e32 v1, vcc, v1, v19, vcc
	s_addc_u32 s9, s17, s3
	v_mov_b32_e32 v15, s9
	v_add_co_u32_e32 v16, vcc, s8, v5
	s_lshl_b64 s[8:9], s[26:27], 3
	s_add_u32 s25, s16, s8
	v_addc_co_u32_e32 v15, vcc, v15, v19, vcc
	s_addc_u32 s38, s17, s9
	v_mov_b32_e32 v17, s38
	v_add_co_u32_e32 v18, vcc, s25, v5
	v_addc_co_u32_e32 v17, vcc, v17, v19, vcc
	v_mov_b32_e32 v21, s17
	v_add_co_u32_e32 v20, vcc, s16, v5
	s_add_u32 s16, s18, s11
	v_addc_co_u32_e32 v19, vcc, v21, v19, vcc
	s_addc_u32 s17, s19, s7
	v_mov_b32_e32 v5, s17
	v_add_co_u32_e32 v22, vcc, s16, v30
	s_add_u32 s16, s18, s2
	v_addc_co_u32_e32 v21, vcc, v5, v31, vcc
	s_addc_u32 s17, s19, s3
	;; [unrolled: 5-line block ×3, first 2 shown]
	v_mov_b32_e32 v5, s17
	v_add_co_u32_e32 v26, vcc, s16, v30
	v_addc_co_u32_e32 v25, vcc, v5, v31, vcc
	v_mov_b32_e32 v5, s19
	v_add_co_u32_e32 v28, vcc, s18, v30
	v_addc_co_u32_e32 v27, vcc, v5, v31, vcc
	v_mov_b32_e32 v5, s37
	v_add_co_u32_e32 v35, vcc, s36, v30
	s_add_u32 s11, s34, s11
	v_addc_co_u32_e32 v5, vcc, v5, v31, vcc
	s_addc_u32 s7, s35, s7
	v_mov_b32_e32 v29, s7
	v_add_co_u32_e32 v30, vcc, s11, v35
	s_add_u32 s2, s34, s2
	v_addc_co_u32_e32 v29, vcc, v29, v5, vcc
	s_addc_u32 s3, s35, s3
	;; [unrolled: 5-line block ×3, first 2 shown]
	v_mov_b32_e32 v33, s3
	v_add_co_u32_e32 v34, vcc, s2, v35
	v_addc_co_u32_e32 v33, vcc, v33, v5, vcc
	v_mov_b32_e32 v38, s35
	v_add_co_u32_e32 v36, vcc, s34, v35
	v_addc_co_u32_e32 v35, vcc, v38, v5, vcc
	s_mul_hi_i32 s7, s26, 3
	s_mul_i32 s11, s26, 3
	s_lshl_b64 s[34:35], s[26:27], 1
	s_mov_b64 s[16:17], 0
	v_mov_b32_e32 v5, 0
	s_movk_i32 s25, 0x7fff
	v_mov_b32_e32 v42, 0x7fc00000
	v_pk_mov_b32 v[38:39], v[6:7], v[6:7] op_sel:[0,1]
                                        ; implicit-def: $sgpr36_sgpr37
	s_branch .LBB70_21
.LBB70_18:                              ;   in Loop: Header=BB70_21 Depth=1
	s_or_b64 exec, exec, s[42:43]
	s_orn2_b64 s[2:3], s[2:3], exec
.LBB70_19:                              ;   in Loop: Header=BB70_21 Depth=1
	s_or_b64 exec, exec, s[40:41]
	s_andn2_b64 s[8:9], s[36:37], exec
	s_and_b64 s[2:3], s[2:3], exec
	s_or_b64 s[36:37], s[8:9], s[2:3]
.LBB70_20:                              ;   in Loop: Header=BB70_21 Depth=1
	s_or_b64 exec, exec, s[38:39]
	s_and_b64 s[2:3], exec, s[36:37]
	s_or_b64 s[16:17], s[2:3], s[16:17]
	s_andn2_b64 exec, exec, s[16:17]
	s_cbranch_execz .LBB70_25
.LBB70_21:                              ; =>This Inner Loop Header: Depth=1
	v_add_co_u32_e32 v40, vcc, v20, v12
	v_addc_co_u32_e32 v41, vcc, v19, v13, vcc
	global_load_dwordx2 v[44:45], v[40:41], off
	v_add_co_u32_e32 v40, vcc, v28, v12
	v_addc_co_u32_e32 v41, vcc, v27, v13, vcc
	global_load_dwordx2 v[46:47], v[40:41], off
	;; [unrolled: 3-line block ×3, first 2 shown]
	v_mov_b32_e32 v41, s27
	v_add_co_u32_e32 v40, vcc, s26, v38
	v_addc_co_u32_e32 v41, vcc, v39, v41, vcc
	v_cmp_lt_i64_e32 vcc, v[40:41], v[10:11]
	s_or_b64 s[36:37], s[36:37], exec
	s_waitcnt vmcnt(2)
	v_and_b32_e32 v43, 0xffff0000, v44
	v_lshlrev_b32_e32 v51, 16, v44
	v_alignbit_b32 v44, v45, v44, 16
	v_and_b32_e32 v44, 0xffff0000, v44
	v_and_b32_e32 v45, 0xffff0000, v45
	s_waitcnt vmcnt(1)
	v_lshlrev_b32_e32 v54, 16, v46
	v_and_b32_e32 v50, 0xffff0000, v46
	v_alignbit_b32 v46, v47, v46, 16
	v_and_b32_e32 v47, 0xffff0000, v47
	v_and_b32_e32 v46, 0xffff0000, v46
	s_waitcnt vmcnt(0)
	v_and_b32_e32 v52, 0xffff0000, v48
	v_lshlrev_b32_e32 v53, 16, v48
	v_alignbit_b32 v48, v49, v48, 16
	v_add_f32_e32 v51, v51, v53
	v_and_b32_e32 v48, 0xffff0000, v48
	v_and_b32_e32 v49, 0xffff0000, v49
	v_add_f32_e32 v43, v43, v52
	v_add_f32_e32 v44, v44, v48
	s_waitcnt lgkmcnt(0)
	v_mul_f32_e32 v48, v37, v51
	v_add_f32_e32 v45, v45, v49
	v_mul_f32_e32 v43, v37, v43
	v_bfe_u32 v49, v48, 16, 1
	v_mul_f32_e32 v45, v37, v45
	v_bfe_u32 v51, v43, 16, 1
	v_add3_u32 v49, v48, v49, s25
	v_bfe_u32 v52, v45, 16, 1
	v_add3_u32 v51, v43, v51, s25
	v_and_b32_e32 v49, 0xffff0000, v49
	v_cmp_o_f32_e64 s[2:3], v48, v48
	v_mul_f32_e32 v44, v37, v44
	v_add3_u32 v52, v45, v52, s25
	v_and_b32_e32 v51, 0xffff0000, v51
	v_cndmask_b32_e64 v48, v42, v49, s[2:3]
	v_cmp_o_f32_e64 s[2:3], v43, v43
	v_bfe_u32 v53, v44, 16, 1
	v_and_b32_e32 v52, 0xffff0000, v52
	v_cndmask_b32_e64 v43, v42, v51, s[2:3]
	v_cmp_o_f32_e64 s[2:3], v45, v45
	v_add3_u32 v53, v44, v53, s25
	v_cndmask_b32_e64 v45, v42, v52, s[2:3]
	v_mul_f32_e32 v48, v48, v54
	v_and_b32_e32 v49, 0xffff0000, v53
	v_mul_f32_e32 v43, v43, v50
	v_cmp_o_f32_e64 s[2:3], v44, v44
	v_mul_f32_e32 v45, v45, v47
	v_bfe_u32 v47, v48, 16, 1
	v_cndmask_b32_e64 v44, v42, v49, s[2:3]
	v_bfe_u32 v49, v43, 16, 1
	v_add3_u32 v47, v48, v47, s25
	v_mul_f32_e32 v44, v44, v46
	v_bfe_u32 v46, v45, 16, 1
	v_add3_u32 v49, v43, v49, s25
	v_and_b32_e32 v47, 0xffff0000, v47
	v_cmp_o_f32_e64 s[2:3], v48, v48
	v_bfe_u32 v50, v44, 16, 1
	v_add3_u32 v46, v45, v46, s25
	v_and_b32_e32 v49, 0xffff0000, v49
	v_cndmask_b32_e64 v47, v42, |v47|, s[2:3]
	v_cmp_o_f32_e64 s[2:3], v43, v43
	v_add3_u32 v50, v44, v50, s25
	v_and_b32_e32 v46, 0xffff0000, v46
	v_cndmask_b32_e64 v43, v42, |v49|, s[2:3]
	v_cmp_o_f32_e64 s[2:3], v45, v45
	v_and_b32_e32 v48, 0xffff0000, v50
	v_cndmask_b32_e64 v45, v42, |v46|, s[2:3]
	v_cmp_o_f32_e64 s[2:3], v44, v44
	v_max3_f32 v5, v5, v47, v43
	v_cndmask_b32_e64 v43, v42, |v48|, s[2:3]
	v_max3_f32 v5, v5, v43, v45
	s_and_saveexec_b64 s[38:39], vcc
	s_cbranch_execz .LBB70_20
; %bb.22:                               ;   in Loop: Header=BB70_21 Depth=1
	v_add_co_u32_e32 v44, vcc, v18, v12
	v_addc_co_u32_e32 v45, vcc, v17, v13, vcc
	v_add_co_u32_e32 v46, vcc, v26, v12
	v_addc_co_u32_e32 v47, vcc, v25, v13, vcc
	v_add_co_u32_e32 v48, vcc, v34, v12
	v_addc_co_u32_e32 v49, vcc, v33, v13, vcc
	global_load_dwordx2 v[44:45], v[44:45], off
	v_mov_b32_e32 v43, s35
	global_load_dwordx2 v[48:49], v[48:49], off
	v_add_co_u32_e32 v50, vcc, s34, v38
	global_load_dwordx2 v[46:47], v[46:47], off
	v_addc_co_u32_e32 v51, vcc, v43, v39, vcc
	v_cmp_lt_i64_e32 vcc, v[50:51], v[10:11]
	s_waitcnt vmcnt(2)
	v_and_b32_e32 v43, 0xffff0000, v44
	v_lshlrev_b32_e32 v51, 16, v44
	v_alignbit_b32 v44, v45, v44, 16
	s_waitcnt vmcnt(1)
	v_and_b32_e32 v52, 0xffff0000, v48
	v_lshlrev_b32_e32 v53, 16, v48
	v_alignbit_b32 v48, v49, v48, 16
	v_and_b32_e32 v44, 0xffff0000, v44
	v_add_f32_e32 v51, v51, v53
	v_and_b32_e32 v48, 0xffff0000, v48
	v_and_b32_e32 v45, 0xffff0000, v45
	;; [unrolled: 1-line block ×3, first 2 shown]
	v_add_f32_e32 v43, v43, v52
	v_add_f32_e32 v44, v44, v48
	v_mul_f32_e32 v48, v37, v51
	v_add_f32_e32 v45, v45, v49
	v_mul_f32_e32 v43, v37, v43
	v_bfe_u32 v49, v48, 16, 1
	v_mul_f32_e32 v45, v37, v45
	v_bfe_u32 v51, v43, 16, 1
	v_add3_u32 v49, v48, v49, s25
	v_bfe_u32 v52, v45, 16, 1
	v_add3_u32 v51, v43, v51, s25
	v_and_b32_e32 v49, 0xffff0000, v49
	v_cmp_o_f32_e64 s[2:3], v48, v48
	v_mul_f32_e32 v44, v37, v44
	v_add3_u32 v52, v45, v52, s25
	v_and_b32_e32 v51, 0xffff0000, v51
	v_cndmask_b32_e64 v48, v42, v49, s[2:3]
	v_cmp_o_f32_e64 s[2:3], v43, v43
	s_waitcnt vmcnt(0)
	v_lshlrev_b32_e32 v54, 16, v46
	v_bfe_u32 v53, v44, 16, 1
	v_and_b32_e32 v52, 0xffff0000, v52
	v_cndmask_b32_e64 v43, v42, v51, s[2:3]
	v_cmp_o_f32_e64 s[2:3], v45, v45
	v_and_b32_e32 v50, 0xffff0000, v46
	v_alignbit_b32 v46, v47, v46, 16
	v_and_b32_e32 v47, 0xffff0000, v47
	v_add3_u32 v53, v44, v53, s25
	v_cndmask_b32_e64 v45, v42, v52, s[2:3]
	v_mul_f32_e32 v48, v48, v54
	v_and_b32_e32 v49, 0xffff0000, v53
	v_mul_f32_e32 v43, v43, v50
	v_cmp_o_f32_e64 s[2:3], v44, v44
	v_mul_f32_e32 v45, v45, v47
	v_bfe_u32 v47, v48, 16, 1
	v_and_b32_e32 v46, 0xffff0000, v46
	v_cndmask_b32_e64 v44, v42, v49, s[2:3]
	v_bfe_u32 v49, v43, 16, 1
	v_add3_u32 v47, v48, v47, s25
	v_mul_f32_e32 v44, v44, v46
	v_bfe_u32 v46, v45, 16, 1
	v_add3_u32 v49, v43, v49, s25
	v_and_b32_e32 v47, 0xffff0000, v47
	v_cmp_o_f32_e64 s[2:3], v48, v48
	v_bfe_u32 v50, v44, 16, 1
	v_add3_u32 v46, v45, v46, s25
	v_and_b32_e32 v49, 0xffff0000, v49
	v_cndmask_b32_e64 v47, v42, |v47|, s[2:3]
	v_cmp_o_f32_e64 s[2:3], v43, v43
	v_add3_u32 v50, v44, v50, s25
	v_and_b32_e32 v46, 0xffff0000, v46
	v_cndmask_b32_e64 v43, v42, |v49|, s[2:3]
	v_cmp_o_f32_e64 s[2:3], v45, v45
	v_and_b32_e32 v48, 0xffff0000, v50
	v_cndmask_b32_e64 v45, v42, |v46|, s[2:3]
	v_cmp_o_f32_e64 s[2:3], v44, v44
	v_max3_f32 v5, v5, v47, v43
	v_cndmask_b32_e64 v43, v42, |v48|, s[2:3]
	v_max3_f32 v5, v5, v43, v45
	s_mov_b64 s[2:3], -1
	s_and_saveexec_b64 s[40:41], vcc
	s_cbranch_execz .LBB70_19
; %bb.23:                               ;   in Loop: Header=BB70_21 Depth=1
	v_add_co_u32_e32 v44, vcc, v16, v12
	v_addc_co_u32_e32 v45, vcc, v15, v13, vcc
	v_add_co_u32_e32 v46, vcc, v24, v12
	v_addc_co_u32_e32 v47, vcc, v23, v13, vcc
	;; [unrolled: 2-line block ×3, first 2 shown]
	global_load_dwordx2 v[44:45], v[44:45], off
	v_mov_b32_e32 v43, s7
	global_load_dwordx2 v[48:49], v[48:49], off
	v_add_co_u32_e32 v38, vcc, s11, v38
	global_load_dwordx2 v[46:47], v[46:47], off
	v_addc_co_u32_e32 v39, vcc, v43, v39, vcc
	v_cmp_lt_i64_e32 vcc, v[38:39], v[10:11]
	s_waitcnt vmcnt(2)
	v_lshlrev_b32_e32 v43, 16, v44
	v_and_b32_e32 v38, 0xffff0000, v44
	s_waitcnt vmcnt(1)
	v_lshlrev_b32_e32 v51, 16, v48
	v_alignbit_b32 v44, v45, v44, 16
	v_and_b32_e32 v50, 0xffff0000, v48
	v_alignbit_b32 v48, v49, v48, 16
	v_add_f32_e32 v43, v43, v51
	v_and_b32_e32 v45, 0xffff0000, v45
	v_and_b32_e32 v49, 0xffff0000, v49
	;; [unrolled: 1-line block ×3, first 2 shown]
	v_add_f32_e32 v38, v38, v50
	v_and_b32_e32 v48, 0xffff0000, v48
	v_mul_f32_e32 v43, v37, v43
	v_add_f32_e32 v45, v45, v49
	v_add_f32_e32 v44, v44, v48
	v_mul_f32_e32 v38, v37, v38
	v_bfe_u32 v48, v43, 16, 1
	v_mul_f32_e32 v45, v37, v45
	v_bfe_u32 v49, v38, 16, 1
	v_add3_u32 v48, v43, v48, s25
	v_bfe_u32 v50, v45, 16, 1
	v_add3_u32 v49, v38, v49, s25
	v_and_b32_e32 v48, 0xffff0000, v48
	v_cmp_o_f32_e64 s[2:3], v43, v43
	v_mul_f32_e32 v44, v37, v44
	v_add3_u32 v50, v45, v50, s25
	v_and_b32_e32 v49, 0xffff0000, v49
	v_cndmask_b32_e64 v43, v42, v48, s[2:3]
	v_cmp_o_f32_e64 s[2:3], v38, v38
	s_waitcnt vmcnt(0)
	v_lshlrev_b32_e32 v52, 16, v46
	v_bfe_u32 v51, v44, 16, 1
	v_and_b32_e32 v50, 0xffff0000, v50
	v_cndmask_b32_e64 v38, v42, v49, s[2:3]
	v_cmp_o_f32_e64 s[2:3], v45, v45
	v_and_b32_e32 v39, 0xffff0000, v46
	v_alignbit_b32 v46, v47, v46, 16
	v_and_b32_e32 v47, 0xffff0000, v47
	v_add3_u32 v51, v44, v51, s25
	v_cndmask_b32_e64 v45, v42, v50, s[2:3]
	v_mul_f32_e32 v43, v43, v52
	v_and_b32_e32 v48, 0xffff0000, v51
	v_mul_f32_e32 v38, v38, v39
	v_cmp_o_f32_e64 s[2:3], v44, v44
	v_mul_f32_e32 v44, v45, v47
	v_bfe_u32 v45, v43, 16, 1
	v_and_b32_e32 v46, 0xffff0000, v46
	v_cndmask_b32_e64 v39, v42, v48, s[2:3]
	v_bfe_u32 v47, v38, 16, 1
	v_add3_u32 v45, v43, v45, s25
	v_mul_f32_e32 v39, v39, v46
	v_bfe_u32 v46, v44, 16, 1
	v_add3_u32 v47, v38, v47, s25
	v_and_b32_e32 v45, 0xffff0000, v45
	v_cmp_o_f32_e64 s[2:3], v43, v43
	v_bfe_u32 v48, v39, 16, 1
	v_add3_u32 v46, v44, v46, s25
	v_and_b32_e32 v47, 0xffff0000, v47
	v_cndmask_b32_e64 v43, v42, |v45|, s[2:3]
	v_cmp_o_f32_e64 s[2:3], v38, v38
	v_add3_u32 v48, v39, v48, s25
	v_and_b32_e32 v46, 0xffff0000, v46
	v_cndmask_b32_e64 v38, v42, |v47|, s[2:3]
	v_cmp_o_f32_e64 s[2:3], v44, v44
	v_and_b32_e32 v45, 0xffff0000, v48
	v_cndmask_b32_e64 v44, v42, |v46|, s[2:3]
	v_cmp_o_f32_e64 s[2:3], v39, v39
	v_max3_f32 v5, v5, v43, v38
	v_cndmask_b32_e64 v38, v42, |v45|, s[2:3]
	v_max3_f32 v5, v5, v38, v44
	s_mov_b64 s[2:3], -1
                                        ; implicit-def: $vgpr38_vgpr39
	s_and_saveexec_b64 s[8:9], vcc
	s_xor_b64 s[42:43], exec, s[8:9]
	s_cbranch_execz .LBB70_18
; %bb.24:                               ;   in Loop: Header=BB70_21 Depth=1
	s_add_u32 s2, s26, s26
	s_addc_u32 s3, s27, s27
	s_add_u32 s2, s2, s26
	s_addc_u32 s3, s3, s27
	v_mov_b32_e32 v39, s3
	v_add_co_u32_e32 v38, vcc, s2, v40
	v_addc_co_u32_e32 v39, vcc, v39, v41, vcc
	v_add_co_u32_e32 v40, vcc, v14, v12
	v_addc_co_u32_e32 v41, vcc, v1, v13, vcc
	global_load_dwordx2 v[40:41], v[40:41], off
	s_waitcnt vmcnt(0)
	v_and_b32_e32 v43, 0xffff0000, v40
	v_lshlrev_b32_e32 v44, 16, v40
	v_alignbit_b32 v45, v41, v40, 16
	v_add_co_u32_e32 v40, vcc, v30, v12
	v_and_b32_e32 v46, 0xffff0000, v41
	v_addc_co_u32_e32 v41, vcc, v29, v13, vcc
	global_load_dwordx2 v[40:41], v[40:41], off
	v_and_b32_e32 v45, 0xffff0000, v45
	s_waitcnt vmcnt(0)
	v_and_b32_e32 v47, 0xffff0000, v40
	v_lshlrev_b32_e32 v48, 16, v40
	v_alignbit_b32 v49, v41, v40, 16
	v_add_co_u32_e32 v40, vcc, v22, v12
	v_and_b32_e32 v50, 0xffff0000, v41
	v_addc_co_u32_e32 v41, vcc, v21, v13, vcc
	global_load_dwordx2 v[40:41], v[40:41], off
	v_add_f32_e32 v44, v44, v48
	v_add_f32_e32 v43, v43, v47
	v_and_b32_e32 v47, 0xffff0000, v49
	v_mul_f32_e32 v44, v37, v44
	v_add_f32_e32 v45, v45, v47
	v_bfe_u32 v47, v44, 16, 1
	v_add3_u32 v47, v44, v47, s25
	v_and_b32_e32 v47, 0xffff0000, v47
	v_cmp_o_f32_e32 vcc, v44, v44
	v_mul_f32_e32 v43, v37, v43
	v_cndmask_b32_e32 v44, v42, v47, vcc
	v_bfe_u32 v47, v43, 16, 1
	v_add_f32_e32 v46, v46, v50
	v_add3_u32 v47, v43, v47, s25
	v_and_b32_e32 v47, 0xffff0000, v47
	v_cmp_o_f32_e32 vcc, v43, v43
	v_mul_f32_e32 v46, v37, v46
	v_cndmask_b32_e32 v43, v42, v47, vcc
	v_bfe_u32 v47, v46, 16, 1
	v_add3_u32 v47, v46, v47, s25
	v_and_b32_e32 v47, 0xffff0000, v47
	v_cmp_o_f32_e32 vcc, v46, v46
	v_cndmask_b32_e32 v46, v42, v47, vcc
	v_mul_f32_e32 v45, v37, v45
	v_cmp_o_f32_e32 vcc, v45, v45
	s_waitcnt vmcnt(0)
	v_and_b32_e32 v51, 0xffff0000, v40
	v_lshlrev_b32_e32 v52, 16, v40
	v_alignbit_b32 v40, v41, v40, 16
	v_and_b32_e32 v41, 0xffff0000, v41
	v_mul_f32_e32 v41, v46, v41
	v_bfe_u32 v46, v45, 16, 1
	v_add3_u32 v46, v45, v46, s25
	v_and_b32_e32 v46, 0xffff0000, v46
	v_mul_f32_e32 v43, v43, v51
	v_and_b32_e32 v40, 0xffff0000, v40
	v_cndmask_b32_e32 v45, v42, v46, vcc
	v_mul_f32_e32 v40, v45, v40
	v_bfe_u32 v45, v43, 16, 1
	v_mul_f32_e32 v44, v44, v52
	v_add3_u32 v45, v43, v45, s25
	v_cmp_o_f32_e32 vcc, v43, v43
	v_bfe_u32 v43, v40, 16, 1
	v_add3_u32 v43, v40, v43, s25
	v_cmp_o_f32_e64 s[2:3], v40, v40
	v_bfe_u32 v40, v44, 16, 1
	v_add3_u32 v40, v44, v40, s25
	v_and_b32_e32 v45, 0xffff0000, v45
	v_and_b32_e32 v40, 0xffff0000, v40
	v_cmp_o_f32_e64 s[8:9], v44, v44
	v_cndmask_b32_e64 v40, v42, |v40|, s[8:9]
	v_cndmask_b32_e64 v44, v42, |v45|, vcc
	v_max3_f32 v5, v5, v40, v44
	v_bfe_u32 v40, v41, 16, 1
	v_add3_u32 v40, v41, v40, s25
	v_and_b32_e32 v43, 0xffff0000, v43
	v_and_b32_e32 v40, 0xffff0000, v40
	v_cmp_o_f32_e32 vcc, v41, v41
	v_cndmask_b32_e64 v40, v42, |v40|, vcc
	v_cndmask_b32_e64 v41, v42, |v43|, s[2:3]
	v_max3_f32 v5, v5, v41, v40
	v_mov_b32_e32 v40, s31
	v_add_co_u32_e32 v14, vcc, s30, v14
	v_addc_co_u32_e32 v1, vcc, v1, v40, vcc
	v_add_co_u32_e32 v16, vcc, s30, v16
	v_addc_co_u32_e32 v15, vcc, v15, v40, vcc
	;; [unrolled: 2-line block ×12, first 2 shown]
	v_cmp_ge_i64_e32 vcc, v[38:39], v[10:11]
	s_orn2_b64 s[2:3], vcc, exec
	s_branch .LBB70_18
.LBB70_25:
	s_or_b64 exec, exec, s[16:17]
.LBB70_26:
	s_or_b64 exec, exec, s[28:29]
	s_lshr_b32 s7, s44, 6
	v_cvt_f32_u32_e32 v10, s7
	v_lshlrev_b32_e32 v1, 2, v0
	ds_write_b32 v1, v5
	s_sub_i32 s8, 0, s7
	v_rcp_iflag_f32_e32 v5, v10
	s_add_i32 s2, s24, s7
	s_add_i32 s2, s2, -1
	s_ashr_i32 s3, s2, 31
	v_mul_f32_e32 v5, 0x4f7ffffe, v5
	v_cvt_u32_f32_e32 v5, v5
	s_abs_i32 s2, s2
	s_ashr_i32 s25, s24, 31
	s_waitcnt lgkmcnt(0)
	v_readfirstlane_b32 s9, v5
	s_mul_i32 s8, s8, s9
	s_mul_hi_u32 s8, s9, s8
	s_add_i32 s9, s9, s8
	s_mul_hi_u32 s8, s2, s9
	s_mul_i32 s9, s8, s7
	s_sub_i32 s2, s2, s9
	s_add_i32 s9, s8, 1
	s_sub_i32 s11, s2, s7
	s_cmp_ge_u32 s2, s7
	s_cselect_b32 s8, s9, s8
	s_cselect_b32 s2, s11, s2
	s_add_i32 s9, s8, 1
	s_cmp_ge_u32 s2, s7
	s_cselect_b32 s2, s9, s8
	s_xor_b32 s2, s2, s3
	s_sub_i32 s2, s2, s3
	s_ashr_i32 s3, s2, 31
	v_cmp_lt_i64_e64 s[8:9], s[2:3], 1
	s_and_b64 vcc, exec, s[8:9]
	s_barrier
	s_cbranch_vccnz .LBB70_48
; %bb.27:
	v_and_b32_e32 v12, 63, v0
	v_add_co_u32_e32 v14, vcc, 32, v12
	v_addc_co_u32_e64 v15, s[8:9], 0, 0, vcc
	v_add_co_u32_e32 v16, vcc, 16, v12
	v_addc_co_u32_e64 v17, s[8:9], 0, 0, vcc
	v_add_co_u32_e32 v18, vcc, 8, v12
	v_addc_co_u32_e64 v19, s[8:9], 0, 0, vcc
	v_add_co_u32_e32 v20, vcc, 4, v12
	v_addc_co_u32_e64 v21, s[8:9], 0, 0, vcc
	v_add_co_u32_e32 v22, vcc, 2, v12
	v_lshrrev_b32_e32 v10, 6, v0
	v_addc_co_u32_e64 v23, s[8:9], 0, 0, vcc
	v_add_co_u32_e32 v24, vcc, 1, v12
	v_addc_co_u32_e64 v25, s[8:9], 0, 0, vcc
	v_mul_lo_u32 v5, s26, v10
	v_lshlrev_b32_e32 v5, 2, v5
	v_lshlrev_b32_e32 v26, 2, v12
	s_movk_i32 s8, 0x100
	v_mov_b32_e32 v11, 0
	v_add3_u32 v5, v5, v26, s8
	s_mul_i32 s8, s26, s7
	v_mov_b32_e32 v13, v11
	s_lshl_b32 s11, s8, 2
	s_mov_b64 s[8:9], 0
	v_mov_b32_e32 v36, s7
	s_mov_b64 s[16:17], src_shared_base
	s_branch .LBB70_30
.LBB70_28:                              ;   in Loop: Header=BB70_30 Depth=1
	s_or_b64 exec, exec, s[30:31]
	v_mov_b32_e32 v27, s17
	flat_load_dword v26, v[26:27] glc
	s_waitcnt vmcnt(0)
.LBB70_29:                              ;   in Loop: Header=BB70_30 Depth=1
	s_or_b64 exec, exec, s[28:29]
	s_add_u32 s8, s8, 1
	s_addc_u32 s9, s9, 0
	s_cmp_eq_u64 s[8:9], s[2:3]
	v_add_u32_e32 v5, s11, v5
	s_cbranch_scc1 .LBB70_48
.LBB70_30:                              ; =>This Loop Header: Depth=1
                                        ;     Child Loop BB70_33 Depth 2
	v_mad_u64_u32 v[30:31], s[28:29], s8, v36, v[10:11]
	s_mul_i32 s16, s9, s7
	v_add_u32_e32 v31, s16, v31
	v_cmp_gt_i64_e32 vcc, s[24:25], v[30:31]
	s_and_saveexec_b64 s[28:29], vcc
	s_cbranch_execz .LBB70_29
; %bb.31:                               ;   in Loop: Header=BB70_30 Depth=1
	v_pk_mov_b32 v[32:33], s[26:27], s[26:27] op_sel:[0,1]
	v_mul_lo_u32 v29, v31, s26
	v_mul_lo_u32 v38, v30, s27
	v_mad_u64_u32 v[32:33], s[30:31], v30, s26, v[32:33]
	v_add3_u32 v33, v29, v33, v38
	v_mov_b32_e32 v28, s23
	v_cmp_gt_i64_e32 vcc, s[22:23], v[32:33]
	s_waitcnt lgkmcnt(0)
	v_mad_u64_u32 v[26:27], s[30:31], v30, s26, v[12:13]
	v_cndmask_b32_e32 v33, v28, v33, vcc
	v_mov_b32_e32 v28, s22
	v_add3_u32 v27, v29, v27, v38
	v_cndmask_b32_e32 v32, v28, v32, vcc
	v_add_co_u32_e32 v34, vcc, 64, v26
	v_addc_co_u32_e32 v35, vcc, 0, v27, vcc
	v_cmp_lt_i64_e32 vcc, v[34:35], v[32:33]
	v_lshlrev_b32_e32 v28, 2, v26
	s_and_saveexec_b64 s[30:31], vcc
	s_cbranch_execz .LBB70_34
; %bb.32:                               ;   in Loop: Header=BB70_30 Depth=1
	ds_read_b32 v31, v28
	s_mov_b64 s[34:35], 0
	v_mov_b32_e32 v27, v5
.LBB70_33:                              ;   Parent Loop BB70_30 Depth=1
                                        ; =>  This Inner Loop Header: Depth=2
	ds_read_b32 v39, v27
	v_add_co_u32_e32 v34, vcc, 64, v34
	v_addc_co_u32_e32 v35, vcc, 0, v35, vcc
	s_waitcnt lgkmcnt(1)
	v_max_f32_e32 v31, v31, v31
	v_cmp_ge_i64_e32 vcc, v[34:35], v[32:33]
	s_waitcnt lgkmcnt(0)
	v_max_f32_e32 v39, v39, v39
	v_add_u32_e32 v27, 0x100, v27
	s_or_b64 s[34:35], vcc, s[34:35]
	v_max_f32_e32 v31, v31, v39
	ds_write_b32 v28, v31
	s_andn2_b64 exec, exec, s[34:35]
	s_cbranch_execnz .LBB70_33
.LBB70_34:                              ;   in Loop: Header=BB70_30 Depth=1
	s_or_b64 exec, exec, s[30:31]
	v_mad_u64_u32 v[30:31], s[30:31], v30, s26, 0
	v_add3_u32 v27, v31, v38, v29
	v_sub_co_u32_e32 v30, vcc, v32, v30
	v_subb_co_u32_e32 v31, vcc, v33, v27, vcc
	v_cmp_gt_i64_e32 vcc, 64, v[30:31]
	v_cndmask_b32_e32 v31, 0, v31, vcc
	v_cndmask_b32_e32 v30, 64, v30, vcc
	v_cmp_lt_i64_e32 vcc, v[14:15], v[30:31]
	s_and_saveexec_b64 s[30:31], vcc
	s_cbranch_execnz .LBB70_46
; %bb.35:                               ;   in Loop: Header=BB70_30 Depth=1
	s_or_b64 exec, exec, s[30:31]
	v_cmp_lt_i64_e32 vcc, v[16:17], v[30:31]
	s_and_saveexec_b64 s[30:31], vcc
	s_cbranch_execnz .LBB70_47
.LBB70_36:                              ;   in Loop: Header=BB70_30 Depth=1
	s_or_b64 exec, exec, s[30:31]
	v_cmp_lt_i64_e32 vcc, v[18:19], v[30:31]
	s_and_saveexec_b64 s[30:31], vcc
	s_cbranch_execz .LBB70_38
.LBB70_37:                              ;   in Loop: Header=BB70_30 Depth=1
	v_mov_b32_e32 v29, s17
	v_add_u32_e32 v32, 32, v28
	v_mov_b32_e32 v33, s17
	flat_load_dword v27, v[28:29] glc
	s_waitcnt vmcnt(0)
	flat_load_dword v34, v[32:33] glc
	s_waitcnt vmcnt(0) lgkmcnt(0)
	v_max_f32_e32 v27, v27, v27
	v_max_f32_e32 v32, v34, v34
	;; [unrolled: 1-line block ×3, first 2 shown]
	flat_store_dword v[28:29], v27
	s_waitcnt vmcnt(0)
.LBB70_38:                              ;   in Loop: Header=BB70_30 Depth=1
	s_or_b64 exec, exec, s[30:31]
	v_cmp_ge_i64_e32 vcc, v[20:21], v[30:31]
	s_and_saveexec_b64 s[30:31], vcc
	s_xor_b64 s[30:31], exec, s[30:31]
; %bb.39:                               ;   in Loop: Header=BB70_30 Depth=1
                                        ; implicit-def: $vgpr28
; %bb.40:                               ;   in Loop: Header=BB70_30 Depth=1
	s_andn2_saveexec_b64 s[30:31], s[30:31]
	s_cbranch_execz .LBB70_42
; %bb.41:                               ;   in Loop: Header=BB70_30 Depth=1
	v_mov_b32_e32 v29, s17
	v_add_u32_e32 v32, 16, v28
	v_mov_b32_e32 v33, s17
	flat_load_dword v27, v[28:29] glc
	s_waitcnt vmcnt(0)
	flat_load_dword v34, v[32:33] glc
	s_waitcnt vmcnt(0) lgkmcnt(0)
	v_max_f32_e32 v27, v27, v27
	v_max_f32_e32 v32, v34, v34
	;; [unrolled: 1-line block ×3, first 2 shown]
	flat_store_dword v[28:29], v27
	s_waitcnt vmcnt(0)
.LBB70_42:                              ;   in Loop: Header=BB70_30 Depth=1
	s_or_b64 exec, exec, s[30:31]
	v_cmp_lt_i64_e32 vcc, v[22:23], v[30:31]
	v_lshlrev_b32_e32 v26, 2, v26
	s_and_saveexec_b64 s[30:31], vcc
	s_cbranch_execz .LBB70_44
; %bb.43:                               ;   in Loop: Header=BB70_30 Depth=1
	v_mov_b32_e32 v27, s17
	v_add_u32_e32 v28, 8, v26
	v_mov_b32_e32 v29, s17
	flat_load_dword v32, v[26:27] glc
	s_waitcnt vmcnt(0)
	flat_load_dword v33, v[28:29] glc
	s_waitcnt vmcnt(0) lgkmcnt(0)
	v_max_f32_e32 v28, v32, v32
	v_max_f32_e32 v29, v33, v33
	;; [unrolled: 1-line block ×3, first 2 shown]
	flat_store_dword v[26:27], v28
	s_waitcnt vmcnt(0)
.LBB70_44:                              ;   in Loop: Header=BB70_30 Depth=1
	s_or_b64 exec, exec, s[30:31]
	v_cmp_lt_i64_e32 vcc, v[24:25], v[30:31]
	s_and_saveexec_b64 s[30:31], vcc
	s_cbranch_execz .LBB70_28
; %bb.45:                               ;   in Loop: Header=BB70_30 Depth=1
	v_mov_b32_e32 v27, s17
	v_add_u32_e32 v28, 4, v26
	v_mov_b32_e32 v29, s17
	flat_load_dword v30, v[26:27] glc
	s_waitcnt vmcnt(0)
	flat_load_dword v31, v[28:29] glc
	s_waitcnt vmcnt(0) lgkmcnt(0)
	v_max_f32_e32 v28, v30, v30
	v_max_f32_e32 v29, v31, v31
	;; [unrolled: 1-line block ×3, first 2 shown]
	flat_store_dword v[26:27], v28
	s_waitcnt vmcnt(0)
	s_branch .LBB70_28
.LBB70_46:                              ;   in Loop: Header=BB70_30 Depth=1
	v_mov_b32_e32 v29, s17
	v_add_u32_e32 v32, 0x80, v28
	v_mov_b32_e32 v33, s17
	flat_load_dword v27, v[28:29] glc
	s_waitcnt vmcnt(0)
	flat_load_dword v34, v[32:33] glc
	s_waitcnt vmcnt(0) lgkmcnt(0)
	v_max_f32_e32 v27, v27, v27
	v_max_f32_e32 v32, v34, v34
	;; [unrolled: 1-line block ×3, first 2 shown]
	flat_store_dword v[28:29], v27
	s_waitcnt vmcnt(0)
	s_or_b64 exec, exec, s[30:31]
	v_cmp_lt_i64_e32 vcc, v[16:17], v[30:31]
	s_and_saveexec_b64 s[30:31], vcc
	s_cbranch_execz .LBB70_36
.LBB70_47:                              ;   in Loop: Header=BB70_30 Depth=1
	v_mov_b32_e32 v29, s17
	v_add_u32_e32 v32, 64, v28
	v_mov_b32_e32 v33, s17
	flat_load_dword v27, v[28:29] glc
	s_waitcnt vmcnt(0)
	flat_load_dword v34, v[32:33] glc
	s_waitcnt vmcnt(0) lgkmcnt(0)
	v_max_f32_e32 v27, v27, v27
	v_max_f32_e32 v32, v34, v34
	;; [unrolled: 1-line block ×3, first 2 shown]
	flat_store_dword v[28:29], v27
	s_waitcnt vmcnt(0)
	s_or_b64 exec, exec, s[30:31]
	v_cmp_lt_i64_e32 vcc, v[18:19], v[30:31]
	s_and_saveexec_b64 s[30:31], vcc
	s_cbranch_execnz .LBB70_37
	s_branch .LBB70_38
.LBB70_48:
	v_cmp_eq_u32_e32 vcc, 0, v4
	v_cmp_lt_i64_e64 s[2:3], v[6:7], v[8:9]
	s_and_b64 s[16:17], vcc, s[2:3]
	s_mul_i32 s8, s25, s6
	s_mul_hi_u32 s9, s24, s6
	s_mul_i32 s2, s24, s6
	s_waitcnt lgkmcnt(0)
	s_barrier
	s_and_saveexec_b64 s[6:7], s[16:17]
	s_cbranch_execz .LBB70_52
; %bb.49:
	s_load_dwordx2 s[4:5], s[4:5], 0x20
	ds_read_b32 v1, v1
	s_waitcnt lgkmcnt(0)
	s_cmp_eq_u64 s[4:5], 0
	s_cbranch_scc1 .LBB70_51
; %bb.50:
	s_load_dword s3, s[4:5], 0x0
	v_max_f32_e32 v1, v1, v1
	s_waitcnt lgkmcnt(0)
	v_max_f32_e64 v4, s3, s3
	v_min_f32_e32 v1, v1, v4
.LBB70_51:
	s_mov_b32 s3, 0x43600000
	v_div_scale_f32 v4, s[4:5], s3, s3, v1
	v_rcp_f32_e32 v5, v4
	v_div_scale_f32 v6, vcc, v1, s3, v1
	v_lshlrev_b64 v[2:3], 2, v[2:3]
	v_fma_f32 v7, -v4, v5, 1.0
	v_fmac_f32_e32 v5, v7, v5
	v_mul_f32_e32 v7, v6, v5
	v_fma_f32 v8, -v4, v7, v6
	v_fmac_f32_e32 v7, v8, v5
	v_fma_f32 v4, -v4, v7, v6
	v_div_fmas_f32 v4, v4, v5, v7
	v_div_fixup_f32 v1, v4, s3, v1
	s_add_i32 s3, s9, s8
	s_lshl_b64 s[4:5], s[2:3], 2
	s_add_u32 s3, s14, s4
	s_addc_u32 s4, s15, s5
	v_mov_b32_e32 v4, s4
	v_add_co_u32_e32 v2, vcc, s3, v2
	v_max_f32_e32 v1, 0x37124925, v1
	v_addc_co_u32_e32 v3, vcc, v4, v3, vcc
	global_store_dword v[2:3], v1, off
.LBB70_52:
	s_or_b64 exec, exec, s[6:7]
	s_barrier
	s_and_saveexec_b64 s[4:5], s[0:1]
	s_cbranch_execz .LBB70_189
; %bb.53:
	s_add_u32 s11, s12, s20
	s_addc_u32 s20, s13, s21
	s_add_i32 s3, s9, s8
	s_lshl_b64 s[0:1], s[2:3], 2
	s_add_u32 s0, s14, s0
	s_addc_u32 s1, s15, s1
	s_mul_i32 s21, s44, 3
	s_lshl_b32 s22, s44, 1
	s_mov_b64 s[2:3], 0
	v_mov_b32_e32 v10, s46
	v_mov_b32_e32 v11, s19
	v_mov_b32_e32 v12, s48
	s_movk_i32 s23, 0x7fff
	v_mov_b32_e32 v13, 0x7fc00000
	v_mov_b32_e32 v14, 0x7fc0
	s_mov_b32 s24, 0x43800000
	s_mov_b32 s25, 0x3bffffff
	;; [unrolled: 1-line block ×4, first 2 shown]
	s_movk_i32 s28, 0x80
	s_mov_b32 s29, 0x4020c0c
	v_mov_b32_e32 v1, 0
	s_branch .LBB70_59
.LBB70_54:                              ;   in Loop: Header=BB70_59 Depth=1
	s_or_b64 exec, exec, s[16:17]
.LBB70_55:                              ;   in Loop: Header=BB70_59 Depth=1
	s_or_b64 exec, exec, s[12:13]
	v_lshlrev_b64 v[8:9], 2, v[0:1]
	v_mov_b32_e32 v0, s20
	v_add_co_u32_e32 v8, vcc, s11, v8
	v_addc_co_u32_e32 v9, vcc, v0, v9, vcc
	v_lshlrev_b32_e32 v0, 16, v7
	v_lshlrev_b32_e32 v3, 8, v3
	v_perm_b32 v0, v4, v0, s29
	v_and_b32_e32 v3, 0xff00, v3
	v_and_b32_e32 v4, 0xff, v6
	s_add_i32 s12, s44, s44
	v_or3_b32 v0, v0, v3, v4
	s_add_i32 s12, s12, s44
	global_store_dword v[8:9], v0, off
	v_add_u32_e32 v0, s12, v2
	v_cmp_le_u32_e32 vcc, s10, v0
	s_orn2_b64 s[12:13], vcc, exec
.LBB70_56:                              ;   in Loop: Header=BB70_59 Depth=1
	s_or_b64 exec, exec, s[8:9]
	s_orn2_b64 s[8:9], s[12:13], exec
.LBB70_57:                              ;   in Loop: Header=BB70_59 Depth=1
	s_or_b64 exec, exec, s[6:7]
	s_orn2_b64 s[6:7], s[8:9], exec
.LBB70_58:                              ;   in Loop: Header=BB70_59 Depth=1
	s_or_b64 exec, exec, s[4:5]
	s_and_b64 s[4:5], exec, s[6:7]
	s_or_b64 s[2:3], s[4:5], s[2:3]
	s_andn2_b64 exec, exec, s[2:3]
	s_cbranch_execz .LBB70_189
.LBB70_59:                              ; =>This Inner Loop Header: Depth=1
	v_lshlrev_b64 v[2:3], 3, v[0:1]
	v_add_co_u32_e32 v4, vcc, s33, v2
	v_addc_co_u32_e32 v5, vcc, v10, v3, vcc
	global_load_dwordx2 v[8:9], v[4:5], off
	v_add_co_u32_e32 v4, vcc, s47, v2
	v_addc_co_u32_e32 v5, vcc, v12, v3, vcc
	global_load_dwordx2 v[16:17], v[4:5], off
	;; [unrolled: 3-line block ×3, first 2 shown]
	v_lshrrev_b32_e32 v6, 3, v0
	v_and_b32_e32 v6, 0x7fffffc, v6
	global_load_dword v7, v6, s[0:1]
	v_mov_b32_e32 v6, 0x80
	s_waitcnt vmcnt(3)
	v_and_b32_e32 v15, 0xffff0000, v8
	v_lshlrev_b32_e32 v18, 16, v8
	v_alignbit_b32 v8, v9, v8, 16
	v_and_b32_e32 v9, 0xffff0000, v9
	v_and_b32_e32 v22, 0xffff0000, v8
	s_waitcnt vmcnt(2)
	v_and_b32_e32 v19, 0xffff0000, v16
	v_lshlrev_b32_e32 v20, 16, v16
	v_alignbit_b32 v16, v17, v16, 16
	v_and_b32_e32 v17, 0xffff0000, v17
	v_add_f32_e32 v8, v9, v17
	v_add_f32_e32 v15, v15, v19
	v_bfe_u32 v19, v8, 16, 1
	v_add_f32_e32 v18, v18, v20
	v_and_b32_e32 v16, 0xffff0000, v16
	v_bfe_u32 v17, v15, 16, 1
	v_add3_u32 v19, v8, v19, s23
	v_add_f32_e32 v9, v22, v16
	v_bfe_u32 v16, v18, 16, 1
	v_add3_u32 v17, v15, v17, s23
	v_and_b32_e32 v19, 0xffff0000, v19
	v_cmp_o_f32_e32 vcc, v8, v8
	v_mul_f32_e32 v20, v37, v18
	v_add3_u32 v16, v18, v16, s23
	v_bfe_u32 v22, v9, 16, 1
	v_and_b32_e32 v17, 0xffff0000, v17
	v_cndmask_b32_e32 v19, v13, v19, vcc
	v_cmp_o_f32_e32 vcc, v15, v15
	v_bfe_u32 v23, v20, 16, 1
	v_lshrrev_b32_e32 v16, 16, v16
	v_add3_u32 v22, v9, v22, s23
	v_cndmask_b32_e32 v17, v13, v17, vcc
	v_cmp_o_f32_e32 vcc, v18, v18
	v_add3_u32 v23, v20, v23, s23
	v_lshrrev_b32_e32 v22, 16, v22
	v_cndmask_b32_e32 v16, v14, v16, vcc
	v_cmp_o_f32_e32 vcc, v9, v9
	v_and_b32_e32 v18, 0xffff0000, v23
	v_cndmask_b32_e32 v22, v14, v22, vcc
	v_cmp_o_f32_e32 vcc, v20, v20
	s_waitcnt vmcnt(1)
	v_lshlrev_b32_e32 v21, 16, v2
	v_cndmask_b32_e32 v18, v13, v18, vcc
	v_mul_f32_e32 v18, v18, v21
	v_or_b32_e32 v16, v16, v17
	v_or3_b32 v17, 0, v22, v19
	v_bfe_u32 v19, v18, 16, 1
	v_add3_u32 v19, v18, v19, s23
	v_and_b32_e32 v19, 0xffff0000, v19
	v_cmp_o_f32_e32 vcc, v18, v18
	v_cndmask_b32_e32 v18, v13, v19, vcc
	s_waitcnt vmcnt(0)
	v_div_scale_f32 v19, s[4:5], v7, v7, v18
	v_rcp_f32_e32 v20, v19
	v_or3_b32 v16, v16, 0, 0
	global_store_dwordx2 v[4:5], v[16:17], off
	v_div_scale_f32 v4, vcc, v18, v7, v18
	v_fma_f32 v5, -v19, v20, 1.0
	v_fmac_f32_e32 v20, v5, v20
	v_mul_f32_e32 v5, v4, v20
	v_fma_f32 v16, -v19, v5, v4
	v_fmac_f32_e32 v5, v16, v20
	v_fma_f32 v4, -v19, v5, v4
	v_div_fmas_f32 v4, v4, v20, v5
	v_div_fixup_f32 v4, v4, v7, v18
	v_min_f32_e32 v4, 0x43600000, v4
	v_max_f32_e32 v5, 0xc3600000, v4
	v_and_b32_e32 v16, 0x7fffffff, v5
	v_cmp_gt_u32_e32 vcc, s24, v16
	v_mov_b32_e32 v4, 0x80
	s_and_saveexec_b64 s[4:5], vcc
	s_cbranch_execz .LBB70_65
; %bb.60:                               ;   in Loop: Header=BB70_59 Depth=1
	v_cmp_lt_u32_e32 vcc, s25, v16
	s_mov_b64 s[6:7], 0
                                        ; implicit-def: $vgpr16
	s_and_saveexec_b64 s[8:9], vcc
	s_xor_b64 s[8:9], exec, s[8:9]
	s_cbranch_execnz .LBB70_156
; %bb.61:                               ;   in Loop: Header=BB70_59 Depth=1
	s_or_saveexec_b64 s[8:9], s[8:9]
                                        ; implicit-def: $sgpr12
	s_xor_b64 exec, exec, s[8:9]
	s_cbranch_execnz .LBB70_157
.LBB70_62:                              ;   in Loop: Header=BB70_59 Depth=1
	s_or_b64 exec, exec, s[8:9]
	v_mov_b32_e32 v4, s12
	s_and_saveexec_b64 s[8:9], s[6:7]
.LBB70_63:                              ;   in Loop: Header=BB70_59 Depth=1
	v_lshrrev_b32_e32 v4, 24, v5
	v_and_or_b32 v4, v4, s28, v16
.LBB70_64:                              ;   in Loop: Header=BB70_59 Depth=1
	s_or_b64 exec, exec, s[8:9]
.LBB70_65:                              ;   in Loop: Header=BB70_59 Depth=1
	s_or_b64 exec, exec, s[4:5]
	v_mul_f32_e32 v15, v37, v15
	v_bfe_u32 v16, v15, 16, 1
	v_add3_u32 v16, v15, v16, s23
	v_and_b32_e32 v16, 0xffff0000, v16
	v_cmp_o_f32_e32 vcc, v15, v15
	v_and_b32_e32 v5, 0xffff0000, v2
	v_cndmask_b32_e32 v15, v13, v16, vcc
	v_mul_f32_e32 v5, v15, v5
	v_bfe_u32 v15, v5, 16, 1
	v_add3_u32 v15, v5, v15, s23
	v_and_b32_e32 v15, 0xffff0000, v15
	v_cmp_o_f32_e32 vcc, v5, v5
	v_cndmask_b32_e32 v5, v13, v15, vcc
	v_div_scale_f32 v15, s[4:5], v7, v7, v5
	v_rcp_f32_e32 v16, v15
	v_fma_f32 v17, -v15, v16, 1.0
	v_fmac_f32_e32 v16, v17, v16
	v_div_scale_f32 v17, vcc, v5, v7, v5
	v_mul_f32_e32 v18, v17, v16
	v_fma_f32 v19, -v15, v18, v17
	v_fmac_f32_e32 v18, v19, v16
	v_fma_f32 v15, -v15, v18, v17
	v_div_fmas_f32 v15, v15, v16, v18
	v_div_fixup_f32 v5, v15, v7, v5
	v_min_f32_e32 v5, 0x43600000, v5
	v_max_f32_e32 v5, 0xc3600000, v5
	v_and_b32_e32 v15, 0x7fffffff, v5
	v_cmp_gt_u32_e32 vcc, s24, v15
	s_and_saveexec_b64 s[4:5], vcc
	s_cbranch_execz .LBB70_71
; %bb.66:                               ;   in Loop: Header=BB70_59 Depth=1
	v_cmp_lt_u32_e32 vcc, s25, v15
	s_mov_b64 s[6:7], 0
                                        ; implicit-def: $vgpr15
	s_and_saveexec_b64 s[8:9], vcc
	s_xor_b64 s[8:9], exec, s[8:9]
	s_cbranch_execnz .LBB70_158
; %bb.67:                               ;   in Loop: Header=BB70_59 Depth=1
	s_or_saveexec_b64 s[8:9], s[8:9]
                                        ; implicit-def: $sgpr12
	s_xor_b64 exec, exec, s[8:9]
	s_cbranch_execnz .LBB70_159
.LBB70_68:                              ;   in Loop: Header=BB70_59 Depth=1
	s_or_b64 exec, exec, s[8:9]
	v_mov_b32_e32 v6, s12
	s_and_saveexec_b64 s[8:9], s[6:7]
.LBB70_69:                              ;   in Loop: Header=BB70_59 Depth=1
	v_lshrrev_b32_e32 v5, 24, v5
	v_and_or_b32 v6, v5, s28, v15
.LBB70_70:                              ;   in Loop: Header=BB70_59 Depth=1
	s_or_b64 exec, exec, s[8:9]
.LBB70_71:                              ;   in Loop: Header=BB70_59 Depth=1
	s_or_b64 exec, exec, s[4:5]
	v_mul_f32_e32 v5, v37, v9
	v_bfe_u32 v9, v5, 16, 1
	v_add3_u32 v9, v5, v9, s23
	v_and_b32_e32 v9, 0xffff0000, v9
	v_cmp_o_f32_e32 vcc, v5, v5
	v_alignbit_b32 v2, v3, v2, 16
	v_cndmask_b32_e32 v5, v13, v9, vcc
	v_and_b32_e32 v2, 0xffff0000, v2
	v_mul_f32_e32 v2, v5, v2
	v_bfe_u32 v5, v2, 16, 1
	v_add3_u32 v5, v2, v5, s23
	v_and_b32_e32 v5, 0xffff0000, v5
	v_cmp_o_f32_e32 vcc, v2, v2
	v_cndmask_b32_e32 v2, v13, v5, vcc
	v_div_scale_f32 v5, s[4:5], v7, v7, v2
	v_rcp_f32_e32 v9, v5
	v_fma_f32 v15, -v5, v9, 1.0
	v_fmac_f32_e32 v9, v15, v9
	v_div_scale_f32 v15, vcc, v2, v7, v2
	v_mul_f32_e32 v16, v15, v9
	v_fma_f32 v17, -v5, v16, v15
	v_fmac_f32_e32 v16, v17, v9
	v_fma_f32 v5, -v5, v16, v15
	v_div_fmas_f32 v5, v5, v9, v16
	v_div_fixup_f32 v2, v5, v7, v2
	v_min_f32_e32 v2, 0x43600000, v2
	v_max_f32_e32 v9, 0xc3600000, v2
	v_and_b32_e32 v15, 0x7fffffff, v9
	v_cmp_gt_u32_e32 vcc, s24, v15
	v_mov_b32_e32 v2, 0x80
	v_mov_b32_e32 v5, 0x80
	s_and_saveexec_b64 s[4:5], vcc
	s_cbranch_execz .LBB70_77
; %bb.72:                               ;   in Loop: Header=BB70_59 Depth=1
	v_cmp_lt_u32_e32 vcc, s25, v15
	s_mov_b64 s[6:7], 0
                                        ; implicit-def: $vgpr15
	s_and_saveexec_b64 s[8:9], vcc
	s_xor_b64 s[8:9], exec, s[8:9]
	s_cbranch_execnz .LBB70_160
; %bb.73:                               ;   in Loop: Header=BB70_59 Depth=1
	s_or_saveexec_b64 s[8:9], s[8:9]
                                        ; implicit-def: $sgpr12
	s_xor_b64 exec, exec, s[8:9]
	s_cbranch_execnz .LBB70_161
.LBB70_74:                              ;   in Loop: Header=BB70_59 Depth=1
	s_or_b64 exec, exec, s[8:9]
	v_mov_b32_e32 v5, s12
	s_and_saveexec_b64 s[8:9], s[6:7]
.LBB70_75:                              ;   in Loop: Header=BB70_59 Depth=1
	v_lshrrev_b32_e32 v5, 24, v9
	v_and_or_b32 v5, v5, s28, v15
.LBB70_76:                              ;   in Loop: Header=BB70_59 Depth=1
	s_or_b64 exec, exec, s[8:9]
.LBB70_77:                              ;   in Loop: Header=BB70_59 Depth=1
	s_or_b64 exec, exec, s[4:5]
	v_mul_f32_e32 v8, v37, v8
	v_bfe_u32 v9, v8, 16, 1
	v_add3_u32 v9, v8, v9, s23
	v_and_b32_e32 v9, 0xffff0000, v9
	v_cmp_o_f32_e32 vcc, v8, v8
	v_cndmask_b32_e32 v8, v13, v9, vcc
	v_and_b32_e32 v3, 0xffff0000, v3
	v_mul_f32_e32 v3, v8, v3
	v_bfe_u32 v8, v3, 16, 1
	v_add3_u32 v8, v3, v8, s23
	v_and_b32_e32 v8, 0xffff0000, v8
	v_cmp_o_f32_e32 vcc, v3, v3
	v_cndmask_b32_e32 v3, v13, v8, vcc
	v_div_scale_f32 v8, s[4:5], v7, v7, v3
	v_rcp_f32_e32 v9, v8
	v_fma_f32 v15, -v8, v9, 1.0
	v_fmac_f32_e32 v9, v15, v9
	v_div_scale_f32 v15, vcc, v3, v7, v3
	v_mul_f32_e32 v16, v15, v9
	v_fma_f32 v17, -v8, v16, v15
	v_fmac_f32_e32 v16, v17, v9
	v_fma_f32 v8, -v8, v16, v15
	v_div_fmas_f32 v8, v8, v9, v16
	v_div_fixup_f32 v3, v8, v7, v3
	v_min_f32_e32 v3, 0x43600000, v3
	v_max_f32_e32 v3, 0xc3600000, v3
	v_and_b32_e32 v7, 0x7fffffff, v3
	v_cmp_gt_u32_e32 vcc, s24, v7
	s_and_saveexec_b64 s[4:5], vcc
	s_cbranch_execz .LBB70_83
; %bb.78:                               ;   in Loop: Header=BB70_59 Depth=1
	v_cmp_lt_u32_e32 vcc, s25, v7
	s_mov_b64 s[6:7], 0
                                        ; implicit-def: $vgpr7
	s_and_saveexec_b64 s[8:9], vcc
	s_xor_b64 s[8:9], exec, s[8:9]
	s_cbranch_execnz .LBB70_162
; %bb.79:                               ;   in Loop: Header=BB70_59 Depth=1
	s_or_saveexec_b64 s[8:9], s[8:9]
                                        ; implicit-def: $sgpr12
	s_xor_b64 exec, exec, s[8:9]
	s_cbranch_execnz .LBB70_163
.LBB70_80:                              ;   in Loop: Header=BB70_59 Depth=1
	s_or_b64 exec, exec, s[8:9]
	v_mov_b32_e32 v2, s12
	s_and_saveexec_b64 s[8:9], s[6:7]
.LBB70_81:                              ;   in Loop: Header=BB70_59 Depth=1
	v_lshrrev_b32_e32 v2, 24, v3
	v_and_or_b32 v2, v2, s28, v7
.LBB70_82:                              ;   in Loop: Header=BB70_59 Depth=1
	s_or_b64 exec, exec, s[8:9]
.LBB70_83:                              ;   in Loop: Header=BB70_59 Depth=1
	s_or_b64 exec, exec, s[4:5]
	v_lshlrev_b64 v[8:9], 2, v[0:1]
	v_mov_b32_e32 v3, s20
	v_add_co_u32_e32 v8, vcc, s11, v8
	v_addc_co_u32_e32 v9, vcc, v3, v9, vcc
	v_lshlrev_b32_e32 v3, 16, v5
	v_perm_b32 v2, v2, v3, s29
	v_lshlrev_b32_e32 v3, 8, v6
	v_and_b32_e32 v3, 0xff00, v3
	v_and_b32_e32 v4, 0xff, v4
	v_or3_b32 v2, v2, v3, v4
	global_store_dword v[8:9], v2, off
	v_add_u32_e32 v2, s44, v0
	v_cmp_gt_u32_e32 vcc, s10, v2
	s_mov_b64 s[6:7], -1
	s_and_saveexec_b64 s[4:5], vcc
	s_cbranch_execz .LBB70_58
; %bb.84:                               ;   in Loop: Header=BB70_59 Depth=1
	v_mov_b32_e32 v3, v1
	v_lshlrev_b64 v[4:5], 3, v[2:3]
	v_mov_b32_e32 v7, s46
	v_add_co_u32_e32 v6, vcc, s33, v4
	v_addc_co_u32_e32 v7, vcc, v7, v5, vcc
	global_load_dwordx2 v[16:17], v[6:7], off
	v_mov_b32_e32 v7, s48
	v_add_co_u32_e32 v6, vcc, s47, v4
	v_addc_co_u32_e32 v7, vcc, v7, v5, vcc
	global_load_dwordx2 v[18:19], v[6:7], off
	;; [unrolled: 4-line block ×3, first 2 shown]
	v_lshrrev_b32_e32 v8, 3, v2
	v_and_b32_e32 v8, 0x7fffffc, v8
	global_load_dword v9, v8, s[0:1]
	v_mov_b32_e32 v8, 0x80
	s_waitcnt vmcnt(3)
	v_and_b32_e32 v15, 0xffff0000, v16
	v_lshlrev_b32_e32 v20, 16, v16
	v_alignbit_b32 v16, v17, v16, 16
	v_and_b32_e32 v21, 0xffff0000, v17
	v_and_b32_e32 v16, 0xffff0000, v16
	s_waitcnt vmcnt(2)
	v_and_b32_e32 v17, 0xffff0000, v18
	v_lshlrev_b32_e32 v22, 16, v18
	v_alignbit_b32 v18, v19, v18, 16
	v_and_b32_e32 v19, 0xffff0000, v19
	v_add_f32_e32 v17, v15, v17
	v_add_f32_e32 v15, v21, v19
	v_bfe_u32 v21, v15, 16, 1
	v_add_f32_e32 v20, v20, v22
	v_and_b32_e32 v18, 0xffff0000, v18
	v_bfe_u32 v19, v17, 16, 1
	v_add3_u32 v21, v15, v21, s23
	v_add_f32_e32 v16, v16, v18
	v_bfe_u32 v18, v20, 16, 1
	v_add3_u32 v19, v17, v19, s23
	v_and_b32_e32 v21, 0xffff0000, v21
	v_cmp_o_f32_e32 vcc, v15, v15
	v_mul_f32_e32 v22, v37, v20
	v_add3_u32 v18, v20, v18, s23
	v_bfe_u32 v24, v16, 16, 1
	v_and_b32_e32 v19, 0xffff0000, v19
	v_cndmask_b32_e32 v21, v13, v21, vcc
	v_cmp_o_f32_e32 vcc, v17, v17
	v_bfe_u32 v25, v22, 16, 1
	v_lshrrev_b32_e32 v18, 16, v18
	v_add3_u32 v24, v16, v24, s23
	v_cndmask_b32_e32 v19, v13, v19, vcc
	v_cmp_o_f32_e32 vcc, v20, v20
	v_add3_u32 v25, v22, v25, s23
	v_lshrrev_b32_e32 v24, 16, v24
	v_cndmask_b32_e32 v18, v14, v18, vcc
	v_cmp_o_f32_e32 vcc, v16, v16
	v_and_b32_e32 v20, 0xffff0000, v25
	v_cndmask_b32_e32 v24, v14, v24, vcc
	v_cmp_o_f32_e32 vcc, v22, v22
	s_waitcnt vmcnt(1)
	v_lshlrev_b32_e32 v23, 16, v4
	v_cndmask_b32_e32 v20, v13, v20, vcc
	v_mul_f32_e32 v20, v20, v23
	v_or_b32_e32 v18, v18, v19
	v_or3_b32 v19, 0, v24, v21
	v_bfe_u32 v21, v20, 16, 1
	v_add3_u32 v21, v20, v21, s23
	v_and_b32_e32 v21, 0xffff0000, v21
	v_cmp_o_f32_e32 vcc, v20, v20
	v_cndmask_b32_e32 v20, v13, v21, vcc
	s_waitcnt vmcnt(0)
	v_div_scale_f32 v21, s[6:7], v9, v9, v20
	v_rcp_f32_e32 v22, v21
	v_or3_b32 v18, v18, 0, 0
	global_store_dwordx2 v[6:7], v[18:19], off
	v_div_scale_f32 v6, vcc, v20, v9, v20
	v_fma_f32 v7, -v21, v22, 1.0
	v_fmac_f32_e32 v22, v7, v22
	v_mul_f32_e32 v7, v6, v22
	v_fma_f32 v18, -v21, v7, v6
	v_fmac_f32_e32 v7, v18, v22
	v_fma_f32 v6, -v21, v7, v6
	v_div_fmas_f32 v6, v6, v22, v7
	v_div_fixup_f32 v6, v6, v9, v20
	v_min_f32_e32 v6, 0x43600000, v6
	v_max_f32_e32 v7, 0xc3600000, v6
	v_and_b32_e32 v18, 0x7fffffff, v7
	v_cmp_gt_u32_e32 vcc, s24, v18
	v_mov_b32_e32 v6, 0x80
	s_and_saveexec_b64 s[6:7], vcc
	s_cbranch_execz .LBB70_90
; %bb.85:                               ;   in Loop: Header=BB70_59 Depth=1
	v_cmp_lt_u32_e32 vcc, s25, v18
	s_mov_b64 s[8:9], 0
                                        ; implicit-def: $vgpr18
	s_and_saveexec_b64 s[12:13], vcc
	s_xor_b64 s[12:13], exec, s[12:13]
	s_cbranch_execnz .LBB70_164
; %bb.86:                               ;   in Loop: Header=BB70_59 Depth=1
	s_or_saveexec_b64 s[12:13], s[12:13]
                                        ; implicit-def: $sgpr14
	s_xor_b64 exec, exec, s[12:13]
	s_cbranch_execnz .LBB70_165
.LBB70_87:                              ;   in Loop: Header=BB70_59 Depth=1
	s_or_b64 exec, exec, s[12:13]
	v_mov_b32_e32 v6, s14
	s_and_saveexec_b64 s[12:13], s[8:9]
.LBB70_88:                              ;   in Loop: Header=BB70_59 Depth=1
	v_lshrrev_b32_e32 v6, 24, v7
	v_and_or_b32 v6, v6, s28, v18
.LBB70_89:                              ;   in Loop: Header=BB70_59 Depth=1
	s_or_b64 exec, exec, s[12:13]
.LBB70_90:                              ;   in Loop: Header=BB70_59 Depth=1
	s_or_b64 exec, exec, s[6:7]
	v_mul_f32_e32 v17, v37, v17
	v_bfe_u32 v18, v17, 16, 1
	v_add3_u32 v18, v17, v18, s23
	v_and_b32_e32 v18, 0xffff0000, v18
	v_cmp_o_f32_e32 vcc, v17, v17
	v_and_b32_e32 v7, 0xffff0000, v4
	v_cndmask_b32_e32 v17, v13, v18, vcc
	v_mul_f32_e32 v7, v17, v7
	v_bfe_u32 v17, v7, 16, 1
	v_add3_u32 v17, v7, v17, s23
	v_and_b32_e32 v17, 0xffff0000, v17
	v_cmp_o_f32_e32 vcc, v7, v7
	v_cndmask_b32_e32 v7, v13, v17, vcc
	v_div_scale_f32 v17, s[6:7], v9, v9, v7
	v_rcp_f32_e32 v18, v17
	v_fma_f32 v19, -v17, v18, 1.0
	v_fmac_f32_e32 v18, v19, v18
	v_div_scale_f32 v19, vcc, v7, v9, v7
	v_mul_f32_e32 v20, v19, v18
	v_fma_f32 v21, -v17, v20, v19
	v_fmac_f32_e32 v20, v21, v18
	v_fma_f32 v17, -v17, v20, v19
	v_div_fmas_f32 v17, v17, v18, v20
	v_div_fixup_f32 v7, v17, v9, v7
	v_min_f32_e32 v7, 0x43600000, v7
	v_max_f32_e32 v7, 0xc3600000, v7
	v_and_b32_e32 v17, 0x7fffffff, v7
	v_cmp_gt_u32_e32 vcc, s24, v17
	s_and_saveexec_b64 s[6:7], vcc
	s_cbranch_execz .LBB70_96
; %bb.91:                               ;   in Loop: Header=BB70_59 Depth=1
	v_cmp_lt_u32_e32 vcc, s25, v17
	s_mov_b64 s[8:9], 0
                                        ; implicit-def: $vgpr17
	s_and_saveexec_b64 s[12:13], vcc
	s_xor_b64 s[12:13], exec, s[12:13]
	s_cbranch_execnz .LBB70_166
; %bb.92:                               ;   in Loop: Header=BB70_59 Depth=1
	s_or_saveexec_b64 s[12:13], s[12:13]
                                        ; implicit-def: $sgpr14
	s_xor_b64 exec, exec, s[12:13]
	s_cbranch_execnz .LBB70_167
.LBB70_93:                              ;   in Loop: Header=BB70_59 Depth=1
	s_or_b64 exec, exec, s[12:13]
	v_mov_b32_e32 v8, s14
	s_and_saveexec_b64 s[12:13], s[8:9]
.LBB70_94:                              ;   in Loop: Header=BB70_59 Depth=1
	v_lshrrev_b32_e32 v7, 24, v7
	v_and_or_b32 v8, v7, s28, v17
.LBB70_95:                              ;   in Loop: Header=BB70_59 Depth=1
	s_or_b64 exec, exec, s[12:13]
.LBB70_96:                              ;   in Loop: Header=BB70_59 Depth=1
	s_or_b64 exec, exec, s[6:7]
	v_mul_f32_e32 v7, v37, v16
	v_bfe_u32 v16, v7, 16, 1
	v_add3_u32 v16, v7, v16, s23
	v_and_b32_e32 v16, 0xffff0000, v16
	v_cmp_o_f32_e32 vcc, v7, v7
	v_alignbit_b32 v4, v5, v4, 16
	v_cndmask_b32_e32 v7, v13, v16, vcc
	v_and_b32_e32 v4, 0xffff0000, v4
	v_mul_f32_e32 v4, v7, v4
	v_bfe_u32 v7, v4, 16, 1
	v_add3_u32 v7, v4, v7, s23
	v_and_b32_e32 v7, 0xffff0000, v7
	v_cmp_o_f32_e32 vcc, v4, v4
	v_cndmask_b32_e32 v4, v13, v7, vcc
	v_div_scale_f32 v7, s[6:7], v9, v9, v4
	v_rcp_f32_e32 v16, v7
	v_fma_f32 v17, -v7, v16, 1.0
	v_fmac_f32_e32 v16, v17, v16
	v_div_scale_f32 v17, vcc, v4, v9, v4
	v_mul_f32_e32 v18, v17, v16
	v_fma_f32 v19, -v7, v18, v17
	v_fmac_f32_e32 v18, v19, v16
	v_fma_f32 v7, -v7, v18, v17
	v_div_fmas_f32 v7, v7, v16, v18
	v_div_fixup_f32 v4, v7, v9, v4
	v_min_f32_e32 v4, 0x43600000, v4
	v_max_f32_e32 v16, 0xc3600000, v4
	v_and_b32_e32 v17, 0x7fffffff, v16
	v_cmp_gt_u32_e32 vcc, s24, v17
	v_mov_b32_e32 v4, 0x80
	v_mov_b32_e32 v7, 0x80
	s_and_saveexec_b64 s[6:7], vcc
	s_cbranch_execz .LBB70_102
; %bb.97:                               ;   in Loop: Header=BB70_59 Depth=1
	v_cmp_lt_u32_e32 vcc, s25, v17
	s_mov_b64 s[8:9], 0
                                        ; implicit-def: $vgpr17
	s_and_saveexec_b64 s[12:13], vcc
	s_xor_b64 s[12:13], exec, s[12:13]
	s_cbranch_execnz .LBB70_168
; %bb.98:                               ;   in Loop: Header=BB70_59 Depth=1
	s_or_saveexec_b64 s[12:13], s[12:13]
                                        ; implicit-def: $sgpr14
	s_xor_b64 exec, exec, s[12:13]
	s_cbranch_execnz .LBB70_169
.LBB70_99:                              ;   in Loop: Header=BB70_59 Depth=1
	s_or_b64 exec, exec, s[12:13]
	v_mov_b32_e32 v7, s14
	s_and_saveexec_b64 s[12:13], s[8:9]
.LBB70_100:                             ;   in Loop: Header=BB70_59 Depth=1
	v_lshrrev_b32_e32 v7, 24, v16
	v_and_or_b32 v7, v7, s28, v17
.LBB70_101:                             ;   in Loop: Header=BB70_59 Depth=1
	s_or_b64 exec, exec, s[12:13]
.LBB70_102:                             ;   in Loop: Header=BB70_59 Depth=1
	s_or_b64 exec, exec, s[6:7]
	v_mul_f32_e32 v15, v37, v15
	v_bfe_u32 v16, v15, 16, 1
	v_add3_u32 v16, v15, v16, s23
	v_and_b32_e32 v16, 0xffff0000, v16
	v_cmp_o_f32_e32 vcc, v15, v15
	v_cndmask_b32_e32 v15, v13, v16, vcc
	v_and_b32_e32 v5, 0xffff0000, v5
	v_mul_f32_e32 v5, v15, v5
	v_bfe_u32 v15, v5, 16, 1
	v_add3_u32 v15, v5, v15, s23
	v_and_b32_e32 v15, 0xffff0000, v15
	v_cmp_o_f32_e32 vcc, v5, v5
	v_cndmask_b32_e32 v5, v13, v15, vcc
	v_div_scale_f32 v15, s[6:7], v9, v9, v5
	v_rcp_f32_e32 v16, v15
	v_fma_f32 v17, -v15, v16, 1.0
	v_fmac_f32_e32 v16, v17, v16
	v_div_scale_f32 v17, vcc, v5, v9, v5
	v_mul_f32_e32 v18, v17, v16
	v_fma_f32 v19, -v15, v18, v17
	v_fmac_f32_e32 v18, v19, v16
	v_fma_f32 v15, -v15, v18, v17
	v_div_fmas_f32 v15, v15, v16, v18
	v_div_fixup_f32 v5, v15, v9, v5
	v_min_f32_e32 v5, 0x43600000, v5
	v_max_f32_e32 v5, 0xc3600000, v5
	v_and_b32_e32 v9, 0x7fffffff, v5
	v_cmp_gt_u32_e32 vcc, s24, v9
	s_and_saveexec_b64 s[6:7], vcc
	s_cbranch_execz .LBB70_108
; %bb.103:                              ;   in Loop: Header=BB70_59 Depth=1
	v_cmp_lt_u32_e32 vcc, s25, v9
	s_mov_b64 s[8:9], 0
                                        ; implicit-def: $vgpr9
	s_and_saveexec_b64 s[12:13], vcc
	s_xor_b64 s[12:13], exec, s[12:13]
	s_cbranch_execnz .LBB70_170
; %bb.104:                              ;   in Loop: Header=BB70_59 Depth=1
	s_or_saveexec_b64 s[12:13], s[12:13]
                                        ; implicit-def: $sgpr14
	s_xor_b64 exec, exec, s[12:13]
	s_cbranch_execnz .LBB70_171
.LBB70_105:                             ;   in Loop: Header=BB70_59 Depth=1
	s_or_b64 exec, exec, s[12:13]
	v_mov_b32_e32 v4, s14
	s_and_saveexec_b64 s[12:13], s[8:9]
.LBB70_106:                             ;   in Loop: Header=BB70_59 Depth=1
	v_lshrrev_b32_e32 v4, 24, v5
	v_and_or_b32 v4, v4, s28, v9
.LBB70_107:                             ;   in Loop: Header=BB70_59 Depth=1
	s_or_b64 exec, exec, s[12:13]
.LBB70_108:                             ;   in Loop: Header=BB70_59 Depth=1
	s_or_b64 exec, exec, s[6:7]
	v_lshlrev_b64 v[16:17], 2, v[2:3]
	v_mov_b32_e32 v3, s20
	v_add_co_u32_e32 v16, vcc, s11, v16
	v_addc_co_u32_e32 v17, vcc, v3, v17, vcc
	v_lshlrev_b32_e32 v3, 16, v7
	v_perm_b32 v3, v4, v3, s29
	v_lshlrev_b32_e32 v4, 8, v8
	v_and_b32_e32 v4, 0xff00, v4
	v_and_b32_e32 v5, 0xff, v6
	v_or3_b32 v3, v3, v4, v5
	v_add_u32_e32 v4, s22, v0
	v_cmp_gt_u32_e32 vcc, s10, v4
	s_mov_b64 s[8:9], -1
	global_store_dword v[16:17], v3, off
	s_and_saveexec_b64 s[6:7], vcc
	s_cbranch_execz .LBB70_57
; %bb.109:                              ;   in Loop: Header=BB70_59 Depth=1
	v_mov_b32_e32 v5, v1
	v_lshlrev_b64 v[6:7], 3, v[4:5]
	v_mov_b32_e32 v3, s46
	v_add_co_u32_e32 v8, vcc, s33, v6
	v_addc_co_u32_e32 v9, vcc, v3, v7, vcc
	global_load_dwordx2 v[16:17], v[8:9], off
	v_mov_b32_e32 v9, s48
	v_add_co_u32_e32 v8, vcc, s47, v6
	v_addc_co_u32_e32 v9, vcc, v9, v7, vcc
	global_load_dwordx2 v[18:19], v[8:9], off
	;; [unrolled: 4-line block ×3, first 2 shown]
	v_lshrrev_b32_e32 v3, 3, v4
	v_and_b32_e32 v3, 0x7fffffc, v3
	global_load_dword v15, v3, s[0:1]
	v_mov_b32_e32 v3, 0x80
	s_waitcnt vmcnt(3)
	v_and_b32_e32 v20, 0xffff0000, v16
	v_lshlrev_b32_e32 v21, 16, v16
	v_alignbit_b32 v16, v17, v16, 16
	v_and_b32_e32 v17, 0xffff0000, v17
	v_and_b32_e32 v26, 0xffff0000, v16
	s_waitcnt vmcnt(2)
	v_alignbit_b32 v24, v19, v18, 16
	v_and_b32_e32 v19, 0xffff0000, v19
	v_and_b32_e32 v22, 0xffff0000, v18
	v_add_f32_e32 v16, v17, v19
	v_lshlrev_b32_e32 v23, 16, v18
	v_add_f32_e32 v18, v20, v22
	v_and_b32_e32 v20, 0xffff0000, v24
	v_bfe_u32 v22, v16, 16, 1
	v_add_f32_e32 v21, v21, v23
	v_add_f32_e32 v17, v26, v20
	v_bfe_u32 v20, v18, 16, 1
	v_add3_u32 v22, v16, v22, s23
	v_bfe_u32 v19, v21, 16, 1
	v_add3_u32 v20, v18, v20, s23
	v_and_b32_e32 v22, 0xffff0000, v22
	v_cmp_o_f32_e32 vcc, v16, v16
	v_mul_f32_e32 v23, v37, v21
	v_add3_u32 v19, v21, v19, s23
	v_bfe_u32 v24, v17, 16, 1
	v_and_b32_e32 v20, 0xffff0000, v20
	v_cndmask_b32_e32 v22, v13, v22, vcc
	v_cmp_o_f32_e32 vcc, v18, v18
	v_bfe_u32 v26, v23, 16, 1
	v_lshrrev_b32_e32 v19, 16, v19
	v_add3_u32 v24, v17, v24, s23
	v_cndmask_b32_e32 v20, v13, v20, vcc
	v_cmp_o_f32_e32 vcc, v21, v21
	v_add3_u32 v26, v23, v26, s23
	v_lshrrev_b32_e32 v24, 16, v24
	v_cndmask_b32_e32 v19, v14, v19, vcc
	v_cmp_o_f32_e32 vcc, v17, v17
	v_and_b32_e32 v21, 0xffff0000, v26
	v_cndmask_b32_e32 v24, v14, v24, vcc
	v_cmp_o_f32_e32 vcc, v23, v23
	s_waitcnt vmcnt(1)
	v_lshlrev_b32_e32 v25, 16, v6
	v_or_b32_e32 v19, v19, v20
	v_cndmask_b32_e32 v23, v13, v21, vcc
	v_or3_b32 v20, v19, 0, 0
	v_mul_f32_e32 v19, v23, v25
	v_or3_b32 v21, 0, v24, v22
	v_bfe_u32 v22, v19, 16, 1
	v_add3_u32 v22, v19, v22, s23
	v_and_b32_e32 v22, 0xffff0000, v22
	v_cmp_o_f32_e32 vcc, v19, v19
	v_cndmask_b32_e32 v19, v13, v22, vcc
	s_waitcnt vmcnt(0)
	v_div_scale_f32 v22, s[8:9], v15, v15, v19
	v_rcp_f32_e32 v23, v22
	global_store_dwordx2 v[8:9], v[20:21], off
	v_div_scale_f32 v8, vcc, v19, v15, v19
	v_fma_f32 v9, -v22, v23, 1.0
	v_fmac_f32_e32 v23, v9, v23
	v_mul_f32_e32 v9, v8, v23
	v_fma_f32 v20, -v22, v9, v8
	v_fmac_f32_e32 v9, v20, v23
	v_fma_f32 v8, -v22, v9, v8
	v_div_fmas_f32 v8, v8, v23, v9
	v_div_fixup_f32 v8, v8, v15, v19
	v_min_f32_e32 v8, 0x43600000, v8
	v_max_f32_e32 v9, 0xc3600000, v8
	v_and_b32_e32 v19, 0x7fffffff, v9
	v_cmp_gt_u32_e32 vcc, s24, v19
	v_mov_b32_e32 v8, 0x80
	s_and_saveexec_b64 s[8:9], vcc
	s_cbranch_execz .LBB70_115
; %bb.110:                              ;   in Loop: Header=BB70_59 Depth=1
	v_cmp_lt_u32_e32 vcc, s25, v19
	s_mov_b64 s[12:13], 0
                                        ; implicit-def: $vgpr19
	s_and_saveexec_b64 s[14:15], vcc
	s_xor_b64 s[14:15], exec, s[14:15]
	s_cbranch_execnz .LBB70_172
; %bb.111:                              ;   in Loop: Header=BB70_59 Depth=1
	s_or_saveexec_b64 s[14:15], s[14:15]
                                        ; implicit-def: $sgpr16
	s_xor_b64 exec, exec, s[14:15]
	s_cbranch_execnz .LBB70_173
.LBB70_112:                             ;   in Loop: Header=BB70_59 Depth=1
	s_or_b64 exec, exec, s[14:15]
	v_mov_b32_e32 v8, s16
	s_and_saveexec_b64 s[14:15], s[12:13]
.LBB70_113:                             ;   in Loop: Header=BB70_59 Depth=1
	v_lshrrev_b32_e32 v8, 24, v9
	v_and_or_b32 v8, v8, s28, v19
.LBB70_114:                             ;   in Loop: Header=BB70_59 Depth=1
	s_or_b64 exec, exec, s[14:15]
.LBB70_115:                             ;   in Loop: Header=BB70_59 Depth=1
	s_or_b64 exec, exec, s[8:9]
	v_mul_f32_e32 v18, v37, v18
	v_bfe_u32 v19, v18, 16, 1
	v_add3_u32 v19, v18, v19, s23
	v_and_b32_e32 v19, 0xffff0000, v19
	v_cmp_o_f32_e32 vcc, v18, v18
	v_and_b32_e32 v9, 0xffff0000, v6
	v_cndmask_b32_e32 v18, v13, v19, vcc
	v_mul_f32_e32 v9, v18, v9
	v_bfe_u32 v18, v9, 16, 1
	v_add3_u32 v18, v9, v18, s23
	v_and_b32_e32 v18, 0xffff0000, v18
	v_cmp_o_f32_e32 vcc, v9, v9
	v_cndmask_b32_e32 v9, v13, v18, vcc
	v_div_scale_f32 v18, s[8:9], v15, v15, v9
	v_rcp_f32_e32 v19, v18
	v_fma_f32 v20, -v18, v19, 1.0
	v_fmac_f32_e32 v19, v20, v19
	v_div_scale_f32 v20, vcc, v9, v15, v9
	v_mul_f32_e32 v21, v20, v19
	v_fma_f32 v22, -v18, v21, v20
	v_fmac_f32_e32 v21, v22, v19
	v_fma_f32 v18, -v18, v21, v20
	v_div_fmas_f32 v18, v18, v19, v21
	v_div_fixup_f32 v9, v18, v15, v9
	v_min_f32_e32 v9, 0x43600000, v9
	v_max_f32_e32 v9, 0xc3600000, v9
	v_and_b32_e32 v18, 0x7fffffff, v9
	v_cmp_gt_u32_e32 vcc, s24, v18
	s_and_saveexec_b64 s[8:9], vcc
	s_cbranch_execz .LBB70_121
; %bb.116:                              ;   in Loop: Header=BB70_59 Depth=1
	v_cmp_lt_u32_e32 vcc, s25, v18
	s_mov_b64 s[12:13], 0
                                        ; implicit-def: $vgpr18
	s_and_saveexec_b64 s[14:15], vcc
	s_xor_b64 s[14:15], exec, s[14:15]
	s_cbranch_execnz .LBB70_174
; %bb.117:                              ;   in Loop: Header=BB70_59 Depth=1
	s_or_saveexec_b64 s[14:15], s[14:15]
                                        ; implicit-def: $sgpr16
	s_xor_b64 exec, exec, s[14:15]
	s_cbranch_execnz .LBB70_175
.LBB70_118:                             ;   in Loop: Header=BB70_59 Depth=1
	s_or_b64 exec, exec, s[14:15]
	v_mov_b32_e32 v3, s16
	s_and_saveexec_b64 s[14:15], s[12:13]
.LBB70_119:                             ;   in Loop: Header=BB70_59 Depth=1
	v_lshrrev_b32_e32 v3, 24, v9
	v_and_or_b32 v3, v3, s28, v18
.LBB70_120:                             ;   in Loop: Header=BB70_59 Depth=1
	s_or_b64 exec, exec, s[14:15]
.LBB70_121:                             ;   in Loop: Header=BB70_59 Depth=1
	s_or_b64 exec, exec, s[8:9]
	v_mul_f32_e32 v9, v37, v17
	v_bfe_u32 v17, v9, 16, 1
	v_add3_u32 v17, v9, v17, s23
	v_and_b32_e32 v17, 0xffff0000, v17
	v_cmp_o_f32_e32 vcc, v9, v9
	v_alignbit_b32 v6, v7, v6, 16
	v_cndmask_b32_e32 v9, v13, v17, vcc
	v_and_b32_e32 v6, 0xffff0000, v6
	v_mul_f32_e32 v6, v9, v6
	v_bfe_u32 v9, v6, 16, 1
	v_add3_u32 v9, v6, v9, s23
	v_and_b32_e32 v9, 0xffff0000, v9
	v_cmp_o_f32_e32 vcc, v6, v6
	v_cndmask_b32_e32 v6, v13, v9, vcc
	v_div_scale_f32 v9, s[8:9], v15, v15, v6
	v_rcp_f32_e32 v17, v9
	v_fma_f32 v18, -v9, v17, 1.0
	v_fmac_f32_e32 v17, v18, v17
	v_div_scale_f32 v18, vcc, v6, v15, v6
	v_mul_f32_e32 v19, v18, v17
	v_fma_f32 v20, -v9, v19, v18
	v_fmac_f32_e32 v19, v20, v17
	v_fma_f32 v9, -v9, v19, v18
	v_div_fmas_f32 v9, v9, v17, v19
	v_div_fixup_f32 v6, v9, v15, v6
	v_min_f32_e32 v6, 0x43600000, v6
	v_max_f32_e32 v17, 0xc3600000, v6
	v_and_b32_e32 v18, 0x7fffffff, v17
	v_cmp_gt_u32_e32 vcc, s24, v18
	v_mov_b32_e32 v6, 0x80
	v_mov_b32_e32 v9, 0x80
	s_and_saveexec_b64 s[8:9], vcc
	s_cbranch_execz .LBB70_127
; %bb.122:                              ;   in Loop: Header=BB70_59 Depth=1
	v_cmp_lt_u32_e32 vcc, s25, v18
	s_mov_b64 s[12:13], 0
                                        ; implicit-def: $vgpr18
	s_and_saveexec_b64 s[14:15], vcc
	s_xor_b64 s[14:15], exec, s[14:15]
	s_cbranch_execnz .LBB70_176
; %bb.123:                              ;   in Loop: Header=BB70_59 Depth=1
	s_or_saveexec_b64 s[14:15], s[14:15]
                                        ; implicit-def: $sgpr16
	s_xor_b64 exec, exec, s[14:15]
	s_cbranch_execnz .LBB70_177
.LBB70_124:                             ;   in Loop: Header=BB70_59 Depth=1
	s_or_b64 exec, exec, s[14:15]
	v_mov_b32_e32 v9, s16
	s_and_saveexec_b64 s[14:15], s[12:13]
.LBB70_125:                             ;   in Loop: Header=BB70_59 Depth=1
	v_lshrrev_b32_e32 v9, 24, v17
	v_and_or_b32 v9, v9, s28, v18
.LBB70_126:                             ;   in Loop: Header=BB70_59 Depth=1
	s_or_b64 exec, exec, s[14:15]
.LBB70_127:                             ;   in Loop: Header=BB70_59 Depth=1
	s_or_b64 exec, exec, s[8:9]
	v_mul_f32_e32 v16, v37, v16
	v_bfe_u32 v17, v16, 16, 1
	v_add3_u32 v17, v16, v17, s23
	v_and_b32_e32 v17, 0xffff0000, v17
	v_cmp_o_f32_e32 vcc, v16, v16
	v_cndmask_b32_e32 v16, v13, v17, vcc
	v_and_b32_e32 v7, 0xffff0000, v7
	v_mul_f32_e32 v7, v16, v7
	v_bfe_u32 v16, v7, 16, 1
	v_add3_u32 v16, v7, v16, s23
	v_and_b32_e32 v16, 0xffff0000, v16
	v_cmp_o_f32_e32 vcc, v7, v7
	v_cndmask_b32_e32 v7, v13, v16, vcc
	v_div_scale_f32 v16, s[8:9], v15, v15, v7
	v_rcp_f32_e32 v17, v16
	v_fma_f32 v18, -v16, v17, 1.0
	v_fmac_f32_e32 v17, v18, v17
	v_div_scale_f32 v18, vcc, v7, v15, v7
	v_mul_f32_e32 v19, v18, v17
	v_fma_f32 v20, -v16, v19, v18
	v_fmac_f32_e32 v19, v20, v17
	v_fma_f32 v16, -v16, v19, v18
	v_div_fmas_f32 v16, v16, v17, v19
	v_div_fixup_f32 v7, v16, v15, v7
	v_min_f32_e32 v7, 0x43600000, v7
	v_max_f32_e32 v7, 0xc3600000, v7
	v_and_b32_e32 v15, 0x7fffffff, v7
	v_cmp_gt_u32_e32 vcc, s24, v15
	s_and_saveexec_b64 s[8:9], vcc
	s_cbranch_execz .LBB70_133
; %bb.128:                              ;   in Loop: Header=BB70_59 Depth=1
	v_cmp_lt_u32_e32 vcc, s25, v15
	s_mov_b64 s[12:13], 0
                                        ; implicit-def: $vgpr15
	s_and_saveexec_b64 s[14:15], vcc
	s_xor_b64 s[14:15], exec, s[14:15]
	s_cbranch_execnz .LBB70_178
; %bb.129:                              ;   in Loop: Header=BB70_59 Depth=1
	s_or_saveexec_b64 s[14:15], s[14:15]
                                        ; implicit-def: $sgpr16
	s_xor_b64 exec, exec, s[14:15]
	s_cbranch_execnz .LBB70_179
.LBB70_130:                             ;   in Loop: Header=BB70_59 Depth=1
	s_or_b64 exec, exec, s[14:15]
	v_mov_b32_e32 v6, s16
	s_and_saveexec_b64 s[14:15], s[12:13]
.LBB70_131:                             ;   in Loop: Header=BB70_59 Depth=1
	v_lshrrev_b32_e32 v6, 24, v7
	v_and_or_b32 v6, v6, s28, v15
.LBB70_132:                             ;   in Loop: Header=BB70_59 Depth=1
	s_or_b64 exec, exec, s[14:15]
.LBB70_133:                             ;   in Loop: Header=BB70_59 Depth=1
	s_or_b64 exec, exec, s[8:9]
	v_lshlrev_b64 v[4:5], 2, v[4:5]
	v_mov_b32_e32 v7, s20
	v_add_co_u32_e32 v4, vcc, s11, v4
	v_addc_co_u32_e32 v5, vcc, v7, v5, vcc
	v_lshlrev_b32_e32 v7, 16, v9
	v_lshlrev_b32_e32 v3, 8, v3
	v_perm_b32 v6, v6, v7, s29
	v_and_b32_e32 v3, 0xff00, v3
	v_and_b32_e32 v7, 0xff, v8
	v_add_u32_e32 v0, s21, v0
	v_or3_b32 v3, v6, v3, v7
	v_cmp_gt_u32_e32 vcc, s10, v0
	s_mov_b64 s[12:13], -1
	global_store_dword v[4:5], v3, off
	s_and_saveexec_b64 s[8:9], vcc
	s_cbranch_execz .LBB70_56
; %bb.134:                              ;   in Loop: Header=BB70_59 Depth=1
	v_lshlrev_b64 v[4:5], 3, v[0:1]
	v_mov_b32_e32 v3, s46
	v_add_co_u32_e32 v6, vcc, s33, v4
	v_addc_co_u32_e32 v7, vcc, v3, v5, vcc
	global_load_dwordx2 v[16:17], v[6:7], off
	v_mov_b32_e32 v7, s48
	v_add_co_u32_e32 v6, vcc, s47, v4
	v_addc_co_u32_e32 v7, vcc, v7, v5, vcc
	global_load_dwordx2 v[18:19], v[6:7], off
	;; [unrolled: 4-line block ×3, first 2 shown]
	v_lshrrev_b32_e32 v3, 3, v0
	v_and_b32_e32 v3, 0x7fffffc, v3
	global_load_dword v8, v3, s[0:1]
	v_mov_b32_e32 v3, 0x80
	s_waitcnt vmcnt(3)
	v_and_b32_e32 v9, 0xffff0000, v16
	v_lshlrev_b32_e32 v15, 16, v16
	v_alignbit_b32 v16, v17, v16, 16
	v_and_b32_e32 v17, 0xffff0000, v17
	v_and_b32_e32 v23, 0xffff0000, v16
	s_waitcnt vmcnt(2)
	v_and_b32_e32 v20, 0xffff0000, v18
	v_lshlrev_b32_e32 v21, 16, v18
	v_alignbit_b32 v18, v19, v18, 16
	v_and_b32_e32 v19, 0xffff0000, v19
	v_add_f32_e32 v16, v9, v20
	v_add_f32_e32 v9, v17, v19
	v_bfe_u32 v19, v9, 16, 1
	v_add_f32_e32 v21, v15, v21
	v_and_b32_e32 v15, 0xffff0000, v18
	v_bfe_u32 v18, v16, 16, 1
	v_add3_u32 v19, v9, v19, s23
	v_add_f32_e32 v15, v23, v15
	v_bfe_u32 v17, v21, 16, 1
	v_add3_u32 v18, v16, v18, s23
	v_and_b32_e32 v19, 0xffff0000, v19
	v_cmp_o_f32_e32 vcc, v9, v9
	v_mul_f32_e32 v20, v37, v21
	v_add3_u32 v17, v21, v17, s23
	v_bfe_u32 v23, v15, 16, 1
	v_and_b32_e32 v18, 0xffff0000, v18
	v_cndmask_b32_e32 v19, v13, v19, vcc
	v_cmp_o_f32_e32 vcc, v16, v16
	v_bfe_u32 v24, v20, 16, 1
	v_lshrrev_b32_e32 v17, 16, v17
	v_add3_u32 v23, v15, v23, s23
	v_cndmask_b32_e32 v18, v13, v18, vcc
	v_cmp_o_f32_e32 vcc, v21, v21
	v_add3_u32 v24, v20, v24, s23
	v_lshrrev_b32_e32 v23, 16, v23
	v_cndmask_b32_e32 v17, v14, v17, vcc
	v_cmp_o_f32_e32 vcc, v15, v15
	v_and_b32_e32 v21, 0xffff0000, v24
	v_cndmask_b32_e32 v23, v14, v23, vcc
	v_cmp_o_f32_e32 vcc, v20, v20
	s_waitcnt vmcnt(1)
	v_lshlrev_b32_e32 v22, 16, v4
	v_or_b32_e32 v17, v17, v18
	v_cndmask_b32_e32 v20, v13, v21, vcc
	v_or3_b32 v18, v17, 0, 0
	v_mul_f32_e32 v17, v20, v22
	v_bfe_u32 v20, v17, 16, 1
	v_add3_u32 v20, v17, v20, s23
	v_and_b32_e32 v20, 0xffff0000, v20
	v_cmp_o_f32_e32 vcc, v17, v17
	v_cndmask_b32_e32 v17, v13, v20, vcc
	s_waitcnt vmcnt(0)
	v_div_scale_f32 v20, s[12:13], v8, v8, v17
	v_rcp_f32_e32 v21, v20
	v_or3_b32 v19, 0, v23, v19
	global_store_dwordx2 v[6:7], v[18:19], off
	v_div_scale_f32 v6, vcc, v17, v8, v17
	v_fma_f32 v7, -v20, v21, 1.0
	v_fmac_f32_e32 v21, v7, v21
	v_mul_f32_e32 v7, v6, v21
	v_fma_f32 v18, -v20, v7, v6
	v_fmac_f32_e32 v7, v18, v21
	v_fma_f32 v6, -v20, v7, v6
	v_div_fmas_f32 v6, v6, v21, v7
	v_div_fixup_f32 v6, v6, v8, v17
	v_min_f32_e32 v6, 0x43600000, v6
	v_max_f32_e32 v7, 0xc3600000, v6
	v_and_b32_e32 v17, 0x7fffffff, v7
	v_cmp_gt_u32_e32 vcc, s24, v17
	v_mov_b32_e32 v6, 0x80
	s_and_saveexec_b64 s[12:13], vcc
	s_cbranch_execz .LBB70_140
; %bb.135:                              ;   in Loop: Header=BB70_59 Depth=1
	v_cmp_lt_u32_e32 vcc, s25, v17
	s_mov_b64 s[14:15], 0
                                        ; implicit-def: $vgpr17
	s_and_saveexec_b64 s[16:17], vcc
	s_xor_b64 s[16:17], exec, s[16:17]
	s_cbranch_execnz .LBB70_180
; %bb.136:                              ;   in Loop: Header=BB70_59 Depth=1
	s_or_saveexec_b64 s[16:17], s[16:17]
                                        ; implicit-def: $sgpr30
	s_xor_b64 exec, exec, s[16:17]
	s_cbranch_execnz .LBB70_181
.LBB70_137:                             ;   in Loop: Header=BB70_59 Depth=1
	s_or_b64 exec, exec, s[16:17]
	v_mov_b32_e32 v6, s30
	s_and_saveexec_b64 s[16:17], s[14:15]
.LBB70_138:                             ;   in Loop: Header=BB70_59 Depth=1
	v_lshrrev_b32_e32 v6, 24, v7
	v_and_or_b32 v6, v6, s28, v17
.LBB70_139:                             ;   in Loop: Header=BB70_59 Depth=1
	s_or_b64 exec, exec, s[16:17]
.LBB70_140:                             ;   in Loop: Header=BB70_59 Depth=1
	s_or_b64 exec, exec, s[12:13]
	v_mul_f32_e32 v16, v37, v16
	v_bfe_u32 v17, v16, 16, 1
	v_add3_u32 v17, v16, v17, s23
	v_and_b32_e32 v17, 0xffff0000, v17
	v_cmp_o_f32_e32 vcc, v16, v16
	v_and_b32_e32 v7, 0xffff0000, v4
	v_cndmask_b32_e32 v16, v13, v17, vcc
	v_mul_f32_e32 v7, v16, v7
	v_bfe_u32 v16, v7, 16, 1
	v_add3_u32 v16, v7, v16, s23
	v_and_b32_e32 v16, 0xffff0000, v16
	v_cmp_o_f32_e32 vcc, v7, v7
	v_cndmask_b32_e32 v7, v13, v16, vcc
	v_div_scale_f32 v16, s[12:13], v8, v8, v7
	v_rcp_f32_e32 v17, v16
	v_fma_f32 v18, -v16, v17, 1.0
	v_fmac_f32_e32 v17, v18, v17
	v_div_scale_f32 v18, vcc, v7, v8, v7
	v_mul_f32_e32 v19, v18, v17
	v_fma_f32 v20, -v16, v19, v18
	v_fmac_f32_e32 v19, v20, v17
	v_fma_f32 v16, -v16, v19, v18
	v_div_fmas_f32 v16, v16, v17, v19
	v_div_fixup_f32 v7, v16, v8, v7
	v_min_f32_e32 v7, 0x43600000, v7
	v_max_f32_e32 v7, 0xc3600000, v7
	v_and_b32_e32 v16, 0x7fffffff, v7
	v_cmp_gt_u32_e32 vcc, s24, v16
	s_and_saveexec_b64 s[12:13], vcc
	s_cbranch_execz .LBB70_146
; %bb.141:                              ;   in Loop: Header=BB70_59 Depth=1
	v_cmp_lt_u32_e32 vcc, s25, v16
	s_mov_b64 s[14:15], 0
                                        ; implicit-def: $vgpr16
	s_and_saveexec_b64 s[16:17], vcc
	s_xor_b64 s[16:17], exec, s[16:17]
	s_cbranch_execnz .LBB70_182
; %bb.142:                              ;   in Loop: Header=BB70_59 Depth=1
	s_or_saveexec_b64 s[16:17], s[16:17]
                                        ; implicit-def: $sgpr30
	s_xor_b64 exec, exec, s[16:17]
	s_cbranch_execnz .LBB70_183
.LBB70_143:                             ;   in Loop: Header=BB70_59 Depth=1
	s_or_b64 exec, exec, s[16:17]
	v_mov_b32_e32 v3, s30
	s_and_saveexec_b64 s[16:17], s[14:15]
.LBB70_144:                             ;   in Loop: Header=BB70_59 Depth=1
	v_lshrrev_b32_e32 v3, 24, v7
	v_and_or_b32 v3, v3, s28, v16
.LBB70_145:                             ;   in Loop: Header=BB70_59 Depth=1
	s_or_b64 exec, exec, s[16:17]
.LBB70_146:                             ;   in Loop: Header=BB70_59 Depth=1
	s_or_b64 exec, exec, s[12:13]
	v_mul_f32_e32 v7, v37, v15
	v_bfe_u32 v15, v7, 16, 1
	v_add3_u32 v15, v7, v15, s23
	v_and_b32_e32 v15, 0xffff0000, v15
	v_cmp_o_f32_e32 vcc, v7, v7
	v_alignbit_b32 v4, v5, v4, 16
	v_cndmask_b32_e32 v7, v13, v15, vcc
	v_and_b32_e32 v4, 0xffff0000, v4
	v_mul_f32_e32 v4, v7, v4
	v_bfe_u32 v7, v4, 16, 1
	v_add3_u32 v7, v4, v7, s23
	v_and_b32_e32 v7, 0xffff0000, v7
	v_cmp_o_f32_e32 vcc, v4, v4
	v_cndmask_b32_e32 v4, v13, v7, vcc
	v_div_scale_f32 v7, s[12:13], v8, v8, v4
	v_rcp_f32_e32 v15, v7
	v_fma_f32 v16, -v7, v15, 1.0
	v_fmac_f32_e32 v15, v16, v15
	v_div_scale_f32 v16, vcc, v4, v8, v4
	v_mul_f32_e32 v17, v16, v15
	v_fma_f32 v18, -v7, v17, v16
	v_fmac_f32_e32 v17, v18, v15
	v_fma_f32 v7, -v7, v17, v16
	v_div_fmas_f32 v7, v7, v15, v17
	v_div_fixup_f32 v4, v7, v8, v4
	v_min_f32_e32 v4, 0x43600000, v4
	v_max_f32_e32 v15, 0xc3600000, v4
	v_and_b32_e32 v16, 0x7fffffff, v15
	v_cmp_gt_u32_e32 vcc, s24, v16
	v_mov_b32_e32 v4, 0x80
	v_mov_b32_e32 v7, 0x80
	s_and_saveexec_b64 s[12:13], vcc
	s_cbranch_execz .LBB70_152
; %bb.147:                              ;   in Loop: Header=BB70_59 Depth=1
	v_cmp_lt_u32_e32 vcc, s25, v16
	s_mov_b64 s[14:15], 0
                                        ; implicit-def: $vgpr16
	s_and_saveexec_b64 s[16:17], vcc
	s_xor_b64 s[16:17], exec, s[16:17]
	s_cbranch_execnz .LBB70_184
; %bb.148:                              ;   in Loop: Header=BB70_59 Depth=1
	s_or_saveexec_b64 s[16:17], s[16:17]
                                        ; implicit-def: $sgpr30
	s_xor_b64 exec, exec, s[16:17]
	s_cbranch_execnz .LBB70_185
.LBB70_149:                             ;   in Loop: Header=BB70_59 Depth=1
	s_or_b64 exec, exec, s[16:17]
	v_mov_b32_e32 v7, s30
	s_and_saveexec_b64 s[16:17], s[14:15]
.LBB70_150:                             ;   in Loop: Header=BB70_59 Depth=1
	v_lshrrev_b32_e32 v7, 24, v15
	v_and_or_b32 v7, v7, s28, v16
.LBB70_151:                             ;   in Loop: Header=BB70_59 Depth=1
	s_or_b64 exec, exec, s[16:17]
.LBB70_152:                             ;   in Loop: Header=BB70_59 Depth=1
	s_or_b64 exec, exec, s[12:13]
	v_mul_f32_e32 v9, v37, v9
	v_bfe_u32 v15, v9, 16, 1
	v_add3_u32 v15, v9, v15, s23
	v_and_b32_e32 v15, 0xffff0000, v15
	v_cmp_o_f32_e32 vcc, v9, v9
	v_cndmask_b32_e32 v9, v13, v15, vcc
	v_and_b32_e32 v5, 0xffff0000, v5
	v_mul_f32_e32 v5, v9, v5
	v_bfe_u32 v9, v5, 16, 1
	v_add3_u32 v9, v5, v9, s23
	v_and_b32_e32 v9, 0xffff0000, v9
	v_cmp_o_f32_e32 vcc, v5, v5
	v_cndmask_b32_e32 v5, v13, v9, vcc
	v_div_scale_f32 v9, s[12:13], v8, v8, v5
	v_rcp_f32_e32 v15, v9
	v_fma_f32 v16, -v9, v15, 1.0
	v_fmac_f32_e32 v15, v16, v15
	v_div_scale_f32 v16, vcc, v5, v8, v5
	v_mul_f32_e32 v17, v16, v15
	v_fma_f32 v18, -v9, v17, v16
	v_fmac_f32_e32 v17, v18, v15
	v_fma_f32 v9, -v9, v17, v16
	v_div_fmas_f32 v9, v9, v15, v17
	v_div_fixup_f32 v5, v9, v8, v5
	v_min_f32_e32 v5, 0x43600000, v5
	v_max_f32_e32 v5, 0xc3600000, v5
	v_and_b32_e32 v8, 0x7fffffff, v5
	v_cmp_gt_u32_e32 vcc, s24, v8
	s_and_saveexec_b64 s[12:13], vcc
	s_cbranch_execz .LBB70_55
; %bb.153:                              ;   in Loop: Header=BB70_59 Depth=1
	v_cmp_lt_u32_e32 vcc, s25, v8
	s_mov_b64 s[14:15], 0
                                        ; implicit-def: $vgpr8
	s_and_saveexec_b64 s[16:17], vcc
	s_xor_b64 s[16:17], exec, s[16:17]
	s_cbranch_execnz .LBB70_186
; %bb.154:                              ;   in Loop: Header=BB70_59 Depth=1
	s_or_saveexec_b64 s[16:17], s[16:17]
                                        ; implicit-def: $sgpr30
	s_xor_b64 exec, exec, s[16:17]
	s_cbranch_execnz .LBB70_187
.LBB70_155:                             ;   in Loop: Header=BB70_59 Depth=1
	s_or_b64 exec, exec, s[16:17]
	v_mov_b32_e32 v4, s30
	s_and_saveexec_b64 s[16:17], s[14:15]
	s_cbranch_execz .LBB70_54
	s_branch .LBB70_188
.LBB70_156:                             ;   in Loop: Header=BB70_59 Depth=1
	v_bfe_u32 v4, v5, 20, 1
	v_add3_u32 v4, v5, v4, s26
	s_mov_b64 s[6:7], exec
	v_lshrrev_b32_e32 v16, 20, v4
	s_or_saveexec_b64 s[8:9], s[8:9]
                                        ; implicit-def: $sgpr12
	s_xor_b64 exec, exec, s[8:9]
	s_cbranch_execz .LBB70_62
.LBB70_157:                             ;   in Loop: Header=BB70_59 Depth=1
	v_add_f32_e64 v4, |v5|, s27
	v_and_b32_e32 v16, 0xff, v4
	v_cmp_ne_u32_e32 vcc, 0, v16
	s_andn2_b64 s[6:7], s[6:7], exec
	s_and_b64 s[14:15], vcc, exec
	s_mov_b32 s12, 0
	s_or_b64 s[6:7], s[6:7], s[14:15]
	s_or_b64 exec, exec, s[8:9]
	v_mov_b32_e32 v4, s12
	s_and_saveexec_b64 s[8:9], s[6:7]
	s_cbranch_execnz .LBB70_63
	s_branch .LBB70_64
.LBB70_158:                             ;   in Loop: Header=BB70_59 Depth=1
	v_bfe_u32 v6, v5, 20, 1
	v_add3_u32 v6, v5, v6, s26
	s_mov_b64 s[6:7], exec
	v_lshrrev_b32_e32 v15, 20, v6
	s_or_saveexec_b64 s[8:9], s[8:9]
                                        ; implicit-def: $sgpr12
	s_xor_b64 exec, exec, s[8:9]
	s_cbranch_execz .LBB70_68
.LBB70_159:                             ;   in Loop: Header=BB70_59 Depth=1
	v_add_f32_e64 v6, |v5|, s27
	v_and_b32_e32 v15, 0xff, v6
	v_cmp_ne_u32_e32 vcc, 0, v15
	s_andn2_b64 s[6:7], s[6:7], exec
	s_and_b64 s[14:15], vcc, exec
	s_mov_b32 s12, 0
	s_or_b64 s[6:7], s[6:7], s[14:15]
	s_or_b64 exec, exec, s[8:9]
	v_mov_b32_e32 v6, s12
	s_and_saveexec_b64 s[8:9], s[6:7]
	s_cbranch_execnz .LBB70_69
	s_branch .LBB70_70
.LBB70_160:                             ;   in Loop: Header=BB70_59 Depth=1
	v_bfe_u32 v5, v9, 20, 1
	v_add3_u32 v5, v9, v5, s26
	s_mov_b64 s[6:7], exec
	v_lshrrev_b32_e32 v15, 20, v5
	s_or_saveexec_b64 s[8:9], s[8:9]
                                        ; implicit-def: $sgpr12
	s_xor_b64 exec, exec, s[8:9]
	s_cbranch_execz .LBB70_74
.LBB70_161:                             ;   in Loop: Header=BB70_59 Depth=1
	v_add_f32_e64 v5, |v9|, s27
	v_and_b32_e32 v15, 0xff, v5
	v_cmp_ne_u32_e32 vcc, 0, v15
	s_andn2_b64 s[6:7], s[6:7], exec
	s_and_b64 s[14:15], vcc, exec
	s_mov_b32 s12, 0
	s_or_b64 s[6:7], s[6:7], s[14:15]
	s_or_b64 exec, exec, s[8:9]
	v_mov_b32_e32 v5, s12
	s_and_saveexec_b64 s[8:9], s[6:7]
	s_cbranch_execnz .LBB70_75
	s_branch .LBB70_76
.LBB70_162:                             ;   in Loop: Header=BB70_59 Depth=1
	v_bfe_u32 v2, v3, 20, 1
	v_add3_u32 v2, v3, v2, s26
	s_mov_b64 s[6:7], exec
	v_lshrrev_b32_e32 v7, 20, v2
	s_or_saveexec_b64 s[8:9], s[8:9]
                                        ; implicit-def: $sgpr12
	s_xor_b64 exec, exec, s[8:9]
	s_cbranch_execz .LBB70_80
.LBB70_163:                             ;   in Loop: Header=BB70_59 Depth=1
	v_add_f32_e64 v2, |v3|, s27
	v_and_b32_e32 v7, 0xff, v2
	v_cmp_ne_u32_e32 vcc, 0, v7
	s_andn2_b64 s[6:7], s[6:7], exec
	s_and_b64 s[14:15], vcc, exec
	s_mov_b32 s12, 0
	s_or_b64 s[6:7], s[6:7], s[14:15]
	s_or_b64 exec, exec, s[8:9]
	v_mov_b32_e32 v2, s12
	s_and_saveexec_b64 s[8:9], s[6:7]
	s_cbranch_execnz .LBB70_81
	s_branch .LBB70_82
.LBB70_164:                             ;   in Loop: Header=BB70_59 Depth=1
	v_bfe_u32 v6, v7, 20, 1
	v_add3_u32 v6, v7, v6, s26
	s_mov_b64 s[8:9], exec
	v_lshrrev_b32_e32 v18, 20, v6
	s_or_saveexec_b64 s[12:13], s[12:13]
                                        ; implicit-def: $sgpr14
	s_xor_b64 exec, exec, s[12:13]
	s_cbranch_execz .LBB70_87
.LBB70_165:                             ;   in Loop: Header=BB70_59 Depth=1
	v_add_f32_e64 v6, |v7|, s27
	v_and_b32_e32 v18, 0xff, v6
	v_cmp_ne_u32_e32 vcc, 0, v18
	s_andn2_b64 s[8:9], s[8:9], exec
	s_and_b64 s[16:17], vcc, exec
	s_mov_b32 s14, 0
	s_or_b64 s[8:9], s[8:9], s[16:17]
	s_or_b64 exec, exec, s[12:13]
	v_mov_b32_e32 v6, s14
	s_and_saveexec_b64 s[12:13], s[8:9]
	s_cbranch_execnz .LBB70_88
	s_branch .LBB70_89
.LBB70_166:                             ;   in Loop: Header=BB70_59 Depth=1
	v_bfe_u32 v8, v7, 20, 1
	v_add3_u32 v8, v7, v8, s26
	s_mov_b64 s[8:9], exec
	v_lshrrev_b32_e32 v17, 20, v8
	s_or_saveexec_b64 s[12:13], s[12:13]
                                        ; implicit-def: $sgpr14
	s_xor_b64 exec, exec, s[12:13]
	s_cbranch_execz .LBB70_93
.LBB70_167:                             ;   in Loop: Header=BB70_59 Depth=1
	v_add_f32_e64 v8, |v7|, s27
	v_and_b32_e32 v17, 0xff, v8
	v_cmp_ne_u32_e32 vcc, 0, v17
	s_andn2_b64 s[8:9], s[8:9], exec
	s_and_b64 s[16:17], vcc, exec
	s_mov_b32 s14, 0
	s_or_b64 s[8:9], s[8:9], s[16:17]
	s_or_b64 exec, exec, s[12:13]
	v_mov_b32_e32 v8, s14
	s_and_saveexec_b64 s[12:13], s[8:9]
	s_cbranch_execnz .LBB70_94
	s_branch .LBB70_95
.LBB70_168:                             ;   in Loop: Header=BB70_59 Depth=1
	v_bfe_u32 v7, v16, 20, 1
	v_add3_u32 v7, v16, v7, s26
	s_mov_b64 s[8:9], exec
	v_lshrrev_b32_e32 v17, 20, v7
	s_or_saveexec_b64 s[12:13], s[12:13]
                                        ; implicit-def: $sgpr14
	s_xor_b64 exec, exec, s[12:13]
	s_cbranch_execz .LBB70_99
.LBB70_169:                             ;   in Loop: Header=BB70_59 Depth=1
	v_add_f32_e64 v7, |v16|, s27
	v_and_b32_e32 v17, 0xff, v7
	v_cmp_ne_u32_e32 vcc, 0, v17
	s_andn2_b64 s[8:9], s[8:9], exec
	s_and_b64 s[16:17], vcc, exec
	s_mov_b32 s14, 0
	s_or_b64 s[8:9], s[8:9], s[16:17]
	s_or_b64 exec, exec, s[12:13]
	v_mov_b32_e32 v7, s14
	s_and_saveexec_b64 s[12:13], s[8:9]
	s_cbranch_execnz .LBB70_100
	s_branch .LBB70_101
.LBB70_170:                             ;   in Loop: Header=BB70_59 Depth=1
	v_bfe_u32 v4, v5, 20, 1
	v_add3_u32 v4, v5, v4, s26
	s_mov_b64 s[8:9], exec
	v_lshrrev_b32_e32 v9, 20, v4
	s_or_saveexec_b64 s[12:13], s[12:13]
                                        ; implicit-def: $sgpr14
	s_xor_b64 exec, exec, s[12:13]
	s_cbranch_execz .LBB70_105
.LBB70_171:                             ;   in Loop: Header=BB70_59 Depth=1
	v_add_f32_e64 v4, |v5|, s27
	v_and_b32_e32 v9, 0xff, v4
	v_cmp_ne_u32_e32 vcc, 0, v9
	s_andn2_b64 s[8:9], s[8:9], exec
	s_and_b64 s[16:17], vcc, exec
	s_mov_b32 s14, 0
	s_or_b64 s[8:9], s[8:9], s[16:17]
	s_or_b64 exec, exec, s[12:13]
	v_mov_b32_e32 v4, s14
	s_and_saveexec_b64 s[12:13], s[8:9]
	s_cbranch_execnz .LBB70_106
	s_branch .LBB70_107
.LBB70_172:                             ;   in Loop: Header=BB70_59 Depth=1
	v_bfe_u32 v8, v9, 20, 1
	v_add3_u32 v8, v9, v8, s26
	s_mov_b64 s[12:13], exec
	v_lshrrev_b32_e32 v19, 20, v8
	s_or_saveexec_b64 s[14:15], s[14:15]
                                        ; implicit-def: $sgpr16
	s_xor_b64 exec, exec, s[14:15]
	s_cbranch_execz .LBB70_112
.LBB70_173:                             ;   in Loop: Header=BB70_59 Depth=1
	v_add_f32_e64 v8, |v9|, s27
	v_and_b32_e32 v19, 0xff, v8
	v_cmp_ne_u32_e32 vcc, 0, v19
	s_andn2_b64 s[12:13], s[12:13], exec
	s_and_b64 s[30:31], vcc, exec
	s_mov_b32 s16, 0
	s_or_b64 s[12:13], s[12:13], s[30:31]
	s_or_b64 exec, exec, s[14:15]
	v_mov_b32_e32 v8, s16
	s_and_saveexec_b64 s[14:15], s[12:13]
	s_cbranch_execnz .LBB70_113
	s_branch .LBB70_114
.LBB70_174:                             ;   in Loop: Header=BB70_59 Depth=1
	v_bfe_u32 v3, v9, 20, 1
	v_add3_u32 v3, v9, v3, s26
	s_mov_b64 s[12:13], exec
	v_lshrrev_b32_e32 v18, 20, v3
	s_or_saveexec_b64 s[14:15], s[14:15]
                                        ; implicit-def: $sgpr16
	s_xor_b64 exec, exec, s[14:15]
	s_cbranch_execz .LBB70_118
.LBB70_175:                             ;   in Loop: Header=BB70_59 Depth=1
	v_add_f32_e64 v3, |v9|, s27
	v_and_b32_e32 v18, 0xff, v3
	v_cmp_ne_u32_e32 vcc, 0, v18
	s_andn2_b64 s[12:13], s[12:13], exec
	s_and_b64 s[30:31], vcc, exec
	s_mov_b32 s16, 0
	s_or_b64 s[12:13], s[12:13], s[30:31]
	s_or_b64 exec, exec, s[14:15]
	v_mov_b32_e32 v3, s16
	s_and_saveexec_b64 s[14:15], s[12:13]
	s_cbranch_execnz .LBB70_119
	s_branch .LBB70_120
.LBB70_176:                             ;   in Loop: Header=BB70_59 Depth=1
	v_bfe_u32 v9, v17, 20, 1
	v_add3_u32 v9, v17, v9, s26
	s_mov_b64 s[12:13], exec
	v_lshrrev_b32_e32 v18, 20, v9
	s_or_saveexec_b64 s[14:15], s[14:15]
                                        ; implicit-def: $sgpr16
	s_xor_b64 exec, exec, s[14:15]
	s_cbranch_execz .LBB70_124
.LBB70_177:                             ;   in Loop: Header=BB70_59 Depth=1
	v_add_f32_e64 v9, |v17|, s27
	v_and_b32_e32 v18, 0xff, v9
	v_cmp_ne_u32_e32 vcc, 0, v18
	s_andn2_b64 s[12:13], s[12:13], exec
	s_and_b64 s[30:31], vcc, exec
	s_mov_b32 s16, 0
	s_or_b64 s[12:13], s[12:13], s[30:31]
	s_or_b64 exec, exec, s[14:15]
	v_mov_b32_e32 v9, s16
	s_and_saveexec_b64 s[14:15], s[12:13]
	s_cbranch_execnz .LBB70_125
	s_branch .LBB70_126
.LBB70_178:                             ;   in Loop: Header=BB70_59 Depth=1
	v_bfe_u32 v6, v7, 20, 1
	v_add3_u32 v6, v7, v6, s26
	s_mov_b64 s[12:13], exec
	v_lshrrev_b32_e32 v15, 20, v6
	s_or_saveexec_b64 s[14:15], s[14:15]
                                        ; implicit-def: $sgpr16
	s_xor_b64 exec, exec, s[14:15]
	s_cbranch_execz .LBB70_130
.LBB70_179:                             ;   in Loop: Header=BB70_59 Depth=1
	v_add_f32_e64 v6, |v7|, s27
	v_and_b32_e32 v15, 0xff, v6
	v_cmp_ne_u32_e32 vcc, 0, v15
	s_andn2_b64 s[12:13], s[12:13], exec
	s_and_b64 s[30:31], vcc, exec
	s_mov_b32 s16, 0
	s_or_b64 s[12:13], s[12:13], s[30:31]
	s_or_b64 exec, exec, s[14:15]
	v_mov_b32_e32 v6, s16
	s_and_saveexec_b64 s[14:15], s[12:13]
	s_cbranch_execnz .LBB70_131
	s_branch .LBB70_132
.LBB70_180:                             ;   in Loop: Header=BB70_59 Depth=1
	v_bfe_u32 v6, v7, 20, 1
	v_add3_u32 v6, v7, v6, s26
	s_mov_b64 s[14:15], exec
	v_lshrrev_b32_e32 v17, 20, v6
	s_or_saveexec_b64 s[16:17], s[16:17]
                                        ; implicit-def: $sgpr30
	s_xor_b64 exec, exec, s[16:17]
	s_cbranch_execz .LBB70_137
.LBB70_181:                             ;   in Loop: Header=BB70_59 Depth=1
	v_add_f32_e64 v6, |v7|, s27
	v_and_b32_e32 v17, 0xff, v6
	v_cmp_ne_u32_e32 vcc, 0, v17
	s_andn2_b64 s[14:15], s[14:15], exec
	s_and_b64 s[34:35], vcc, exec
	s_mov_b32 s30, 0
	s_or_b64 s[14:15], s[14:15], s[34:35]
	s_or_b64 exec, exec, s[16:17]
	v_mov_b32_e32 v6, s30
	s_and_saveexec_b64 s[16:17], s[14:15]
	s_cbranch_execnz .LBB70_138
	s_branch .LBB70_139
.LBB70_182:                             ;   in Loop: Header=BB70_59 Depth=1
	v_bfe_u32 v3, v7, 20, 1
	v_add3_u32 v3, v7, v3, s26
	s_mov_b64 s[14:15], exec
	v_lshrrev_b32_e32 v16, 20, v3
	s_or_saveexec_b64 s[16:17], s[16:17]
                                        ; implicit-def: $sgpr30
	s_xor_b64 exec, exec, s[16:17]
	s_cbranch_execz .LBB70_143
.LBB70_183:                             ;   in Loop: Header=BB70_59 Depth=1
	v_add_f32_e64 v3, |v7|, s27
	v_and_b32_e32 v16, 0xff, v3
	v_cmp_ne_u32_e32 vcc, 0, v16
	s_andn2_b64 s[14:15], s[14:15], exec
	s_and_b64 s[34:35], vcc, exec
	s_mov_b32 s30, 0
	s_or_b64 s[14:15], s[14:15], s[34:35]
	s_or_b64 exec, exec, s[16:17]
	v_mov_b32_e32 v3, s30
	s_and_saveexec_b64 s[16:17], s[14:15]
	s_cbranch_execnz .LBB70_144
	s_branch .LBB70_145
.LBB70_184:                             ;   in Loop: Header=BB70_59 Depth=1
	v_bfe_u32 v7, v15, 20, 1
	v_add3_u32 v7, v15, v7, s26
	s_mov_b64 s[14:15], exec
	v_lshrrev_b32_e32 v16, 20, v7
	s_or_saveexec_b64 s[16:17], s[16:17]
                                        ; implicit-def: $sgpr30
	s_xor_b64 exec, exec, s[16:17]
	s_cbranch_execz .LBB70_149
.LBB70_185:                             ;   in Loop: Header=BB70_59 Depth=1
	v_add_f32_e64 v7, |v15|, s27
	v_and_b32_e32 v16, 0xff, v7
	v_cmp_ne_u32_e32 vcc, 0, v16
	s_andn2_b64 s[14:15], s[14:15], exec
	s_and_b64 s[34:35], vcc, exec
	s_mov_b32 s30, 0
	s_or_b64 s[14:15], s[14:15], s[34:35]
	s_or_b64 exec, exec, s[16:17]
	v_mov_b32_e32 v7, s30
	s_and_saveexec_b64 s[16:17], s[14:15]
	s_cbranch_execnz .LBB70_150
	s_branch .LBB70_151
.LBB70_186:                             ;   in Loop: Header=BB70_59 Depth=1
	v_bfe_u32 v4, v5, 20, 1
	v_add3_u32 v4, v5, v4, s26
	s_mov_b64 s[14:15], exec
	v_lshrrev_b32_e32 v8, 20, v4
	s_or_saveexec_b64 s[16:17], s[16:17]
                                        ; implicit-def: $sgpr30
	s_xor_b64 exec, exec, s[16:17]
	s_cbranch_execz .LBB70_155
.LBB70_187:                             ;   in Loop: Header=BB70_59 Depth=1
	v_add_f32_e64 v4, |v5|, s27
	v_and_b32_e32 v8, 0xff, v4
	v_cmp_ne_u32_e32 vcc, 0, v8
	s_andn2_b64 s[14:15], s[14:15], exec
	s_and_b64 s[34:35], vcc, exec
	s_mov_b32 s30, 0
	s_or_b64 s[14:15], s[14:15], s[34:35]
	s_or_b64 exec, exec, s[16:17]
	v_mov_b32_e32 v4, s30
	s_and_saveexec_b64 s[16:17], s[14:15]
	s_cbranch_execz .LBB70_54
.LBB70_188:                             ;   in Loop: Header=BB70_59 Depth=1
	v_lshrrev_b32_e32 v4, 24, v5
	v_and_or_b32 v4, v4, s28, v8
	s_branch .LBB70_54
.LBB70_189:
	s_endpgm
	.section	.rodata,"a",@progbits
	.p2align	6, 0x0
	.amdhsa_kernel _ZN4vllm31rms_norm_per_block_quant_kernelIN3c108BFloat16ENS1_15Float8_e4m3fnuzELb1ELb0ELi128EEEvPT0_PfPKT_S9_PKffiiPS7_l
		.amdhsa_group_segment_fixed_size 4164
		.amdhsa_private_segment_fixed_size 0
		.amdhsa_kernarg_size 328
		.amdhsa_user_sgpr_count 6
		.amdhsa_user_sgpr_private_segment_buffer 1
		.amdhsa_user_sgpr_dispatch_ptr 0
		.amdhsa_user_sgpr_queue_ptr 0
		.amdhsa_user_sgpr_kernarg_segment_ptr 1
		.amdhsa_user_sgpr_dispatch_id 0
		.amdhsa_user_sgpr_flat_scratch_init 0
		.amdhsa_user_sgpr_kernarg_preload_length 0
		.amdhsa_user_sgpr_kernarg_preload_offset 0
		.amdhsa_user_sgpr_private_segment_size 0
		.amdhsa_uses_dynamic_stack 0
		.amdhsa_system_sgpr_private_segment_wavefront_offset 0
		.amdhsa_system_sgpr_workgroup_id_x 1
		.amdhsa_system_sgpr_workgroup_id_y 0
		.amdhsa_system_sgpr_workgroup_id_z 0
		.amdhsa_system_sgpr_workgroup_info 0
		.amdhsa_system_vgpr_workitem_id 0
		.amdhsa_next_free_vgpr 55
		.amdhsa_next_free_sgpr 49
		.amdhsa_accum_offset 56
		.amdhsa_reserve_vcc 1
		.amdhsa_reserve_flat_scratch 0
		.amdhsa_float_round_mode_32 0
		.amdhsa_float_round_mode_16_64 0
		.amdhsa_float_denorm_mode_32 3
		.amdhsa_float_denorm_mode_16_64 3
		.amdhsa_dx10_clamp 1
		.amdhsa_ieee_mode 1
		.amdhsa_fp16_overflow 0
		.amdhsa_tg_split 0
		.amdhsa_exception_fp_ieee_invalid_op 0
		.amdhsa_exception_fp_denorm_src 0
		.amdhsa_exception_fp_ieee_div_zero 0
		.amdhsa_exception_fp_ieee_overflow 0
		.amdhsa_exception_fp_ieee_underflow 0
		.amdhsa_exception_fp_ieee_inexact 0
		.amdhsa_exception_int_div_zero 0
	.end_amdhsa_kernel
	.section	.text._ZN4vllm31rms_norm_per_block_quant_kernelIN3c108BFloat16ENS1_15Float8_e4m3fnuzELb1ELb0ELi128EEEvPT0_PfPKT_S9_PKffiiPS7_l,"axG",@progbits,_ZN4vllm31rms_norm_per_block_quant_kernelIN3c108BFloat16ENS1_15Float8_e4m3fnuzELb1ELb0ELi128EEEvPT0_PfPKT_S9_PKffiiPS7_l,comdat
.Lfunc_end70:
	.size	_ZN4vllm31rms_norm_per_block_quant_kernelIN3c108BFloat16ENS1_15Float8_e4m3fnuzELb1ELb0ELi128EEEvPT0_PfPKT_S9_PKffiiPS7_l, .Lfunc_end70-_ZN4vllm31rms_norm_per_block_quant_kernelIN3c108BFloat16ENS1_15Float8_e4m3fnuzELb1ELb0ELi128EEEvPT0_PfPKT_S9_PKffiiPS7_l
                                        ; -- End function
	.section	.AMDGPU.csdata,"",@progbits
; Kernel info:
; codeLenInByte = 13776
; NumSgprs: 53
; NumVgprs: 55
; NumAgprs: 0
; TotalNumVgprs: 55
; ScratchSize: 0
; MemoryBound: 0
; FloatMode: 240
; IeeeMode: 1
; LDSByteSize: 4164 bytes/workgroup (compile time only)
; SGPRBlocks: 6
; VGPRBlocks: 6
; NumSGPRsForWavesPerEU: 53
; NumVGPRsForWavesPerEU: 55
; AccumOffset: 56
; Occupancy: 8
; WaveLimiterHint : 0
; COMPUTE_PGM_RSRC2:SCRATCH_EN: 0
; COMPUTE_PGM_RSRC2:USER_SGPR: 6
; COMPUTE_PGM_RSRC2:TRAP_HANDLER: 0
; COMPUTE_PGM_RSRC2:TGID_X_EN: 1
; COMPUTE_PGM_RSRC2:TGID_Y_EN: 0
; COMPUTE_PGM_RSRC2:TGID_Z_EN: 0
; COMPUTE_PGM_RSRC2:TIDIG_COMP_CNT: 0
; COMPUTE_PGM_RSRC3_GFX90A:ACCUM_OFFSET: 13
; COMPUTE_PGM_RSRC3_GFX90A:TG_SPLIT: 0
	.section	.text._ZN4vllm31rms_norm_per_block_quant_kernelIN3c108BFloat16EaLb1ELb0ELi128EEEvPT0_PfPKT_S8_PKffiiPS6_l,"axG",@progbits,_ZN4vllm31rms_norm_per_block_quant_kernelIN3c108BFloat16EaLb1ELb0ELi128EEEvPT0_PfPKT_S8_PKffiiPS6_l,comdat
	.protected	_ZN4vllm31rms_norm_per_block_quant_kernelIN3c108BFloat16EaLb1ELb0ELi128EEEvPT0_PfPKT_S8_PKffiiPS6_l ; -- Begin function _ZN4vllm31rms_norm_per_block_quant_kernelIN3c108BFloat16EaLb1ELb0ELi128EEEvPT0_PfPKT_S8_PKffiiPS6_l
	.globl	_ZN4vllm31rms_norm_per_block_quant_kernelIN3c108BFloat16EaLb1ELb0ELi128EEEvPT0_PfPKT_S8_PKffiiPS6_l
	.p2align	8
	.type	_ZN4vllm31rms_norm_per_block_quant_kernelIN3c108BFloat16EaLb1ELb0ELi128EEEvPT0_PfPKT_S8_PKffiiPS6_l,@function
_ZN4vllm31rms_norm_per_block_quant_kernelIN3c108BFloat16EaLb1ELb0ELi128EEEvPT0_PfPKT_S8_PKffiiPS6_l: ; @_ZN4vllm31rms_norm_per_block_quant_kernelIN3c108BFloat16EaLb1ELb0ELi128EEEvPT0_PfPKT_S8_PKffiiPS6_l
; %bb.0:
	s_load_dwordx4 s[8:11], s[4:5], 0x28
	s_load_dwordx8 s[12:19], s[4:5], 0x0
	s_load_dwordx2 s[34:35], s[4:5], 0x38
	v_mov_b32_e32 v1, 0
	s_waitcnt lgkmcnt(0)
	s_ashr_i32 s0, s10, 31
	s_mul_hi_u32 s1, s10, s6
	s_mul_i32 s0, s0, s6
	s_ashr_i32 s23, s9, 31
	s_add_i32 s1, s1, s0
	s_mul_i32 s0, s10, s6
	s_mul_hi_u32 s2, s9, s6
	s_mul_i32 s3, s23, s6
	s_add_i32 s21, s2, s3
	s_lshl_b64 s[30:31], s[0:1], 1
	s_mul_i32 s20, s9, s6
	s_add_u32 s33, s16, s30
	s_addc_u32 s46, s17, s31
	s_lshl_b64 s[36:37], s[20:21], 1
	s_add_u32 s47, s34, s36
	s_addc_u32 s48, s35, s37
	s_ashr_i32 s10, s9, 2
	s_add_u32 s2, s4, 0x48
	s_mov_b32 s22, s9
	v_cmp_gt_u32_e64 s[0:1], s10, v0
	s_addc_u32 s3, s5, 0
	s_and_saveexec_b64 s[24:25], s[0:1]
	s_cbranch_execz .LBB71_10
; %bb.1:
	s_load_dword s7, s[2:3], 0x0
	v_mov_b32_e32 v3, 0
	v_mov_b32_e32 v9, s46
	;; [unrolled: 1-line block ×4, first 2 shown]
	s_waitcnt lgkmcnt(0)
	s_cmp_lt_u32 s6, s7
	s_cselect_b32 s7, 12, 18
	s_add_u32 s26, s2, s7
	s_addc_u32 s27, s3, 0
	global_load_ushort v8, v3, s[26:27]
	s_mov_b64 s[26:27], 0
                                        ; implicit-def: $sgpr28_sgpr29
	s_waitcnt vmcnt(0)
	v_add_u32_e32 v1, v8, v8
	v_mul_lo_u32 v11, v8, 3
	v_lshlrev_b32_e32 v12, 1, v8
	v_add_u32_e32 v13, v1, v8
	v_mov_b32_e32 v1, v3
	s_branch .LBB71_5
.LBB71_2:                               ;   in Loop: Header=BB71_5 Depth=1
	s_or_b64 exec, exec, s[42:43]
	s_orn2_b64 s[42:43], s[44:45], exec
.LBB71_3:                               ;   in Loop: Header=BB71_5 Depth=1
	s_or_b64 exec, exec, s[40:41]
	s_andn2_b64 s[28:29], s[28:29], exec
	s_and_b64 s[40:41], s[42:43], exec
	s_or_b64 s[28:29], s[28:29], s[40:41]
.LBB71_4:                               ;   in Loop: Header=BB71_5 Depth=1
	s_or_b64 exec, exec, s[38:39]
	s_and_b64 s[38:39], exec, s[28:29]
	s_or_b64 s[26:27], s[38:39], s[26:27]
	s_andn2_b64 exec, exec, s[26:27]
	s_cbranch_execz .LBB71_9
.LBB71_5:                               ; =>This Inner Loop Header: Depth=1
	v_lshlrev_b64 v[4:5], 3, v[2:3]
	v_add_co_u32_e32 v6, vcc, s33, v4
	v_addc_co_u32_e32 v7, vcc, v9, v5, vcc
	v_add_co_u32_e32 v4, vcc, s47, v4
	v_addc_co_u32_e32 v5, vcc, v10, v5, vcc
	global_load_dwordx2 v[6:7], v[6:7], off
	s_or_b64 s[28:29], s[28:29], exec
	global_load_dwordx2 v[14:15], v[4:5], off
	v_add_u32_e32 v4, v2, v8
	v_cmp_gt_u32_e32 vcc, s10, v4
	s_waitcnt vmcnt(1)
	v_lshlrev_b32_e32 v16, 16, v6
	v_and_b32_e32 v5, 0xffff0000, v6
	s_waitcnt vmcnt(0)
	v_lshlrev_b32_e32 v18, 16, v14
	v_alignbit_b32 v6, v7, v6, 16
	v_and_b32_e32 v17, 0xffff0000, v14
	v_alignbit_b32 v14, v15, v14, 16
	v_add_f32_e32 v16, v16, v18
	v_and_b32_e32 v6, 0xffff0000, v6
	v_add_f32_e32 v5, v5, v17
	v_and_b32_e32 v14, 0xffff0000, v14
	v_fmac_f32_e32 v1, v16, v16
	v_and_b32_e32 v7, 0xffff0000, v7
	v_and_b32_e32 v15, 0xffff0000, v15
	v_add_f32_e32 v6, v6, v14
	v_fmac_f32_e32 v1, v5, v5
	v_add_f32_e32 v7, v7, v15
	v_fmac_f32_e32 v1, v6, v6
	v_fmac_f32_e32 v1, v7, v7
	s_and_saveexec_b64 s[38:39], vcc
	s_cbranch_execz .LBB71_4
; %bb.6:                                ;   in Loop: Header=BB71_5 Depth=1
	v_mov_b32_e32 v5, v3
	v_lshlrev_b64 v[6:7], 3, v[4:5]
	v_add_co_u32_e32 v14, vcc, s33, v6
	v_addc_co_u32_e32 v15, vcc, v9, v7, vcc
	v_add_co_u32_e32 v6, vcc, s47, v6
	v_addc_co_u32_e32 v7, vcc, v10, v7, vcc
	global_load_dwordx2 v[14:15], v[14:15], off
	s_mov_b64 s[42:43], -1
	global_load_dwordx2 v[16:17], v[6:7], off
	v_add_u32_e32 v6, v12, v2
	v_cmp_gt_u32_e32 vcc, s10, v6
	s_waitcnt vmcnt(1)
	v_lshlrev_b32_e32 v7, 16, v14
	v_and_b32_e32 v5, 0xffff0000, v14
	s_waitcnt vmcnt(0)
	v_lshlrev_b32_e32 v19, 16, v16
	v_alignbit_b32 v14, v15, v14, 16
	v_and_b32_e32 v18, 0xffff0000, v16
	v_alignbit_b32 v16, v17, v16, 16
	v_add_f32_e32 v7, v7, v19
	v_and_b32_e32 v14, 0xffff0000, v14
	v_add_f32_e32 v5, v5, v18
	v_and_b32_e32 v16, 0xffff0000, v16
	v_fmac_f32_e32 v1, v7, v7
	v_and_b32_e32 v15, 0xffff0000, v15
	v_and_b32_e32 v17, 0xffff0000, v17
	v_add_f32_e32 v14, v14, v16
	v_fmac_f32_e32 v1, v5, v5
	v_add_f32_e32 v15, v15, v17
	v_fmac_f32_e32 v1, v14, v14
	v_fmac_f32_e32 v1, v15, v15
	s_and_saveexec_b64 s[40:41], vcc
	s_cbranch_execz .LBB71_3
; %bb.7:                                ;   in Loop: Header=BB71_5 Depth=1
	v_mov_b32_e32 v7, v3
	v_lshlrev_b64 v[6:7], 3, v[6:7]
	v_add_co_u32_e32 v14, vcc, s33, v6
	v_addc_co_u32_e32 v15, vcc, v9, v7, vcc
	v_add_co_u32_e32 v6, vcc, s47, v6
	v_addc_co_u32_e32 v7, vcc, v10, v7, vcc
	global_load_dwordx2 v[14:15], v[14:15], off
	v_add_u32_e32 v2, v11, v2
	global_load_dwordx2 v[6:7], v[6:7], off
	v_cmp_gt_u32_e32 vcc, s10, v2
	s_mov_b64 s[44:45], -1
	s_waitcnt vmcnt(1)
	v_lshlrev_b32_e32 v16, 16, v14
	v_and_b32_e32 v5, 0xffff0000, v14
	s_waitcnt vmcnt(0)
	v_lshlrev_b32_e32 v18, 16, v6
	v_alignbit_b32 v14, v15, v14, 16
	v_and_b32_e32 v17, 0xffff0000, v6
	v_alignbit_b32 v6, v7, v6, 16
	v_add_f32_e32 v16, v16, v18
	v_and_b32_e32 v14, 0xffff0000, v14
	v_add_f32_e32 v5, v5, v17
	v_and_b32_e32 v6, 0xffff0000, v6
	v_fmac_f32_e32 v1, v16, v16
	v_and_b32_e32 v15, 0xffff0000, v15
	v_and_b32_e32 v7, 0xffff0000, v7
	v_add_f32_e32 v6, v14, v6
	v_fmac_f32_e32 v1, v5, v5
	v_add_f32_e32 v7, v15, v7
	v_fmac_f32_e32 v1, v6, v6
	v_fmac_f32_e32 v1, v7, v7
	s_and_saveexec_b64 s[42:43], vcc
	s_xor_b64 s[42:43], exec, s[42:43]
	s_cbranch_execz .LBB71_2
; %bb.8:                                ;   in Loop: Header=BB71_5 Depth=1
	v_lshlrev_b64 v[6:7], 3, v[2:3]
	v_mov_b32_e32 v2, s46
	v_add_co_u32_e32 v14, vcc, s33, v6
	v_addc_co_u32_e32 v15, vcc, v2, v7, vcc
	v_mov_b32_e32 v2, s48
	v_add_co_u32_e32 v6, vcc, s47, v6
	v_addc_co_u32_e32 v7, vcc, v2, v7, vcc
	global_load_dwordx2 v[14:15], v[14:15], off
	v_add_u32_e32 v2, v13, v4
	global_load_dwordx2 v[6:7], v[6:7], off
	v_cmp_le_u32_e32 vcc, s10, v2
	s_orn2_b64 s[44:45], vcc, exec
	s_waitcnt vmcnt(1)
	v_lshlrev_b32_e32 v5, 16, v14
	v_and_b32_e32 v4, 0xffff0000, v14
	s_waitcnt vmcnt(0)
	v_lshlrev_b32_e32 v17, 16, v6
	v_alignbit_b32 v14, v15, v14, 16
	v_and_b32_e32 v16, 0xffff0000, v6
	v_alignbit_b32 v6, v7, v6, 16
	v_add_f32_e32 v5, v5, v17
	v_and_b32_e32 v14, 0xffff0000, v14
	v_add_f32_e32 v4, v4, v16
	v_and_b32_e32 v6, 0xffff0000, v6
	v_fmac_f32_e32 v1, v5, v5
	v_and_b32_e32 v15, 0xffff0000, v15
	v_and_b32_e32 v7, 0xffff0000, v7
	v_add_f32_e32 v6, v14, v6
	v_fmac_f32_e32 v1, v4, v4
	v_add_f32_e32 v7, v15, v7
	v_fmac_f32_e32 v1, v6, v6
	v_fmac_f32_e32 v1, v7, v7
	s_branch .LBB71_2
.LBB71_9:
	s_or_b64 exec, exec, s[26:27]
.LBB71_10:
	s_or_b64 exec, exec, s[24:25]
	v_mbcnt_lo_u32_b32 v2, -1, 0
	v_mbcnt_hi_u32_b32 v2, -1, v2
	v_and_b32_e32 v3, 63, v2
	v_cmp_ne_u32_e32 vcc, 63, v3
	s_load_dword s2, s[2:3], 0xc
	v_addc_co_u32_e32 v4, vcc, 0, v2, vcc
	v_lshlrev_b32_e32 v4, 2, v4
	ds_bpermute_b32 v4, v4, v1
	s_waitcnt lgkmcnt(0)
	s_and_b32 s44, s2, 0xffff
	v_and_b32_e32 v5, 0x3c0, v0
	v_sub_u32_e64 v5, s44, v5 clamp
	v_add_u32_e32 v6, 1, v2
	v_add_f32_e32 v4, v1, v4
	v_cmp_lt_u32_e32 vcc, v6, v5
	v_cndmask_b32_e32 v1, v1, v4, vcc
	v_cmp_gt_u32_e32 vcc, 62, v3
	v_cndmask_b32_e64 v4, 0, 1, vcc
	v_lshlrev_b32_e32 v4, 1, v4
	v_add_lshl_u32 v4, v4, v2, 2
	ds_bpermute_b32 v4, v4, v1
	v_add_u32_e32 v6, 2, v2
	v_cmp_lt_u32_e32 vcc, v6, v5
	v_add_u32_e32 v6, 4, v2
	s_waitcnt lgkmcnt(0)
	v_add_f32_e32 v4, v1, v4
	v_cndmask_b32_e32 v1, v1, v4, vcc
	v_cmp_gt_u32_e32 vcc, 60, v3
	v_cndmask_b32_e64 v4, 0, 1, vcc
	v_lshlrev_b32_e32 v4, 2, v4
	v_add_lshl_u32 v4, v4, v2, 2
	ds_bpermute_b32 v4, v4, v1
	v_cmp_lt_u32_e32 vcc, v6, v5
	v_add_u32_e32 v6, 8, v2
	s_waitcnt lgkmcnt(0)
	v_add_f32_e32 v4, v1, v4
	v_cndmask_b32_e32 v1, v1, v4, vcc
	v_cmp_gt_u32_e32 vcc, 56, v3
	v_cndmask_b32_e64 v4, 0, 1, vcc
	v_lshlrev_b32_e32 v4, 3, v4
	v_add_lshl_u32 v4, v4, v2, 2
	ds_bpermute_b32 v4, v4, v1
	;; [unrolled: 10-line block ×3, first 2 shown]
	v_cmp_lt_u32_e32 vcc, v6, v5
	s_waitcnt lgkmcnt(0)
	v_add_f32_e32 v4, v1, v4
	v_cndmask_b32_e32 v1, v1, v4, vcc
	v_cmp_gt_u32_e32 vcc, 32, v3
	v_cndmask_b32_e64 v3, 0, 1, vcc
	v_lshlrev_b32_e32 v3, 5, v3
	v_add_lshl_u32 v3, v3, v2, 2
	ds_bpermute_b32 v3, v3, v1
	v_add_u32_e32 v4, 32, v2
	v_cmp_lt_u32_e32 vcc, v4, v5
	s_waitcnt lgkmcnt(0)
	v_add_f32_e32 v3, v1, v3
	v_cndmask_b32_e32 v1, v1, v3, vcc
	v_cmp_eq_u32_e32 vcc, 0, v2
	s_and_saveexec_b64 s[2:3], vcc
	s_cbranch_execz .LBB71_12
; %bb.11:
	v_lshrrev_b32_e32 v3, 4, v0
	v_and_b32_e32 v3, 60, v3
	ds_write_b32 v3, v1 offset:4096
.LBB71_12:
	s_or_b64 exec, exec, s[2:3]
	v_cmp_gt_u32_e32 vcc, 16, v0
	s_waitcnt lgkmcnt(0)
	s_barrier
	s_and_saveexec_b64 s[24:25], vcc
	s_cbranch_execz .LBB71_14
; %bb.13:
	v_lshlrev_b32_e32 v1, 2, v2
	ds_read_b32 v1, v1 offset:4096
	v_and_b32_e32 v3, 15, v2
	v_cmp_ne_u32_e32 vcc, 15, v3
	v_addc_co_u32_e32 v4, vcc, 0, v2, vcc
	v_lshlrev_b32_e32 v4, 2, v4
	s_waitcnt lgkmcnt(0)
	ds_bpermute_b32 v4, v4, v1
	s_add_i32 s2, s44, 63
	s_lshr_b32 s7, s2, 6
	v_add_u32_e32 v5, 1, v3
	v_cmp_gt_u32_e64 s[2:3], 14, v3
	v_cmp_gt_u32_e32 vcc, s7, v5
	v_cndmask_b32_e64 v5, 0, 1, s[2:3]
	s_waitcnt lgkmcnt(0)
	v_add_f32_e32 v4, v1, v4
	v_lshlrev_b32_e32 v5, 1, v5
	v_cndmask_b32_e32 v4, v1, v4, vcc
	v_add_lshl_u32 v5, v5, v2, 2
	ds_bpermute_b32 v5, v5, v4
	v_add_u32_e32 v6, 2, v3
	v_cmp_gt_u32_e64 s[2:3], s7, v6
	v_add_u32_e32 v6, 4, v3
	s_waitcnt lgkmcnt(0)
	v_add_f32_e32 v5, v4, v5
	v_cndmask_b32_e64 v4, v4, v5, s[2:3]
	v_cmp_gt_u32_e64 s[2:3], 12, v3
	v_cndmask_b32_e64 v5, 0, 1, s[2:3]
	v_lshlrev_b32_e32 v5, 2, v5
	v_add_lshl_u32 v5, v5, v2, 2
	ds_bpermute_b32 v5, v5, v4
	v_cmp_gt_u32_e64 s[2:3], s7, v6
	s_waitcnt lgkmcnt(0)
	v_add_f32_e32 v5, v4, v5
	v_cndmask_b32_e64 v4, v4, v5, s[2:3]
	v_cmp_gt_u32_e64 s[2:3], 8, v3
	v_cndmask_b32_e64 v5, 0, 1, s[2:3]
	v_lshlrev_b32_e32 v5, 3, v5
	v_add_lshl_u32 v2, v5, v2, 2
	ds_bpermute_b32 v2, v2, v4
	v_add_u32_e32 v3, 8, v3
	v_cmp_gt_u32_e64 s[2:3], s7, v3
	s_waitcnt lgkmcnt(0)
	v_add_f32_e32 v2, v4, v2
	v_cndmask_b32_e64 v2, v4, v2, s[2:3]
	v_cndmask_b32_e32 v1, v1, v2, vcc
.LBB71_14:
	s_or_b64 exec, exec, s[24:25]
	v_cmp_eq_u32_e32 vcc, 0, v0
	s_and_saveexec_b64 s[2:3], vcc
	s_cbranch_execz .LBB71_16
; %bb.15:
	v_cvt_f32_i32_e32 v2, s22
	s_mov_b32 s7, 0x800000
	v_div_scale_f32 v3, s[24:25], v2, v2, v1
	v_rcp_f32_e32 v4, v3
	v_div_scale_f32 v5, vcc, v1, v2, v1
	v_fma_f32 v6, -v3, v4, 1.0
	v_fmac_f32_e32 v4, v6, v4
	v_mul_f32_e32 v6, v5, v4
	v_fma_f32 v7, -v3, v6, v5
	v_fmac_f32_e32 v6, v7, v4
	v_fma_f32 v3, -v3, v6, v5
	v_div_fmas_f32 v3, v3, v4, v6
	v_div_fixup_f32 v1, v3, v2, v1
	v_add_f32_e32 v1, s8, v1
	v_mul_f32_e32 v2, 0x4b800000, v1
	v_cmp_gt_f32_e32 vcc, s7, v1
	v_cndmask_b32_e32 v1, v1, v2, vcc
	v_rsq_f32_e32 v1, v1
	v_mul_f32_e32 v2, 0x45800000, v1
	v_cndmask_b32_e32 v1, v1, v2, vcc
	v_mov_b32_e32 v2, 0
	ds_write_b32 v2, v1 offset:4160
.LBB71_16:
	s_or_b64 exec, exec, s[2:3]
	s_ashr_i32 s2, s22, 31
	s_lshr_b32 s2, s2, 25
	s_add_i32 s2, s22, s2
	s_ashr_i32 s24, s2, 7
	s_abs_i32 s3, s24
	v_cvt_f32_u32_e32 v1, s3
	s_sub_i32 s7, 0, s3
	s_ashr_i32 s2, s2, 31
	v_mov_b32_e32 v5, 0
	v_rcp_iflag_f32_e32 v1, v1
	s_waitcnt lgkmcnt(0)
	s_barrier
	v_mul_f32_e32 v1, 0x4f7ffffe, v1
	v_cvt_u32_f32_e32 v1, v1
	ds_read_b32 v37, v5 offset:4160
	v_readfirstlane_b32 s8, v1
	s_mul_i32 s7, s7, s8
	s_mul_hi_u32 s7, s8, s7
	s_add_i32 s8, s8, s7
	s_mul_hi_u32 s7, s44, s8
	s_mul_i32 s8, s7, s3
	s_sub_i32 s8, s44, s8
	s_add_i32 s9, s7, 1
	s_sub_i32 s11, s8, s3
	s_cmp_ge_u32 s8, s3
	s_cselect_b32 s7, s9, s7
	s_cselect_b32 s8, s11, s8
	s_add_i32 s9, s7, 1
	s_cmp_ge_u32 s8, s3
	s_cselect_b32 s3, s9, s7
	s_xor_b32 s3, s3, s2
	s_sub_i32 s26, s3, s2
	s_abs_i32 s2, s26
	v_cvt_f32_u32_e32 v1, s2
	s_sub_i32 s3, 0, s2
	s_ashr_i32 s27, s26, 31
	s_ashr_i32 s11, s10, 31
	v_rcp_iflag_f32_e32 v1, v1
	v_mul_f32_e32 v1, 0x4f7ffffe, v1
	v_cvt_u32_f32_e32 v1, v1
	v_mul_lo_u32 v2, s3, v1
	v_mul_hi_u32 v2, v1, v2
	v_add_u32_e32 v1, v1, v2
	v_mul_hi_u32 v1, v0, v1
	v_mul_lo_u32 v2, v1, s2
	v_sub_u32_e32 v2, v0, v2
	v_add_u32_e32 v3, 1, v1
	v_cmp_le_u32_e32 vcc, s2, v2
	v_cndmask_b32_e32 v1, v1, v3, vcc
	v_subrev_u32_e32 v3, s2, v2
	v_cndmask_b32_e32 v2, v2, v3, vcc
	v_add_u32_e32 v3, 1, v1
	v_cmp_le_u32_e32 vcc, s2, v2
	v_cndmask_b32_e32 v1, v1, v3, vcc
	v_xor_b32_e32 v1, s27, v1
	v_subrev_u32_e32 v2, s27, v1
	v_mul_lo_u32 v1, v2, s26
	v_ashrrev_i32_e32 v3, 31, v2
	v_sub_u32_e32 v4, v0, v1
	v_lshlrev_b64 v[8:9], 5, v[2:3]
	v_add_co_u32_e32 v6, vcc, v8, v4
	v_addc_co_u32_e32 v7, vcc, 0, v9, vcc
	v_add_co_u32_e32 v8, vcc, 32, v8
	v_addc_co_u32_e32 v9, vcc, 0, v9, vcc
	v_mov_b32_e32 v1, s11
	v_cmp_gt_i64_e32 vcc, s[10:11], v[8:9]
	v_cndmask_b32_e32 v9, v1, v9, vcc
	v_mov_b32_e32 v1, s10
	v_cndmask_b32_e32 v8, v1, v8, vcc
	v_ashrrev_i32_e32 v11, 31, v8
	v_mov_b32_e32 v10, v8
	v_cmp_lt_i64_e32 vcc, v[6:7], v[10:11]
	s_and_saveexec_b64 s[28:29], vcc
	s_cbranch_execz .LBB71_26
; %bb.17:
	v_lshlrev_b64 v[30:31], 8, v[2:3]
	s_mul_i32 s11, s26, 24
	v_lshlrev_b64 v[12:13], 3, v[4:5]
	v_mov_b32_e32 v1, s31
	v_add_co_u32_e32 v5, vcc, s30, v30
	s_mul_hi_i32 s7, s26, 24
	s_add_u32 s2, s16, s11
	v_addc_co_u32_e32 v19, vcc, v1, v31, vcc
	s_addc_u32 s3, s17, s7
	v_mov_b32_e32 v1, s3
	v_add_co_u32_e32 v14, vcc, s2, v5
	s_lshl_b64 s[30:31], s[26:27], 5
	s_lshl_b64 s[2:3], s[26:27], 4
	s_add_u32 s8, s16, s2
	v_addc_co_u32_e32 v1, vcc, v1, v19, vcc
	s_addc_u32 s9, s17, s3
	v_mov_b32_e32 v15, s9
	v_add_co_u32_e32 v16, vcc, s8, v5
	s_lshl_b64 s[8:9], s[26:27], 3
	s_add_u32 s25, s16, s8
	v_addc_co_u32_e32 v15, vcc, v15, v19, vcc
	s_addc_u32 s38, s17, s9
	v_mov_b32_e32 v17, s38
	v_add_co_u32_e32 v18, vcc, s25, v5
	v_addc_co_u32_e32 v17, vcc, v17, v19, vcc
	v_mov_b32_e32 v21, s17
	v_add_co_u32_e32 v20, vcc, s16, v5
	s_add_u32 s16, s18, s11
	v_addc_co_u32_e32 v19, vcc, v21, v19, vcc
	s_addc_u32 s17, s19, s7
	v_mov_b32_e32 v5, s17
	v_add_co_u32_e32 v22, vcc, s16, v30
	s_add_u32 s16, s18, s2
	v_addc_co_u32_e32 v21, vcc, v5, v31, vcc
	s_addc_u32 s17, s19, s3
	;; [unrolled: 5-line block ×3, first 2 shown]
	v_mov_b32_e32 v5, s17
	v_add_co_u32_e32 v26, vcc, s16, v30
	v_addc_co_u32_e32 v25, vcc, v5, v31, vcc
	v_mov_b32_e32 v5, s19
	v_add_co_u32_e32 v28, vcc, s18, v30
	v_addc_co_u32_e32 v27, vcc, v5, v31, vcc
	v_mov_b32_e32 v5, s37
	v_add_co_u32_e32 v35, vcc, s36, v30
	s_add_u32 s11, s34, s11
	v_addc_co_u32_e32 v5, vcc, v5, v31, vcc
	s_addc_u32 s7, s35, s7
	v_mov_b32_e32 v29, s7
	v_add_co_u32_e32 v30, vcc, s11, v35
	s_add_u32 s2, s34, s2
	v_addc_co_u32_e32 v29, vcc, v29, v5, vcc
	s_addc_u32 s3, s35, s3
	;; [unrolled: 5-line block ×3, first 2 shown]
	v_mov_b32_e32 v33, s3
	v_add_co_u32_e32 v34, vcc, s2, v35
	v_addc_co_u32_e32 v33, vcc, v33, v5, vcc
	v_mov_b32_e32 v38, s35
	v_add_co_u32_e32 v36, vcc, s34, v35
	v_addc_co_u32_e32 v35, vcc, v38, v5, vcc
	s_mul_hi_i32 s7, s26, 3
	s_mul_i32 s11, s26, 3
	s_lshl_b64 s[34:35], s[26:27], 1
	s_mov_b64 s[16:17], 0
	v_mov_b32_e32 v5, 0
	s_movk_i32 s25, 0x7fff
	v_mov_b32_e32 v42, 0x7fc00000
	v_pk_mov_b32 v[38:39], v[6:7], v[6:7] op_sel:[0,1]
                                        ; implicit-def: $sgpr36_sgpr37
	s_branch .LBB71_21
.LBB71_18:                              ;   in Loop: Header=BB71_21 Depth=1
	s_or_b64 exec, exec, s[42:43]
	s_orn2_b64 s[2:3], s[2:3], exec
.LBB71_19:                              ;   in Loop: Header=BB71_21 Depth=1
	s_or_b64 exec, exec, s[40:41]
	s_andn2_b64 s[8:9], s[36:37], exec
	s_and_b64 s[2:3], s[2:3], exec
	s_or_b64 s[36:37], s[8:9], s[2:3]
.LBB71_20:                              ;   in Loop: Header=BB71_21 Depth=1
	s_or_b64 exec, exec, s[38:39]
	s_and_b64 s[2:3], exec, s[36:37]
	s_or_b64 s[16:17], s[2:3], s[16:17]
	s_andn2_b64 exec, exec, s[16:17]
	s_cbranch_execz .LBB71_25
.LBB71_21:                              ; =>This Inner Loop Header: Depth=1
	v_add_co_u32_e32 v40, vcc, v20, v12
	v_addc_co_u32_e32 v41, vcc, v19, v13, vcc
	global_load_dwordx2 v[44:45], v[40:41], off
	v_add_co_u32_e32 v40, vcc, v28, v12
	v_addc_co_u32_e32 v41, vcc, v27, v13, vcc
	global_load_dwordx2 v[46:47], v[40:41], off
	;; [unrolled: 3-line block ×3, first 2 shown]
	v_mov_b32_e32 v41, s27
	v_add_co_u32_e32 v40, vcc, s26, v38
	v_addc_co_u32_e32 v41, vcc, v39, v41, vcc
	v_cmp_lt_i64_e32 vcc, v[40:41], v[10:11]
	s_or_b64 s[36:37], s[36:37], exec
	s_waitcnt vmcnt(2)
	v_and_b32_e32 v43, 0xffff0000, v44
	v_lshlrev_b32_e32 v51, 16, v44
	v_alignbit_b32 v44, v45, v44, 16
	v_and_b32_e32 v44, 0xffff0000, v44
	v_and_b32_e32 v45, 0xffff0000, v45
	s_waitcnt vmcnt(1)
	v_lshlrev_b32_e32 v54, 16, v46
	v_and_b32_e32 v50, 0xffff0000, v46
	v_alignbit_b32 v46, v47, v46, 16
	v_and_b32_e32 v47, 0xffff0000, v47
	v_and_b32_e32 v46, 0xffff0000, v46
	s_waitcnt vmcnt(0)
	v_and_b32_e32 v52, 0xffff0000, v48
	v_lshlrev_b32_e32 v53, 16, v48
	v_alignbit_b32 v48, v49, v48, 16
	v_add_f32_e32 v51, v51, v53
	v_and_b32_e32 v48, 0xffff0000, v48
	v_and_b32_e32 v49, 0xffff0000, v49
	v_add_f32_e32 v43, v43, v52
	v_add_f32_e32 v44, v44, v48
	s_waitcnt lgkmcnt(0)
	v_mul_f32_e32 v48, v37, v51
	v_add_f32_e32 v45, v45, v49
	v_mul_f32_e32 v43, v37, v43
	v_bfe_u32 v49, v48, 16, 1
	v_mul_f32_e32 v45, v37, v45
	v_bfe_u32 v51, v43, 16, 1
	v_add3_u32 v49, v48, v49, s25
	v_bfe_u32 v52, v45, 16, 1
	v_add3_u32 v51, v43, v51, s25
	v_and_b32_e32 v49, 0xffff0000, v49
	v_cmp_o_f32_e64 s[2:3], v48, v48
	v_mul_f32_e32 v44, v37, v44
	v_add3_u32 v52, v45, v52, s25
	v_and_b32_e32 v51, 0xffff0000, v51
	v_cndmask_b32_e64 v48, v42, v49, s[2:3]
	v_cmp_o_f32_e64 s[2:3], v43, v43
	v_bfe_u32 v53, v44, 16, 1
	v_and_b32_e32 v52, 0xffff0000, v52
	v_cndmask_b32_e64 v43, v42, v51, s[2:3]
	v_cmp_o_f32_e64 s[2:3], v45, v45
	v_add3_u32 v53, v44, v53, s25
	v_cndmask_b32_e64 v45, v42, v52, s[2:3]
	v_mul_f32_e32 v48, v48, v54
	v_and_b32_e32 v49, 0xffff0000, v53
	v_mul_f32_e32 v43, v43, v50
	v_cmp_o_f32_e64 s[2:3], v44, v44
	v_mul_f32_e32 v45, v45, v47
	v_bfe_u32 v47, v48, 16, 1
	v_cndmask_b32_e64 v44, v42, v49, s[2:3]
	v_bfe_u32 v49, v43, 16, 1
	v_add3_u32 v47, v48, v47, s25
	v_mul_f32_e32 v44, v44, v46
	v_bfe_u32 v46, v45, 16, 1
	v_add3_u32 v49, v43, v49, s25
	v_and_b32_e32 v47, 0xffff0000, v47
	v_cmp_o_f32_e64 s[2:3], v48, v48
	v_bfe_u32 v50, v44, 16, 1
	v_add3_u32 v46, v45, v46, s25
	v_and_b32_e32 v49, 0xffff0000, v49
	v_cndmask_b32_e64 v47, v42, |v47|, s[2:3]
	v_cmp_o_f32_e64 s[2:3], v43, v43
	v_add3_u32 v50, v44, v50, s25
	v_and_b32_e32 v46, 0xffff0000, v46
	v_cndmask_b32_e64 v43, v42, |v49|, s[2:3]
	v_cmp_o_f32_e64 s[2:3], v45, v45
	v_and_b32_e32 v48, 0xffff0000, v50
	v_cndmask_b32_e64 v45, v42, |v46|, s[2:3]
	v_cmp_o_f32_e64 s[2:3], v44, v44
	v_max3_f32 v5, v5, v47, v43
	v_cndmask_b32_e64 v43, v42, |v48|, s[2:3]
	v_max3_f32 v5, v5, v43, v45
	s_and_saveexec_b64 s[38:39], vcc
	s_cbranch_execz .LBB71_20
; %bb.22:                               ;   in Loop: Header=BB71_21 Depth=1
	v_add_co_u32_e32 v44, vcc, v18, v12
	v_addc_co_u32_e32 v45, vcc, v17, v13, vcc
	v_add_co_u32_e32 v46, vcc, v26, v12
	v_addc_co_u32_e32 v47, vcc, v25, v13, vcc
	;; [unrolled: 2-line block ×3, first 2 shown]
	global_load_dwordx2 v[44:45], v[44:45], off
	v_mov_b32_e32 v43, s35
	global_load_dwordx2 v[48:49], v[48:49], off
	v_add_co_u32_e32 v50, vcc, s34, v38
	global_load_dwordx2 v[46:47], v[46:47], off
	v_addc_co_u32_e32 v51, vcc, v43, v39, vcc
	v_cmp_lt_i64_e32 vcc, v[50:51], v[10:11]
	s_waitcnt vmcnt(2)
	v_and_b32_e32 v43, 0xffff0000, v44
	v_lshlrev_b32_e32 v51, 16, v44
	v_alignbit_b32 v44, v45, v44, 16
	s_waitcnt vmcnt(1)
	v_and_b32_e32 v52, 0xffff0000, v48
	v_lshlrev_b32_e32 v53, 16, v48
	v_alignbit_b32 v48, v49, v48, 16
	v_and_b32_e32 v44, 0xffff0000, v44
	v_add_f32_e32 v51, v51, v53
	v_and_b32_e32 v48, 0xffff0000, v48
	v_and_b32_e32 v45, 0xffff0000, v45
	;; [unrolled: 1-line block ×3, first 2 shown]
	v_add_f32_e32 v43, v43, v52
	v_add_f32_e32 v44, v44, v48
	v_mul_f32_e32 v48, v37, v51
	v_add_f32_e32 v45, v45, v49
	v_mul_f32_e32 v43, v37, v43
	v_bfe_u32 v49, v48, 16, 1
	v_mul_f32_e32 v45, v37, v45
	v_bfe_u32 v51, v43, 16, 1
	v_add3_u32 v49, v48, v49, s25
	v_bfe_u32 v52, v45, 16, 1
	v_add3_u32 v51, v43, v51, s25
	v_and_b32_e32 v49, 0xffff0000, v49
	v_cmp_o_f32_e64 s[2:3], v48, v48
	v_mul_f32_e32 v44, v37, v44
	v_add3_u32 v52, v45, v52, s25
	v_and_b32_e32 v51, 0xffff0000, v51
	v_cndmask_b32_e64 v48, v42, v49, s[2:3]
	v_cmp_o_f32_e64 s[2:3], v43, v43
	s_waitcnt vmcnt(0)
	v_lshlrev_b32_e32 v54, 16, v46
	v_bfe_u32 v53, v44, 16, 1
	v_and_b32_e32 v52, 0xffff0000, v52
	v_cndmask_b32_e64 v43, v42, v51, s[2:3]
	v_cmp_o_f32_e64 s[2:3], v45, v45
	v_and_b32_e32 v50, 0xffff0000, v46
	v_alignbit_b32 v46, v47, v46, 16
	v_and_b32_e32 v47, 0xffff0000, v47
	v_add3_u32 v53, v44, v53, s25
	v_cndmask_b32_e64 v45, v42, v52, s[2:3]
	v_mul_f32_e32 v48, v48, v54
	v_and_b32_e32 v49, 0xffff0000, v53
	v_mul_f32_e32 v43, v43, v50
	v_cmp_o_f32_e64 s[2:3], v44, v44
	v_mul_f32_e32 v45, v45, v47
	v_bfe_u32 v47, v48, 16, 1
	v_and_b32_e32 v46, 0xffff0000, v46
	v_cndmask_b32_e64 v44, v42, v49, s[2:3]
	v_bfe_u32 v49, v43, 16, 1
	v_add3_u32 v47, v48, v47, s25
	v_mul_f32_e32 v44, v44, v46
	v_bfe_u32 v46, v45, 16, 1
	v_add3_u32 v49, v43, v49, s25
	v_and_b32_e32 v47, 0xffff0000, v47
	v_cmp_o_f32_e64 s[2:3], v48, v48
	v_bfe_u32 v50, v44, 16, 1
	v_add3_u32 v46, v45, v46, s25
	v_and_b32_e32 v49, 0xffff0000, v49
	v_cndmask_b32_e64 v47, v42, |v47|, s[2:3]
	v_cmp_o_f32_e64 s[2:3], v43, v43
	v_add3_u32 v50, v44, v50, s25
	v_and_b32_e32 v46, 0xffff0000, v46
	v_cndmask_b32_e64 v43, v42, |v49|, s[2:3]
	v_cmp_o_f32_e64 s[2:3], v45, v45
	v_and_b32_e32 v48, 0xffff0000, v50
	v_cndmask_b32_e64 v45, v42, |v46|, s[2:3]
	v_cmp_o_f32_e64 s[2:3], v44, v44
	v_max3_f32 v5, v5, v47, v43
	v_cndmask_b32_e64 v43, v42, |v48|, s[2:3]
	v_max3_f32 v5, v5, v43, v45
	s_mov_b64 s[2:3], -1
	s_and_saveexec_b64 s[40:41], vcc
	s_cbranch_execz .LBB71_19
; %bb.23:                               ;   in Loop: Header=BB71_21 Depth=1
	v_add_co_u32_e32 v44, vcc, v16, v12
	v_addc_co_u32_e32 v45, vcc, v15, v13, vcc
	v_add_co_u32_e32 v46, vcc, v24, v12
	v_addc_co_u32_e32 v47, vcc, v23, v13, vcc
	;; [unrolled: 2-line block ×3, first 2 shown]
	global_load_dwordx2 v[44:45], v[44:45], off
	v_mov_b32_e32 v43, s7
	global_load_dwordx2 v[48:49], v[48:49], off
	v_add_co_u32_e32 v38, vcc, s11, v38
	global_load_dwordx2 v[46:47], v[46:47], off
	v_addc_co_u32_e32 v39, vcc, v43, v39, vcc
	v_cmp_lt_i64_e32 vcc, v[38:39], v[10:11]
	s_waitcnt vmcnt(2)
	v_lshlrev_b32_e32 v43, 16, v44
	v_and_b32_e32 v38, 0xffff0000, v44
	s_waitcnt vmcnt(1)
	v_lshlrev_b32_e32 v51, 16, v48
	v_alignbit_b32 v44, v45, v44, 16
	v_and_b32_e32 v50, 0xffff0000, v48
	v_alignbit_b32 v48, v49, v48, 16
	v_add_f32_e32 v43, v43, v51
	v_and_b32_e32 v45, 0xffff0000, v45
	v_and_b32_e32 v49, 0xffff0000, v49
	;; [unrolled: 1-line block ×3, first 2 shown]
	v_add_f32_e32 v38, v38, v50
	v_and_b32_e32 v48, 0xffff0000, v48
	v_mul_f32_e32 v43, v37, v43
	v_add_f32_e32 v45, v45, v49
	v_add_f32_e32 v44, v44, v48
	v_mul_f32_e32 v38, v37, v38
	v_bfe_u32 v48, v43, 16, 1
	v_mul_f32_e32 v45, v37, v45
	v_bfe_u32 v49, v38, 16, 1
	v_add3_u32 v48, v43, v48, s25
	v_bfe_u32 v50, v45, 16, 1
	v_add3_u32 v49, v38, v49, s25
	v_and_b32_e32 v48, 0xffff0000, v48
	v_cmp_o_f32_e64 s[2:3], v43, v43
	v_mul_f32_e32 v44, v37, v44
	v_add3_u32 v50, v45, v50, s25
	v_and_b32_e32 v49, 0xffff0000, v49
	v_cndmask_b32_e64 v43, v42, v48, s[2:3]
	v_cmp_o_f32_e64 s[2:3], v38, v38
	s_waitcnt vmcnt(0)
	v_lshlrev_b32_e32 v52, 16, v46
	v_bfe_u32 v51, v44, 16, 1
	v_and_b32_e32 v50, 0xffff0000, v50
	v_cndmask_b32_e64 v38, v42, v49, s[2:3]
	v_cmp_o_f32_e64 s[2:3], v45, v45
	v_and_b32_e32 v39, 0xffff0000, v46
	v_alignbit_b32 v46, v47, v46, 16
	v_and_b32_e32 v47, 0xffff0000, v47
	v_add3_u32 v51, v44, v51, s25
	v_cndmask_b32_e64 v45, v42, v50, s[2:3]
	v_mul_f32_e32 v43, v43, v52
	v_and_b32_e32 v48, 0xffff0000, v51
	v_mul_f32_e32 v38, v38, v39
	v_cmp_o_f32_e64 s[2:3], v44, v44
	v_mul_f32_e32 v44, v45, v47
	v_bfe_u32 v45, v43, 16, 1
	v_and_b32_e32 v46, 0xffff0000, v46
	v_cndmask_b32_e64 v39, v42, v48, s[2:3]
	v_bfe_u32 v47, v38, 16, 1
	v_add3_u32 v45, v43, v45, s25
	v_mul_f32_e32 v39, v39, v46
	v_bfe_u32 v46, v44, 16, 1
	v_add3_u32 v47, v38, v47, s25
	v_and_b32_e32 v45, 0xffff0000, v45
	v_cmp_o_f32_e64 s[2:3], v43, v43
	v_bfe_u32 v48, v39, 16, 1
	v_add3_u32 v46, v44, v46, s25
	v_and_b32_e32 v47, 0xffff0000, v47
	v_cndmask_b32_e64 v43, v42, |v45|, s[2:3]
	v_cmp_o_f32_e64 s[2:3], v38, v38
	v_add3_u32 v48, v39, v48, s25
	v_and_b32_e32 v46, 0xffff0000, v46
	v_cndmask_b32_e64 v38, v42, |v47|, s[2:3]
	v_cmp_o_f32_e64 s[2:3], v44, v44
	v_and_b32_e32 v45, 0xffff0000, v48
	v_cndmask_b32_e64 v44, v42, |v46|, s[2:3]
	v_cmp_o_f32_e64 s[2:3], v39, v39
	v_max3_f32 v5, v5, v43, v38
	v_cndmask_b32_e64 v38, v42, |v45|, s[2:3]
	v_max3_f32 v5, v5, v38, v44
	s_mov_b64 s[2:3], -1
                                        ; implicit-def: $vgpr38_vgpr39
	s_and_saveexec_b64 s[8:9], vcc
	s_xor_b64 s[42:43], exec, s[8:9]
	s_cbranch_execz .LBB71_18
; %bb.24:                               ;   in Loop: Header=BB71_21 Depth=1
	s_add_u32 s2, s26, s26
	s_addc_u32 s3, s27, s27
	s_add_u32 s2, s2, s26
	s_addc_u32 s3, s3, s27
	v_mov_b32_e32 v39, s3
	v_add_co_u32_e32 v38, vcc, s2, v40
	v_addc_co_u32_e32 v39, vcc, v39, v41, vcc
	v_add_co_u32_e32 v40, vcc, v14, v12
	v_addc_co_u32_e32 v41, vcc, v1, v13, vcc
	global_load_dwordx2 v[40:41], v[40:41], off
	s_waitcnt vmcnt(0)
	v_and_b32_e32 v43, 0xffff0000, v40
	v_lshlrev_b32_e32 v44, 16, v40
	v_alignbit_b32 v45, v41, v40, 16
	v_add_co_u32_e32 v40, vcc, v30, v12
	v_and_b32_e32 v46, 0xffff0000, v41
	v_addc_co_u32_e32 v41, vcc, v29, v13, vcc
	global_load_dwordx2 v[40:41], v[40:41], off
	v_and_b32_e32 v45, 0xffff0000, v45
	s_waitcnt vmcnt(0)
	v_and_b32_e32 v47, 0xffff0000, v40
	v_lshlrev_b32_e32 v48, 16, v40
	v_alignbit_b32 v49, v41, v40, 16
	v_add_co_u32_e32 v40, vcc, v22, v12
	v_and_b32_e32 v50, 0xffff0000, v41
	v_addc_co_u32_e32 v41, vcc, v21, v13, vcc
	global_load_dwordx2 v[40:41], v[40:41], off
	v_add_f32_e32 v44, v44, v48
	v_add_f32_e32 v43, v43, v47
	v_and_b32_e32 v47, 0xffff0000, v49
	v_mul_f32_e32 v44, v37, v44
	v_add_f32_e32 v45, v45, v47
	v_bfe_u32 v47, v44, 16, 1
	v_add3_u32 v47, v44, v47, s25
	v_and_b32_e32 v47, 0xffff0000, v47
	v_cmp_o_f32_e32 vcc, v44, v44
	v_mul_f32_e32 v43, v37, v43
	v_cndmask_b32_e32 v44, v42, v47, vcc
	v_bfe_u32 v47, v43, 16, 1
	v_add_f32_e32 v46, v46, v50
	v_add3_u32 v47, v43, v47, s25
	v_and_b32_e32 v47, 0xffff0000, v47
	v_cmp_o_f32_e32 vcc, v43, v43
	v_mul_f32_e32 v46, v37, v46
	v_cndmask_b32_e32 v43, v42, v47, vcc
	v_bfe_u32 v47, v46, 16, 1
	v_add3_u32 v47, v46, v47, s25
	v_and_b32_e32 v47, 0xffff0000, v47
	v_cmp_o_f32_e32 vcc, v46, v46
	v_cndmask_b32_e32 v46, v42, v47, vcc
	v_mul_f32_e32 v45, v37, v45
	v_cmp_o_f32_e32 vcc, v45, v45
	s_waitcnt vmcnt(0)
	v_and_b32_e32 v51, 0xffff0000, v40
	v_lshlrev_b32_e32 v52, 16, v40
	v_alignbit_b32 v40, v41, v40, 16
	v_and_b32_e32 v41, 0xffff0000, v41
	v_mul_f32_e32 v41, v46, v41
	v_bfe_u32 v46, v45, 16, 1
	v_add3_u32 v46, v45, v46, s25
	v_and_b32_e32 v46, 0xffff0000, v46
	v_mul_f32_e32 v43, v43, v51
	v_and_b32_e32 v40, 0xffff0000, v40
	v_cndmask_b32_e32 v45, v42, v46, vcc
	v_mul_f32_e32 v40, v45, v40
	v_bfe_u32 v45, v43, 16, 1
	v_mul_f32_e32 v44, v44, v52
	v_add3_u32 v45, v43, v45, s25
	v_cmp_o_f32_e32 vcc, v43, v43
	v_bfe_u32 v43, v40, 16, 1
	v_add3_u32 v43, v40, v43, s25
	v_cmp_o_f32_e64 s[2:3], v40, v40
	v_bfe_u32 v40, v44, 16, 1
	v_add3_u32 v40, v44, v40, s25
	v_and_b32_e32 v45, 0xffff0000, v45
	v_and_b32_e32 v40, 0xffff0000, v40
	v_cmp_o_f32_e64 s[8:9], v44, v44
	v_cndmask_b32_e64 v40, v42, |v40|, s[8:9]
	v_cndmask_b32_e64 v44, v42, |v45|, vcc
	v_max3_f32 v5, v5, v40, v44
	v_bfe_u32 v40, v41, 16, 1
	v_add3_u32 v40, v41, v40, s25
	v_and_b32_e32 v43, 0xffff0000, v43
	v_and_b32_e32 v40, 0xffff0000, v40
	v_cmp_o_f32_e32 vcc, v41, v41
	v_cndmask_b32_e64 v40, v42, |v40|, vcc
	v_cndmask_b32_e64 v41, v42, |v43|, s[2:3]
	v_max3_f32 v5, v5, v41, v40
	v_mov_b32_e32 v40, s31
	v_add_co_u32_e32 v14, vcc, s30, v14
	v_addc_co_u32_e32 v1, vcc, v1, v40, vcc
	v_add_co_u32_e32 v16, vcc, s30, v16
	v_addc_co_u32_e32 v15, vcc, v15, v40, vcc
	;; [unrolled: 2-line block ×12, first 2 shown]
	v_cmp_ge_i64_e32 vcc, v[38:39], v[10:11]
	s_orn2_b64 s[2:3], vcc, exec
	s_branch .LBB71_18
.LBB71_25:
	s_or_b64 exec, exec, s[16:17]
.LBB71_26:
	s_or_b64 exec, exec, s[28:29]
	s_lshr_b32 s7, s44, 6
	v_cvt_f32_u32_e32 v10, s7
	v_lshlrev_b32_e32 v1, 2, v0
	ds_write_b32 v1, v5
	s_sub_i32 s8, 0, s7
	v_rcp_iflag_f32_e32 v5, v10
	s_add_i32 s2, s24, s7
	s_add_i32 s2, s2, -1
	s_ashr_i32 s3, s2, 31
	v_mul_f32_e32 v5, 0x4f7ffffe, v5
	v_cvt_u32_f32_e32 v5, v5
	s_abs_i32 s2, s2
	s_ashr_i32 s25, s24, 31
	s_waitcnt lgkmcnt(0)
	v_readfirstlane_b32 s9, v5
	s_mul_i32 s8, s8, s9
	s_mul_hi_u32 s8, s9, s8
	s_add_i32 s9, s9, s8
	s_mul_hi_u32 s8, s2, s9
	s_mul_i32 s9, s8, s7
	s_sub_i32 s2, s2, s9
	s_add_i32 s9, s8, 1
	s_sub_i32 s11, s2, s7
	s_cmp_ge_u32 s2, s7
	s_cselect_b32 s8, s9, s8
	s_cselect_b32 s2, s11, s2
	s_add_i32 s9, s8, 1
	s_cmp_ge_u32 s2, s7
	s_cselect_b32 s2, s9, s8
	s_xor_b32 s2, s2, s3
	s_sub_i32 s2, s2, s3
	s_ashr_i32 s3, s2, 31
	v_cmp_lt_i64_e64 s[8:9], s[2:3], 1
	s_and_b64 vcc, exec, s[8:9]
	s_barrier
	s_cbranch_vccnz .LBB71_48
; %bb.27:
	v_and_b32_e32 v12, 63, v0
	v_add_co_u32_e32 v14, vcc, 32, v12
	v_addc_co_u32_e64 v15, s[8:9], 0, 0, vcc
	v_add_co_u32_e32 v16, vcc, 16, v12
	v_addc_co_u32_e64 v17, s[8:9], 0, 0, vcc
	;; [unrolled: 2-line block ×4, first 2 shown]
	v_add_co_u32_e32 v22, vcc, 2, v12
	v_lshrrev_b32_e32 v10, 6, v0
	v_addc_co_u32_e64 v23, s[8:9], 0, 0, vcc
	v_add_co_u32_e32 v24, vcc, 1, v12
	v_addc_co_u32_e64 v25, s[8:9], 0, 0, vcc
	v_mul_lo_u32 v5, s26, v10
	v_lshlrev_b32_e32 v5, 2, v5
	v_lshlrev_b32_e32 v26, 2, v12
	s_movk_i32 s8, 0x100
	v_mov_b32_e32 v11, 0
	v_add3_u32 v5, v5, v26, s8
	s_mul_i32 s8, s26, s7
	v_mov_b32_e32 v13, v11
	s_lshl_b32 s11, s8, 2
	s_mov_b64 s[8:9], 0
	v_mov_b32_e32 v36, s7
	s_mov_b64 s[16:17], src_shared_base
	s_branch .LBB71_30
.LBB71_28:                              ;   in Loop: Header=BB71_30 Depth=1
	s_or_b64 exec, exec, s[30:31]
	v_mov_b32_e32 v27, s17
	flat_load_dword v26, v[26:27] glc
	s_waitcnt vmcnt(0)
.LBB71_29:                              ;   in Loop: Header=BB71_30 Depth=1
	s_or_b64 exec, exec, s[28:29]
	s_add_u32 s8, s8, 1
	s_addc_u32 s9, s9, 0
	s_cmp_eq_u64 s[8:9], s[2:3]
	v_add_u32_e32 v5, s11, v5
	s_cbranch_scc1 .LBB71_48
.LBB71_30:                              ; =>This Loop Header: Depth=1
                                        ;     Child Loop BB71_33 Depth 2
	v_mad_u64_u32 v[30:31], s[28:29], s8, v36, v[10:11]
	s_mul_i32 s16, s9, s7
	v_add_u32_e32 v31, s16, v31
	v_cmp_gt_i64_e32 vcc, s[24:25], v[30:31]
	s_and_saveexec_b64 s[28:29], vcc
	s_cbranch_execz .LBB71_29
; %bb.31:                               ;   in Loop: Header=BB71_30 Depth=1
	v_pk_mov_b32 v[32:33], s[26:27], s[26:27] op_sel:[0,1]
	v_mul_lo_u32 v29, v31, s26
	v_mul_lo_u32 v38, v30, s27
	v_mad_u64_u32 v[32:33], s[30:31], v30, s26, v[32:33]
	v_add3_u32 v33, v29, v33, v38
	v_mov_b32_e32 v28, s23
	v_cmp_gt_i64_e32 vcc, s[22:23], v[32:33]
	s_waitcnt lgkmcnt(0)
	v_mad_u64_u32 v[26:27], s[30:31], v30, s26, v[12:13]
	v_cndmask_b32_e32 v33, v28, v33, vcc
	v_mov_b32_e32 v28, s22
	v_add3_u32 v27, v29, v27, v38
	v_cndmask_b32_e32 v32, v28, v32, vcc
	v_add_co_u32_e32 v34, vcc, 64, v26
	v_addc_co_u32_e32 v35, vcc, 0, v27, vcc
	v_cmp_lt_i64_e32 vcc, v[34:35], v[32:33]
	v_lshlrev_b32_e32 v28, 2, v26
	s_and_saveexec_b64 s[30:31], vcc
	s_cbranch_execz .LBB71_34
; %bb.32:                               ;   in Loop: Header=BB71_30 Depth=1
	ds_read_b32 v31, v28
	s_mov_b64 s[34:35], 0
	v_mov_b32_e32 v27, v5
.LBB71_33:                              ;   Parent Loop BB71_30 Depth=1
                                        ; =>  This Inner Loop Header: Depth=2
	ds_read_b32 v39, v27
	v_add_co_u32_e32 v34, vcc, 64, v34
	v_addc_co_u32_e32 v35, vcc, 0, v35, vcc
	s_waitcnt lgkmcnt(1)
	v_max_f32_e32 v31, v31, v31
	v_cmp_ge_i64_e32 vcc, v[34:35], v[32:33]
	s_waitcnt lgkmcnt(0)
	v_max_f32_e32 v39, v39, v39
	v_add_u32_e32 v27, 0x100, v27
	s_or_b64 s[34:35], vcc, s[34:35]
	v_max_f32_e32 v31, v31, v39
	ds_write_b32 v28, v31
	s_andn2_b64 exec, exec, s[34:35]
	s_cbranch_execnz .LBB71_33
.LBB71_34:                              ;   in Loop: Header=BB71_30 Depth=1
	s_or_b64 exec, exec, s[30:31]
	v_mad_u64_u32 v[30:31], s[30:31], v30, s26, 0
	v_add3_u32 v27, v31, v38, v29
	v_sub_co_u32_e32 v30, vcc, v32, v30
	v_subb_co_u32_e32 v31, vcc, v33, v27, vcc
	v_cmp_gt_i64_e32 vcc, 64, v[30:31]
	v_cndmask_b32_e32 v31, 0, v31, vcc
	v_cndmask_b32_e32 v30, 64, v30, vcc
	v_cmp_lt_i64_e32 vcc, v[14:15], v[30:31]
	s_and_saveexec_b64 s[30:31], vcc
	s_cbranch_execnz .LBB71_46
; %bb.35:                               ;   in Loop: Header=BB71_30 Depth=1
	s_or_b64 exec, exec, s[30:31]
	v_cmp_lt_i64_e32 vcc, v[16:17], v[30:31]
	s_and_saveexec_b64 s[30:31], vcc
	s_cbranch_execnz .LBB71_47
.LBB71_36:                              ;   in Loop: Header=BB71_30 Depth=1
	s_or_b64 exec, exec, s[30:31]
	v_cmp_lt_i64_e32 vcc, v[18:19], v[30:31]
	s_and_saveexec_b64 s[30:31], vcc
	s_cbranch_execz .LBB71_38
.LBB71_37:                              ;   in Loop: Header=BB71_30 Depth=1
	v_mov_b32_e32 v29, s17
	v_add_u32_e32 v32, 32, v28
	v_mov_b32_e32 v33, s17
	flat_load_dword v27, v[28:29] glc
	s_waitcnt vmcnt(0)
	flat_load_dword v34, v[32:33] glc
	s_waitcnt vmcnt(0) lgkmcnt(0)
	v_max_f32_e32 v27, v27, v27
	v_max_f32_e32 v32, v34, v34
	;; [unrolled: 1-line block ×3, first 2 shown]
	flat_store_dword v[28:29], v27
	s_waitcnt vmcnt(0)
.LBB71_38:                              ;   in Loop: Header=BB71_30 Depth=1
	s_or_b64 exec, exec, s[30:31]
	v_cmp_ge_i64_e32 vcc, v[20:21], v[30:31]
	s_and_saveexec_b64 s[30:31], vcc
	s_xor_b64 s[30:31], exec, s[30:31]
; %bb.39:                               ;   in Loop: Header=BB71_30 Depth=1
                                        ; implicit-def: $vgpr28
; %bb.40:                               ;   in Loop: Header=BB71_30 Depth=1
	s_andn2_saveexec_b64 s[30:31], s[30:31]
	s_cbranch_execz .LBB71_42
; %bb.41:                               ;   in Loop: Header=BB71_30 Depth=1
	v_mov_b32_e32 v29, s17
	v_add_u32_e32 v32, 16, v28
	v_mov_b32_e32 v33, s17
	flat_load_dword v27, v[28:29] glc
	s_waitcnt vmcnt(0)
	flat_load_dword v34, v[32:33] glc
	s_waitcnt vmcnt(0) lgkmcnt(0)
	v_max_f32_e32 v27, v27, v27
	v_max_f32_e32 v32, v34, v34
	;; [unrolled: 1-line block ×3, first 2 shown]
	flat_store_dword v[28:29], v27
	s_waitcnt vmcnt(0)
.LBB71_42:                              ;   in Loop: Header=BB71_30 Depth=1
	s_or_b64 exec, exec, s[30:31]
	v_cmp_lt_i64_e32 vcc, v[22:23], v[30:31]
	v_lshlrev_b32_e32 v26, 2, v26
	s_and_saveexec_b64 s[30:31], vcc
	s_cbranch_execz .LBB71_44
; %bb.43:                               ;   in Loop: Header=BB71_30 Depth=1
	v_mov_b32_e32 v27, s17
	v_add_u32_e32 v28, 8, v26
	v_mov_b32_e32 v29, s17
	flat_load_dword v32, v[26:27] glc
	s_waitcnt vmcnt(0)
	flat_load_dword v33, v[28:29] glc
	s_waitcnt vmcnt(0) lgkmcnt(0)
	v_max_f32_e32 v28, v32, v32
	v_max_f32_e32 v29, v33, v33
	;; [unrolled: 1-line block ×3, first 2 shown]
	flat_store_dword v[26:27], v28
	s_waitcnt vmcnt(0)
.LBB71_44:                              ;   in Loop: Header=BB71_30 Depth=1
	s_or_b64 exec, exec, s[30:31]
	v_cmp_lt_i64_e32 vcc, v[24:25], v[30:31]
	s_and_saveexec_b64 s[30:31], vcc
	s_cbranch_execz .LBB71_28
; %bb.45:                               ;   in Loop: Header=BB71_30 Depth=1
	v_mov_b32_e32 v27, s17
	v_add_u32_e32 v28, 4, v26
	v_mov_b32_e32 v29, s17
	flat_load_dword v30, v[26:27] glc
	s_waitcnt vmcnt(0)
	flat_load_dword v31, v[28:29] glc
	s_waitcnt vmcnt(0) lgkmcnt(0)
	v_max_f32_e32 v28, v30, v30
	v_max_f32_e32 v29, v31, v31
	;; [unrolled: 1-line block ×3, first 2 shown]
	flat_store_dword v[26:27], v28
	s_waitcnt vmcnt(0)
	s_branch .LBB71_28
.LBB71_46:                              ;   in Loop: Header=BB71_30 Depth=1
	v_mov_b32_e32 v29, s17
	v_add_u32_e32 v32, 0x80, v28
	v_mov_b32_e32 v33, s17
	flat_load_dword v27, v[28:29] glc
	s_waitcnt vmcnt(0)
	flat_load_dword v34, v[32:33] glc
	s_waitcnt vmcnt(0) lgkmcnt(0)
	v_max_f32_e32 v27, v27, v27
	v_max_f32_e32 v32, v34, v34
	;; [unrolled: 1-line block ×3, first 2 shown]
	flat_store_dword v[28:29], v27
	s_waitcnt vmcnt(0)
	s_or_b64 exec, exec, s[30:31]
	v_cmp_lt_i64_e32 vcc, v[16:17], v[30:31]
	s_and_saveexec_b64 s[30:31], vcc
	s_cbranch_execz .LBB71_36
.LBB71_47:                              ;   in Loop: Header=BB71_30 Depth=1
	v_mov_b32_e32 v29, s17
	v_add_u32_e32 v32, 64, v28
	v_mov_b32_e32 v33, s17
	flat_load_dword v27, v[28:29] glc
	s_waitcnt vmcnt(0)
	flat_load_dword v34, v[32:33] glc
	s_waitcnt vmcnt(0) lgkmcnt(0)
	v_max_f32_e32 v27, v27, v27
	v_max_f32_e32 v32, v34, v34
	v_max_f32_e32 v27, v27, v32
	flat_store_dword v[28:29], v27
	s_waitcnt vmcnt(0)
	s_or_b64 exec, exec, s[30:31]
	v_cmp_lt_i64_e32 vcc, v[18:19], v[30:31]
	s_and_saveexec_b64 s[30:31], vcc
	s_cbranch_execnz .LBB71_37
	s_branch .LBB71_38
.LBB71_48:
	v_cmp_eq_u32_e32 vcc, 0, v4
	v_cmp_lt_i64_e64 s[2:3], v[6:7], v[8:9]
	s_and_b64 s[16:17], vcc, s[2:3]
	s_mul_i32 s8, s25, s6
	s_mul_hi_u32 s9, s24, s6
	s_mul_i32 s2, s24, s6
	s_waitcnt lgkmcnt(0)
	s_barrier
	s_and_saveexec_b64 s[6:7], s[16:17]
	s_cbranch_execz .LBB71_52
; %bb.49:
	s_load_dwordx2 s[4:5], s[4:5], 0x20
	ds_read_b32 v1, v1
	s_waitcnt lgkmcnt(0)
	s_cmp_eq_u64 s[4:5], 0
	s_cbranch_scc1 .LBB71_51
; %bb.50:
	s_load_dword s3, s[4:5], 0x0
	v_max_f32_e32 v1, v1, v1
	s_waitcnt lgkmcnt(0)
	v_max_f32_e64 v4, s3, s3
	v_min_f32_e32 v1, v1, v4
.LBB71_51:
	s_mov_b32 s3, 0x42fe0000
	v_div_scale_f32 v4, s[4:5], s3, s3, v1
	v_rcp_f32_e32 v5, v4
	v_div_scale_f32 v6, vcc, v1, s3, v1
	v_lshlrev_b64 v[2:3], 2, v[2:3]
	v_fma_f32 v7, -v4, v5, 1.0
	v_fmac_f32_e32 v5, v7, v5
	v_mul_f32_e32 v7, v6, v5
	v_fma_f32 v8, -v4, v7, v6
	v_fmac_f32_e32 v7, v8, v5
	v_fma_f32 v4, -v4, v7, v6
	v_div_fmas_f32 v4, v4, v5, v7
	v_div_fixup_f32 v1, v4, s3, v1
	s_add_i32 s3, s9, s8
	s_lshl_b64 s[4:5], s[2:3], 2
	s_add_u32 s3, s14, s4
	s_addc_u32 s4, s15, s5
	v_mov_b32_e32 v4, s4
	v_add_co_u32_e32 v2, vcc, s3, v2
	v_max_f32_e32 v1, 0x34000000, v1
	v_addc_co_u32_e32 v3, vcc, v4, v3, vcc
	global_store_dword v[2:3], v1, off
.LBB71_52:
	s_or_b64 exec, exec, s[6:7]
	s_barrier
	s_and_saveexec_b64 s[4:5], s[0:1]
	s_cbranch_execz .LBB71_61
; %bb.53:
	s_add_u32 s11, s12, s20
	s_addc_u32 s16, s13, s21
	s_add_i32 s3, s9, s8
	s_lshl_b64 s[0:1], s[2:3], 2
	s_add_u32 s2, s14, s0
	s_addc_u32 s3, s15, s1
	s_mul_i32 s17, s44, 3
	s_lshl_b32 s20, s44, 1
	s_mov_b64 s[4:5], 0
	v_mov_b32_e32 v8, s46
	v_mov_b32_e32 v9, s19
	;; [unrolled: 1-line block ×3, first 2 shown]
	s_movk_i32 s21, 0x7fff
	v_mov_b32_e32 v11, 0x7fc00000
	v_mov_b32_e32 v12, 0x7fc0
	s_mov_b32 s22, 0x42fe0000
	v_mov_b32_e32 v13, 0x42fe0000
	s_mov_b32 s23, 0xc3000000
	v_mov_b32_e32 v14, 0xc3000000
	v_mov_b32_e32 v15, s16
	;; [unrolled: 1-line block ×4, first 2 shown]
                                        ; implicit-def: $sgpr6_sgpr7
	s_branch .LBB71_57
.LBB71_54:                              ;   in Loop: Header=BB71_57 Depth=1
	s_or_b64 exec, exec, s[14:15]
	s_orn2_b64 s[0:1], s[0:1], exec
.LBB71_55:                              ;   in Loop: Header=BB71_57 Depth=1
	s_or_b64 exec, exec, s[12:13]
	s_andn2_b64 s[6:7], s[6:7], exec
	s_and_b64 s[0:1], s[0:1], exec
	s_or_b64 s[6:7], s[6:7], s[0:1]
.LBB71_56:                              ;   in Loop: Header=BB71_57 Depth=1
	s_or_b64 exec, exec, s[8:9]
	s_and_b64 s[0:1], exec, s[6:7]
	s_or_b64 s[4:5], s[0:1], s[4:5]
	s_andn2_b64 exec, exec, s[4:5]
	s_cbranch_execz .LBB71_61
.LBB71_57:                              ; =>This Inner Loop Header: Depth=1
	v_lshlrev_b64 v[2:3], 3, v[0:1]
	v_add_co_u32_e32 v4, vcc, s33, v2
	v_addc_co_u32_e32 v5, vcc, v8, v3, vcc
	global_load_dwordx2 v[6:7], v[4:5], off
	v_add_co_u32_e32 v4, vcc, s47, v2
	v_addc_co_u32_e32 v5, vcc, v10, v3, vcc
	global_load_dwordx2 v[18:19], v[4:5], off
	v_lshrrev_b32_e32 v17, 3, v0
	v_and_b32_e32 v17, 0x7fffffc, v17
	global_load_dword v17, v17, s[2:3]
	v_add_co_u32_e32 v2, vcc, s18, v2
	v_addc_co_u32_e32 v3, vcc, v9, v3, vcc
	global_load_dwordx2 v[2:3], v[2:3], off
	s_or_b64 s[6:7], s[6:7], exec
	s_waitcnt vmcnt(3)
	v_and_b32_e32 v20, 0xffff0000, v6
	v_lshlrev_b32_e32 v21, 16, v6
	v_alignbit_b32 v6, v7, v6, 16
	v_and_b32_e32 v7, 0xffff0000, v7
	v_and_b32_e32 v6, 0xffff0000, v6
	s_waitcnt vmcnt(2)
	v_and_b32_e32 v22, 0xffff0000, v18
	v_lshlrev_b32_e32 v23, 16, v18
	v_alignbit_b32 v18, v19, v18, 16
	v_and_b32_e32 v19, 0xffff0000, v19
	v_add_f32_e32 v19, v7, v19
	s_waitcnt vmcnt(1)
	v_div_scale_f32 v24, s[0:1], v17, v17, 1.0
	v_add_f32_e32 v21, v21, v23
	v_add_f32_e32 v20, v20, v22
	v_and_b32_e32 v18, 0xffff0000, v18
	v_bfe_u32 v23, v19, 16, 1
	v_rcp_f32_e32 v22, v24
	v_add_f32_e32 v6, v6, v18
	v_bfe_u32 v18, v20, 16, 1
	v_add3_u32 v23, v19, v23, s21
	v_bfe_u32 v7, v21, 16, 1
	v_add3_u32 v18, v20, v18, s21
	v_and_b32_e32 v23, 0xffff0000, v23
	v_cmp_o_f32_e64 s[0:1], v19, v19
	v_mul_f32_e32 v27, v37, v21
	v_add3_u32 v7, v21, v7, s21
	v_bfe_u32 v29, v6, 16, 1
	v_and_b32_e32 v18, 0xffff0000, v18
	v_cndmask_b32_e64 v23, v11, v23, s[0:1]
	v_cmp_o_f32_e64 s[0:1], v20, v20
	v_bfe_u32 v30, v27, 16, 1
	v_lshrrev_b32_e32 v7, 16, v7
	v_add3_u32 v29, v6, v29, s21
	v_cndmask_b32_e64 v18, v11, v18, s[0:1]
	v_cmp_o_f32_e64 s[0:1], v21, v21
	v_mul_f32_e32 v28, v37, v20
	v_add3_u32 v30, v27, v30, s21
	v_lshrrev_b32_e32 v29, 16, v29
	v_cndmask_b32_e64 v7, v12, v7, s[0:1]
	v_fma_f32 v20, -v24, v22, 1.0
	v_cmp_o_f32_e64 s[0:1], v6, v6
	v_div_scale_f32 v25, vcc, 1.0, v17, 1.0
	v_mul_f32_e32 v32, v37, v6
	v_and_b32_e32 v21, 0xffff0000, v30
	v_cndmask_b32_e64 v6, v12, v29, s[0:1]
	v_or_b32_e32 v18, v7, v18
	v_fmac_f32_e32 v22, v20, v22
	v_cmp_o_f32_e64 s[0:1], v27, v27
	s_waitcnt vmcnt(0)
	v_lshlrev_b32_e32 v26, 16, v2
	v_cndmask_b32_e64 v20, v11, v21, s[0:1]
	v_or3_b32 v7, 0, v6, v23
	v_or3_b32 v6, v18, 0, 0
	v_mul_f32_e32 v18, v25, v22
	v_mul_f32_e32 v20, v20, v26
	global_store_dwordx2 v[4:5], v[6:7], off
	v_fma_f32 v4, -v24, v18, v25
	v_bfe_u32 v5, v20, 16, 1
	v_fmac_f32_e32 v18, v4, v22
	v_add3_u32 v4, v20, v5, s21
	v_fma_f32 v5, -v24, v18, v25
	v_and_b32_e32 v4, 0xffff0000, v4
	v_div_fmas_f32 v5, v5, v22, v18
	v_cmp_o_f32_e32 vcc, v20, v20
	v_cndmask_b32_e32 v6, v11, v4, vcc
	v_div_fixup_f32 v4, v5, v17, 1.0
	v_mul_f32_e32 v5, v4, v6
	v_bfe_u32 v31, v28, 16, 1
	v_rndne_f32_e32 v5, v5
	v_add3_u32 v31, v28, v31, s21
	v_bfe_u32 v33, v32, 16, 1
	v_cmp_nlt_f32_e32 vcc, s22, v5
	v_and_b32_e32 v30, 0xffff0000, v31
	v_add3_u32 v31, v32, v33, s21
	v_cndmask_b32_e32 v6, v13, v5, vcc
	v_cmp_ngt_f32_e32 vcc, s23, v5
	v_and_b32_e32 v21, 0xffff0000, v31
	v_cndmask_b32_e32 v5, v14, v6, vcc
	v_cmp_o_f32_e32 vcc, v32, v32
	v_alignbit_b32 v7, v3, v2, 16
	v_cndmask_b32_e32 v6, v11, v21, vcc
	v_and_b32_e32 v7, 0xffff0000, v7
	v_mul_f32_e32 v6, v6, v7
	v_bfe_u32 v7, v6, 16, 1
	v_add3_u32 v7, v6, v7, s21
	v_and_b32_e32 v7, 0xffff0000, v7
	v_cmp_o_f32_e32 vcc, v6, v6
	v_cndmask_b32_e32 v6, v11, v7, vcc
	v_mul_f32_e32 v6, v4, v6
	v_rndne_f32_e32 v6, v6
	v_cmp_nlt_f32_e32 vcc, s22, v6
	v_cndmask_b32_e32 v7, v13, v6, vcc
	v_cmp_ngt_f32_e32 vcc, s23, v6
	v_cndmask_b32_e32 v6, v14, v7, vcc
	v_mul_f32_e32 v18, v37, v19
	v_cvt_i32_f32_e32 v17, v6
	v_bfe_u32 v6, v18, 16, 1
	v_add3_u32 v6, v18, v6, s21
	v_and_b32_e32 v20, 0xffff0000, v6
	v_lshlrev_b64 v[6:7], 2, v[0:1]
	v_add_co_u32_e32 v6, vcc, s11, v6
	v_addc_co_u32_e32 v7, vcc, v15, v7, vcc
	v_cmp_o_f32_e32 vcc, v28, v28
	v_cndmask_b32_e32 v19, v11, v30, vcc
	v_cmp_o_f32_e32 vcc, v18, v18
	v_cndmask_b32_e32 v18, v11, v20, vcc
	v_and_b32_e32 v21, 0xffff0000, v2
	v_and_b32_e32 v20, 0xffff0000, v3
	v_pk_mul_f32 v[2:3], v[18:19], v[20:21]
	v_bfe_u32 v19, v3, 16, 1
	v_cvt_i32_f32_e32 v5, v5
	v_bfe_u32 v18, v2, 16, 1
	v_add3_u32 v19, v3, v19, s21
	v_add3_u32 v18, v2, v18, s21
	v_and_b32_e32 v19, 0xffff0000, v19
	v_cmp_o_f32_e32 vcc, v3, v3
	v_and_b32_e32 v18, 0xffff0000, v18
	v_cndmask_b32_e32 v3, v11, v19, vcc
	v_cmp_o_f32_e32 vcc, v2, v2
	v_cndmask_b32_e32 v2, v11, v18, vcc
	v_pk_mul_f32 v[2:3], v[4:5], v[2:3] op_sel_hi:[0,1]
	v_rndne_f32_e32 v2, v2
	v_rndne_f32_e32 v3, v3
	v_cmp_nlt_f32_e32 vcc, s22, v2
	v_cndmask_b32_e32 v4, v13, v2, vcc
	v_cmp_nlt_f32_e32 vcc, s22, v3
	v_cndmask_b32_e32 v18, v13, v3, vcc
	v_cmp_ngt_f32_e32 vcc, s23, v3
	v_cndmask_b32_e32 v3, v14, v18, vcc
	v_cmp_ngt_f32_e32 vcc, s23, v2
	v_cndmask_b32_e32 v2, v14, v4, vcc
	v_cvt_i32_f32_e32 v3, v3
	v_cvt_i32_f32_e32 v2, v2
	v_and_b32_e32 v4, 0xff, v17
	v_lshlrev_b32_e32 v4, 16, v4
	v_lshlrev_b32_sdwa v3, v16, v3 dst_sel:DWORD dst_unused:UNUSED_PAD src0_sel:DWORD src1_sel:BYTE_0
	v_lshl_or_b32 v2, v2, 24, v4
	v_and_b32_e32 v4, 0xff, v5
	v_or3_b32 v2, v2, v3, v4
	global_store_dword v[6:7], v2, off
	v_add_u32_e32 v2, s44, v0
	v_cmp_gt_u32_e32 vcc, s10, v2
	s_and_saveexec_b64 s[8:9], vcc
	s_cbranch_execz .LBB71_56
; %bb.58:                               ;   in Loop: Header=BB71_57 Depth=1
	v_mov_b32_e32 v3, v1
	v_lshrrev_b32_e32 v6, 3, v2
	v_lshlrev_b64 v[4:5], 3, v[2:3]
	v_and_b32_e32 v6, 0x7fffffc, v6
	global_load_dword v17, v6, s[2:3]
	v_add_co_u32_e32 v6, vcc, s33, v4
	v_addc_co_u32_e32 v7, vcc, v8, v5, vcc
	v_add_co_u32_e32 v18, vcc, s47, v4
	v_addc_co_u32_e32 v19, vcc, v10, v5, vcc
	global_load_dwordx2 v[6:7], v[6:7], off
	v_add_co_u32_e32 v4, vcc, s18, v4
	global_load_dwordx2 v[20:21], v[18:19], off
	v_addc_co_u32_e32 v5, vcc, v9, v5, vcc
	global_load_dwordx2 v[4:5], v[4:5], off
	s_waitcnt vmcnt(3)
	v_div_scale_f32 v22, s[0:1], v17, v17, 1.0
	v_rcp_f32_e32 v28, v22
	v_div_scale_f32 v23, vcc, 1.0, v17, 1.0
	v_fma_f32 v35, -v22, v28, 1.0
	v_fmac_f32_e32 v28, v35, v28
	s_waitcnt vmcnt(2)
	v_and_b32_e32 v24, 0xffff0000, v6
	v_lshlrev_b32_e32 v25, 16, v6
	v_alignbit_b32 v6, v7, v6, 16
	v_and_b32_e32 v7, 0xffff0000, v7
	s_waitcnt vmcnt(1)
	v_and_b32_e32 v26, 0xffff0000, v20
	v_lshlrev_b32_e32 v27, 16, v20
	v_alignbit_b32 v20, v21, v20, 16
	v_and_b32_e32 v21, 0xffff0000, v21
	v_add_f32_e32 v21, v7, v21
	v_and_b32_e32 v6, 0xffff0000, v6
	v_add_f32_e32 v24, v24, v26
	v_and_b32_e32 v20, 0xffff0000, v20
	v_bfe_u32 v26, v21, 16, 1
	v_add_f32_e32 v25, v25, v27
	v_add_f32_e32 v6, v6, v20
	v_bfe_u32 v20, v24, 16, 1
	v_add3_u32 v26, v21, v26, s21
	v_bfe_u32 v7, v25, 16, 1
	v_add3_u32 v20, v24, v20, s21
	v_and_b32_e32 v26, 0xffff0000, v26
	v_cmp_o_f32_e64 s[0:1], v21, v21
	v_mul_f32_e32 v27, v37, v25
	v_add3_u32 v7, v25, v7, s21
	v_bfe_u32 v31, v6, 16, 1
	v_and_b32_e32 v20, 0xffff0000, v20
	v_cndmask_b32_e64 v26, v11, v26, s[0:1]
	v_cmp_o_f32_e64 s[0:1], v24, v24
	v_bfe_u32 v32, v27, 16, 1
	v_lshrrev_b32_e32 v7, 16, v7
	v_add3_u32 v31, v6, v31, s21
	v_cndmask_b32_e64 v20, v11, v20, s[0:1]
	v_cmp_o_f32_e64 s[0:1], v25, v25
	v_add3_u32 v32, v27, v32, s21
	v_lshrrev_b32_e32 v31, 16, v31
	v_cndmask_b32_e64 v7, v12, v7, s[0:1]
	v_cmp_o_f32_e64 s[0:1], v6, v6
	v_mul_f32_e32 v30, v37, v24
	v_mul_f32_e32 v34, v37, v6
	v_and_b32_e32 v24, 0xffff0000, v32
	v_cndmask_b32_e64 v6, v12, v31, s[0:1]
	v_cmp_o_f32_e64 s[0:1], v27, v27
	s_waitcnt vmcnt(0)
	v_lshlrev_b32_e32 v29, 16, v4
	v_or_b32_e32 v20, v7, v20
	v_mul_f32_e32 v31, v23, v28
	v_cndmask_b32_e64 v24, v11, v24, s[0:1]
	v_or3_b32 v7, 0, v6, v26
	v_or3_b32 v6, v20, 0, 0
	v_fma_f32 v20, -v22, v31, v23
	v_mul_f32_e32 v24, v24, v29
	global_store_dwordx2 v[18:19], v[6:7], off
	v_fmac_f32_e32 v31, v20, v28
	v_bfe_u32 v6, v24, 16, 1
	v_fma_f32 v7, -v22, v31, v23
	v_add3_u32 v6, v24, v6, s21
	v_div_fmas_f32 v7, v7, v28, v31
	v_and_b32_e32 v18, 0xffff0000, v6
	v_cmp_o_f32_e32 vcc, v24, v24
	v_div_fixup_f32 v6, v7, v17, 1.0
	v_cndmask_b32_e32 v7, v11, v18, vcc
	v_mul_f32_e32 v7, v6, v7
	v_rndne_f32_e32 v7, v7
	v_bfe_u32 v36, v34, 16, 1
	v_cmp_nlt_f32_e32 vcc, s22, v7
	v_add3_u32 v32, v34, v36, s21
	v_cndmask_b32_e32 v17, v13, v7, vcc
	v_cmp_ngt_f32_e32 vcc, s23, v7
	v_and_b32_e32 v27, 0xffff0000, v32
	v_cndmask_b32_e32 v7, v14, v17, vcc
	v_cmp_o_f32_e32 vcc, v34, v34
	v_alignbit_b32 v18, v5, v4, 16
	v_cndmask_b32_e32 v17, v11, v27, vcc
	v_and_b32_e32 v18, 0xffff0000, v18
	v_mul_f32_e32 v17, v17, v18
	v_bfe_u32 v18, v17, 16, 1
	v_add3_u32 v18, v17, v18, s21
	v_and_b32_e32 v18, 0xffff0000, v18
	v_cmp_o_f32_e32 vcc, v17, v17
	v_cndmask_b32_e32 v17, v11, v18, vcc
	v_mul_f32_e32 v17, v6, v17
	v_rndne_f32_e32 v17, v17
	v_cmp_nlt_f32_e32 vcc, s22, v17
	v_cndmask_b32_e32 v18, v13, v17, vcc
	v_cmp_ngt_f32_e32 vcc, s23, v17
	v_mul_f32_e32 v20, v37, v21
	v_cndmask_b32_e32 v17, v14, v18, vcc
	v_bfe_u32 v18, v20, 16, 1
	v_add3_u32 v18, v20, v18, s21
	v_and_b32_e32 v22, 0xffff0000, v18
	v_lshlrev_b64 v[18:19], 2, v[2:3]
	v_bfe_u32 v33, v30, 16, 1
	v_add_co_u32_e32 v18, vcc, s11, v18
	v_add3_u32 v33, v30, v33, s21
	v_addc_co_u32_e32 v19, vcc, v15, v19, vcc
	v_and_b32_e32 v25, 0xffff0000, v33
	v_cmp_o_f32_e32 vcc, v30, v30
	v_cndmask_b32_e32 v21, v11, v25, vcc
	v_cmp_o_f32_e32 vcc, v20, v20
	v_cndmask_b32_e32 v20, v11, v22, vcc
	v_and_b32_e32 v23, 0xffff0000, v4
	v_and_b32_e32 v22, 0xffff0000, v5
	v_pk_mul_f32 v[4:5], v[20:21], v[22:23]
	v_bfe_u32 v20, v5, 16, 1
	v_cvt_i32_f32_e32 v7, v7
	v_bfe_u32 v3, v4, 16, 1
	v_add3_u32 v20, v5, v20, s21
	v_add3_u32 v3, v4, v3, s21
	v_and_b32_e32 v20, 0xffff0000, v20
	v_cmp_o_f32_e32 vcc, v5, v5
	v_and_b32_e32 v3, 0xffff0000, v3
	v_cndmask_b32_e32 v5, v11, v20, vcc
	v_cmp_o_f32_e32 vcc, v4, v4
	v_cndmask_b32_e32 v4, v11, v3, vcc
	v_pk_mul_f32 v[4:5], v[6:7], v[4:5] op_sel_hi:[0,1]
	v_rndne_f32_e32 v4, v4
	v_rndne_f32_e32 v3, v5
	v_cmp_nlt_f32_e32 vcc, s22, v4
	v_cndmask_b32_e32 v5, v13, v4, vcc
	v_cmp_nlt_f32_e32 vcc, s22, v3
	v_cndmask_b32_e32 v6, v13, v3, vcc
	v_cmp_ngt_f32_e32 vcc, s23, v3
	v_cvt_i32_f32_e32 v17, v17
	v_cndmask_b32_e32 v3, v14, v6, vcc
	v_cmp_ngt_f32_e32 vcc, s23, v4
	v_cndmask_b32_e32 v4, v14, v5, vcc
	v_cvt_i32_f32_e32 v3, v3
	v_cvt_i32_f32_e32 v4, v4
	v_and_b32_e32 v5, 0xff, v17
	v_lshlrev_b32_e32 v5, 16, v5
	v_lshlrev_b32_sdwa v3, v16, v3 dst_sel:DWORD dst_unused:UNUSED_PAD src0_sel:DWORD src1_sel:BYTE_0
	v_lshl_or_b32 v4, v4, 24, v5
	v_and_b32_e32 v5, 0xff, v7
	v_or3_b32 v3, v4, v3, v5
	v_add_u32_e32 v4, s20, v0
	v_cmp_gt_u32_e32 vcc, s10, v4
	s_mov_b64 s[0:1], -1
	global_store_dword v[18:19], v3, off
	s_and_saveexec_b64 s[12:13], vcc
	s_cbranch_execz .LBB71_55
; %bb.59:                               ;   in Loop: Header=BB71_57 Depth=1
	v_mov_b32_e32 v5, v1
	v_lshlrev_b64 v[6:7], 3, v[4:5]
	v_mov_b32_e32 v3, s46
	v_add_co_u32_e32 v18, vcc, s33, v6
	v_addc_co_u32_e32 v19, vcc, v3, v7, vcc
	v_mov_b32_e32 v21, s48
	v_add_co_u32_e32 v20, vcc, s47, v6
	v_addc_co_u32_e32 v21, vcc, v21, v7, vcc
	global_load_dwordx2 v[18:19], v[18:19], off
	v_lshrrev_b32_e32 v3, 3, v4
	global_load_dwordx2 v[22:23], v[20:21], off
	v_and_b32_e32 v3, 0x7fffffc, v3
	global_load_dword v3, v3, s[2:3]
	v_mov_b32_e32 v17, s19
	v_add_co_u32_e32 v6, vcc, s18, v6
	v_addc_co_u32_e32 v7, vcc, v17, v7, vcc
	global_load_dwordx2 v[6:7], v[6:7], off
	v_lshlrev_b64 v[4:5], 2, v[4:5]
	v_add_u32_e32 v0, s17, v0
	s_waitcnt vmcnt(3)
	v_and_b32_e32 v25, 0xffff0000, v18
	v_lshlrev_b32_e32 v26, 16, v18
	v_alignbit_b32 v18, v19, v18, 16
	v_and_b32_e32 v19, 0xffff0000, v19
	s_waitcnt vmcnt(2)
	v_and_b32_e32 v27, 0xffff0000, v22
	v_lshlrev_b32_e32 v28, 16, v22
	v_alignbit_b32 v22, v23, v22, 16
	v_and_b32_e32 v23, 0xffff0000, v23
	v_add_f32_e32 v23, v19, v23
	s_waitcnt vmcnt(1)
	v_div_scale_f32 v17, s[0:1], v3, v3, 1.0
	v_and_b32_e32 v18, 0xffff0000, v18
	v_add_f32_e32 v25, v25, v27
	v_and_b32_e32 v22, 0xffff0000, v22
	v_bfe_u32 v27, v23, 16, 1
	v_rcp_f32_e32 v29, v17
	v_add_f32_e32 v26, v26, v28
	v_add_f32_e32 v18, v18, v22
	v_bfe_u32 v22, v25, 16, 1
	v_add3_u32 v27, v23, v27, s21
	v_bfe_u32 v19, v26, 16, 1
	v_add3_u32 v22, v25, v22, s21
	v_and_b32_e32 v27, 0xffff0000, v27
	v_cmp_o_f32_e64 s[0:1], v23, v23
	v_mul_f32_e32 v28, v37, v26
	v_add3_u32 v19, v26, v19, s21
	v_bfe_u32 v32, v18, 16, 1
	v_and_b32_e32 v22, 0xffff0000, v22
	v_cndmask_b32_e64 v27, v11, v27, s[0:1]
	v_cmp_o_f32_e64 s[0:1], v25, v25
	v_bfe_u32 v33, v28, 16, 1
	v_lshrrev_b32_e32 v19, 16, v19
	v_add3_u32 v32, v18, v32, s21
	v_cndmask_b32_e64 v22, v11, v22, s[0:1]
	v_cmp_o_f32_e64 s[0:1], v26, v26
	v_fma_f32 v36, -v17, v29, 1.0
	v_add3_u32 v33, v28, v33, s21
	v_lshrrev_b32_e32 v32, 16, v32
	v_cndmask_b32_e64 v19, v12, v19, s[0:1]
	v_cmp_o_f32_e64 s[0:1], v18, v18
	v_div_scale_f32 v24, vcc, 1.0, v3, 1.0
	v_mul_f32_e32 v31, v37, v25
	v_mul_f32_e32 v35, v37, v18
	v_fmac_f32_e32 v29, v36, v29
	v_and_b32_e32 v25, 0xffff0000, v33
	v_cndmask_b32_e64 v18, v12, v32, s[0:1]
	v_cmp_o_f32_e64 s[0:1], v28, v28
	s_waitcnt vmcnt(0)
	v_lshlrev_b32_e32 v30, 16, v6
	v_or_b32_e32 v22, v19, v22
	v_mul_f32_e32 v32, v24, v29
	v_cndmask_b32_e64 v25, v11, v25, s[0:1]
	v_or3_b32 v19, 0, v18, v27
	v_or3_b32 v18, v22, 0, 0
	v_fma_f32 v22, -v17, v32, v24
	v_mul_f32_e32 v25, v25, v30
	global_store_dwordx2 v[20:21], v[18:19], off
	v_fmac_f32_e32 v32, v22, v29
	v_bfe_u32 v18, v25, 16, 1
	v_fma_f32 v17, -v17, v32, v24
	v_add3_u32 v18, v25, v18, s21
	v_div_fmas_f32 v17, v17, v29, v32
	v_and_b32_e32 v19, 0xffff0000, v18
	v_cmp_o_f32_e32 vcc, v25, v25
	v_div_fixup_f32 v18, v17, v3, 1.0
	v_cndmask_b32_e32 v3, v11, v19, vcc
	v_mul_f32_e32 v3, v18, v3
	v_rndne_f32_e32 v3, v3
	v_cmp_nlt_f32_e32 vcc, s22, v3
	v_cndmask_b32_e32 v17, v13, v3, vcc
	v_cmp_ngt_f32_e32 vcc, s23, v3
	v_cndmask_b32_e32 v3, v14, v17, vcc
	v_bfe_u32 v17, v35, 16, 1
	v_add3_u32 v17, v35, v17, s21
	v_and_b32_e32 v17, 0xffff0000, v17
	v_cmp_o_f32_e32 vcc, v35, v35
	v_alignbit_b32 v19, v7, v6, 16
	v_cndmask_b32_e32 v17, v11, v17, vcc
	v_and_b32_e32 v19, 0xffff0000, v19
	v_mul_f32_e32 v17, v17, v19
	v_bfe_u32 v19, v17, 16, 1
	v_add3_u32 v19, v17, v19, s21
	v_and_b32_e32 v19, 0xffff0000, v19
	v_cmp_o_f32_e32 vcc, v17, v17
	v_cndmask_b32_e32 v17, v11, v19, vcc
	v_mul_f32_e32 v17, v18, v17
	v_rndne_f32_e32 v17, v17
	v_cmp_nlt_f32_e32 vcc, s22, v17
	v_cndmask_b32_e32 v19, v13, v17, vcc
	v_cmp_ngt_f32_e32 vcc, s23, v17
	v_bfe_u32 v34, v31, 16, 1
	v_cndmask_b32_e32 v17, v14, v19, vcc
	v_mul_f32_e32 v19, v37, v23
	v_mov_b32_e32 v21, s16
	v_add_co_u32_e32 v4, vcc, s11, v4
	v_add3_u32 v34, v31, v34, s21
	v_bfe_u32 v20, v19, 16, 1
	v_addc_co_u32_e32 v5, vcc, v21, v5, vcc
	v_and_b32_e32 v26, 0xffff0000, v34
	v_add3_u32 v20, v19, v20, s21
	v_cmp_o_f32_e32 vcc, v31, v31
	v_and_b32_e32 v20, 0xffff0000, v20
	v_cndmask_b32_e32 v21, v11, v26, vcc
	v_cmp_o_f32_e32 vcc, v19, v19
	v_cndmask_b32_e32 v20, v11, v20, vcc
	v_and_b32_e32 v23, 0xffff0000, v6
	v_and_b32_e32 v22, 0xffff0000, v7
	v_pk_mul_f32 v[6:7], v[20:21], v[22:23]
	v_bfe_u32 v20, v7, 16, 1
	v_bfe_u32 v19, v6, 16, 1
	v_add3_u32 v20, v7, v20, s21
	v_add3_u32 v19, v6, v19, s21
	v_and_b32_e32 v20, 0xffff0000, v20
	v_cmp_o_f32_e32 vcc, v7, v7
	v_and_b32_e32 v19, 0xffff0000, v19
	v_cndmask_b32_e32 v7, v11, v20, vcc
	v_cmp_o_f32_e32 vcc, v6, v6
	v_cndmask_b32_e32 v6, v11, v19, vcc
	v_pk_mul_f32 v[6:7], v[18:19], v[6:7] op_sel_hi:[0,1]
	v_rndne_f32_e32 v6, v6
	v_rndne_f32_e32 v7, v7
	v_cmp_nlt_f32_e32 vcc, s22, v6
	v_cndmask_b32_e32 v18, v13, v6, vcc
	v_cmp_nlt_f32_e32 vcc, s22, v7
	v_cndmask_b32_e32 v19, v13, v7, vcc
	v_cmp_ngt_f32_e32 vcc, s23, v7
	v_cvt_i32_f32_e32 v17, v17
	v_cndmask_b32_e32 v7, v14, v19, vcc
	v_cmp_ngt_f32_e32 vcc, s23, v6
	v_cndmask_b32_e32 v6, v14, v18, vcc
	v_cvt_i32_f32_e32 v3, v3
	v_cvt_i32_f32_e32 v7, v7
	;; [unrolled: 1-line block ×3, first 2 shown]
	v_and_b32_e32 v17, 0xff, v17
	v_lshlrev_b32_e32 v17, 16, v17
	v_lshlrev_b32_sdwa v7, v16, v7 dst_sel:DWORD dst_unused:UNUSED_PAD src0_sel:DWORD src1_sel:BYTE_0
	v_lshl_or_b32 v6, v6, 24, v17
	v_and_b32_e32 v3, 0xff, v3
	v_or3_b32 v3, v6, v7, v3
	v_cmp_gt_u32_e32 vcc, s10, v0
	s_mov_b64 s[0:1], -1
	global_store_dword v[4:5], v3, off
	s_and_saveexec_b64 s[14:15], vcc
	s_cbranch_execz .LBB71_54
; %bb.60:                               ;   in Loop: Header=BB71_57 Depth=1
	v_lshlrev_b64 v[4:5], 3, v[0:1]
	v_mov_b32_e32 v3, s46
	v_add_co_u32_e32 v6, vcc, s33, v4
	v_addc_co_u32_e32 v7, vcc, v3, v5, vcc
	global_load_dwordx2 v[18:19], v[6:7], off
	v_mov_b32_e32 v7, s48
	v_add_co_u32_e32 v6, vcc, s47, v4
	v_addc_co_u32_e32 v7, vcc, v7, v5, vcc
	global_load_dwordx2 v[20:21], v[6:7], off
	v_lshrrev_b32_e32 v17, 3, v0
	v_and_b32_e32 v17, 0x7fffffc, v17
	global_load_dword v17, v17, s[2:3]
	v_mov_b32_e32 v3, s19
	v_add_co_u32_e32 v4, vcc, s18, v4
	v_addc_co_u32_e32 v5, vcc, v3, v5, vcc
	global_load_dwordx2 v[4:5], v[4:5], off
	s_waitcnt vmcnt(3)
	v_and_b32_e32 v3, 0xffff0000, v18
	v_lshlrev_b32_e32 v22, 16, v18
	v_alignbit_b32 v18, v19, v18, 16
	v_and_b32_e32 v19, 0xffff0000, v19
	v_and_b32_e32 v18, 0xffff0000, v18
	s_waitcnt vmcnt(2)
	v_and_b32_e32 v23, 0xffff0000, v20
	v_lshlrev_b32_e32 v24, 16, v20
	v_alignbit_b32 v20, v21, v20, 16
	v_and_b32_e32 v21, 0xffff0000, v21
	v_add_f32_e32 v21, v19, v21
	s_waitcnt vmcnt(1)
	v_div_scale_f32 v25, s[0:1], v17, v17, 1.0
	v_add_f32_e32 v22, v22, v24
	v_add_f32_e32 v3, v3, v23
	v_and_b32_e32 v20, 0xffff0000, v20
	v_bfe_u32 v24, v21, 16, 1
	v_rcp_f32_e32 v23, v25
	v_add_f32_e32 v18, v18, v20
	v_bfe_u32 v20, v3, 16, 1
	v_add3_u32 v24, v21, v24, s21
	v_bfe_u32 v19, v22, 16, 1
	v_add3_u32 v20, v3, v20, s21
	v_and_b32_e32 v24, 0xffff0000, v24
	v_cmp_o_f32_e64 s[0:1], v21, v21
	v_mul_f32_e32 v28, v37, v22
	v_add3_u32 v19, v22, v19, s21
	v_bfe_u32 v30, v18, 16, 1
	v_and_b32_e32 v20, 0xffff0000, v20
	v_cndmask_b32_e64 v24, v11, v24, s[0:1]
	v_cmp_o_f32_e64 s[0:1], v3, v3
	v_mul_f32_e32 v29, v37, v3
	v_bfe_u32 v31, v28, 16, 1
	v_lshrrev_b32_e32 v19, 16, v19
	v_add3_u32 v30, v18, v30, s21
	v_cndmask_b32_e64 v3, v11, v20, s[0:1]
	v_cmp_o_f32_e64 s[0:1], v22, v22
	v_add3_u32 v31, v28, v31, s21
	v_lshrrev_b32_e32 v30, 16, v30
	v_cndmask_b32_e64 v19, v12, v19, s[0:1]
	v_fma_f32 v20, -v25, v23, 1.0
	v_cmp_o_f32_e64 s[0:1], v18, v18
	v_div_scale_f32 v26, vcc, 1.0, v17, 1.0
	v_mul_f32_e32 v33, v37, v18
	v_and_b32_e32 v22, 0xffff0000, v31
	v_cndmask_b32_e64 v18, v12, v30, s[0:1]
	v_or_b32_e32 v3, v19, v3
	v_fmac_f32_e32 v23, v20, v23
	v_cmp_o_f32_e64 s[0:1], v28, v28
	s_waitcnt vmcnt(0)
	v_lshlrev_b32_e32 v27, 16, v4
	v_cndmask_b32_e64 v20, v11, v22, s[0:1]
	v_or3_b32 v19, 0, v18, v24
	v_or3_b32 v18, v3, 0, 0
	v_mul_f32_e32 v3, v26, v23
	v_mul_f32_e32 v20, v20, v27
	global_store_dwordx2 v[6:7], v[18:19], off
	v_fma_f32 v6, -v25, v3, v26
	v_bfe_u32 v7, v20, 16, 1
	v_fmac_f32_e32 v3, v6, v23
	v_add3_u32 v6, v20, v7, s21
	v_fma_f32 v7, -v25, v3, v26
	v_and_b32_e32 v6, 0xffff0000, v6
	v_div_fmas_f32 v3, v7, v23, v3
	v_cmp_o_f32_e32 vcc, v20, v20
	v_cndmask_b32_e32 v7, v11, v6, vcc
	v_div_fixup_f32 v6, v3, v17, 1.0
	v_mul_f32_e32 v3, v6, v7
	v_rndne_f32_e32 v3, v3
	v_cmp_nlt_f32_e32 vcc, s22, v3
	v_bfe_u32 v34, v33, 16, 1
	v_cndmask_b32_e32 v7, v13, v3, vcc
	v_cmp_ngt_f32_e32 vcc, s23, v3
	v_cndmask_b32_e32 v3, v14, v7, vcc
	v_add3_u32 v7, v33, v34, s21
	v_and_b32_e32 v7, 0xffff0000, v7
	v_cmp_o_f32_e32 vcc, v33, v33
	v_alignbit_b32 v17, v5, v4, 16
	v_cndmask_b32_e32 v7, v11, v7, vcc
	v_and_b32_e32 v17, 0xffff0000, v17
	v_mul_f32_e32 v7, v7, v17
	v_bfe_u32 v17, v7, 16, 1
	v_add3_u32 v17, v7, v17, s21
	v_and_b32_e32 v17, 0xffff0000, v17
	v_cmp_o_f32_e32 vcc, v7, v7
	v_cndmask_b32_e32 v7, v11, v17, vcc
	v_mul_f32_e32 v7, v6, v7
	v_rndne_f32_e32 v7, v7
	v_cmp_nlt_f32_e32 vcc, s22, v7
	v_cndmask_b32_e32 v17, v13, v7, vcc
	v_cmp_ngt_f32_e32 vcc, s23, v7
	v_cndmask_b32_e32 v7, v14, v17, vcc
	v_mul_f32_e32 v17, v37, v21
	v_bfe_u32 v18, v17, 16, 1
	v_add3_u32 v18, v17, v18, s21
	v_and_b32_e32 v20, 0xffff0000, v18
	v_lshlrev_b64 v[18:19], 2, v[0:1]
	v_bfe_u32 v32, v29, 16, 1
	v_mov_b32_e32 v0, s16
	v_add_co_u32_e32 v18, vcc, s11, v18
	v_add3_u32 v32, v29, v32, s21
	v_addc_co_u32_e32 v19, vcc, v0, v19, vcc
	v_and_b32_e32 v31, 0xffff0000, v32
	v_cmp_o_f32_e32 vcc, v29, v29
	v_cndmask_b32_e32 v21, v11, v31, vcc
	v_cmp_o_f32_e32 vcc, v17, v17
	v_cndmask_b32_e32 v20, v11, v20, vcc
	v_and_b32_e32 v23, 0xffff0000, v4
	v_and_b32_e32 v22, 0xffff0000, v5
	v_pk_mul_f32 v[4:5], v[20:21], v[22:23]
	v_bfe_u32 v17, v5, 16, 1
	v_cvt_i32_f32_e32 v7, v7
	v_bfe_u32 v0, v4, 16, 1
	v_add3_u32 v17, v5, v17, s21
	v_add3_u32 v0, v4, v0, s21
	v_and_b32_e32 v17, 0xffff0000, v17
	v_cmp_o_f32_e32 vcc, v5, v5
	v_and_b32_e32 v0, 0xffff0000, v0
	v_cndmask_b32_e32 v5, v11, v17, vcc
	v_cmp_o_f32_e32 vcc, v4, v4
	v_cndmask_b32_e32 v4, v11, v0, vcc
	v_pk_mul_f32 v[4:5], v[6:7], v[4:5] op_sel_hi:[0,1]
	v_rndne_f32_e32 v4, v4
	v_rndne_f32_e32 v0, v5
	v_cmp_nlt_f32_e32 vcc, s22, v4
	v_cndmask_b32_e32 v5, v13, v4, vcc
	v_cmp_nlt_f32_e32 vcc, s22, v0
	v_cndmask_b32_e32 v6, v13, v0, vcc
	v_cmp_ngt_f32_e32 vcc, s23, v0
	v_cndmask_b32_e32 v0, v14, v6, vcc
	v_cmp_ngt_f32_e32 vcc, s23, v4
	v_cndmask_b32_e32 v4, v14, v5, vcc
	v_cvt_i32_f32_e32 v3, v3
	v_cvt_i32_f32_e32 v0, v0
	;; [unrolled: 1-line block ×3, first 2 shown]
	v_and_b32_e32 v5, 0xff, v7
	v_lshlrev_b32_e32 v5, 16, v5
	v_lshlrev_b32_sdwa v0, v16, v0 dst_sel:DWORD dst_unused:UNUSED_PAD src0_sel:DWORD src1_sel:BYTE_0
	v_lshl_or_b32 v4, v4, 24, v5
	v_and_b32_e32 v3, 0xff, v3
	s_add_i32 s0, s44, s44
	v_or3_b32 v0, v4, v0, v3
	s_add_i32 s0, s0, s44
	global_store_dword v[18:19], v0, off
	v_add_u32_e32 v0, s0, v2
	v_cmp_le_u32_e32 vcc, s10, v0
	s_orn2_b64 s[0:1], vcc, exec
	s_branch .LBB71_54
.LBB71_61:
	s_endpgm
	.section	.rodata,"a",@progbits
	.p2align	6, 0x0
	.amdhsa_kernel _ZN4vllm31rms_norm_per_block_quant_kernelIN3c108BFloat16EaLb1ELb0ELi128EEEvPT0_PfPKT_S8_PKffiiPS6_l
		.amdhsa_group_segment_fixed_size 4164
		.amdhsa_private_segment_fixed_size 0
		.amdhsa_kernarg_size 328
		.amdhsa_user_sgpr_count 6
		.amdhsa_user_sgpr_private_segment_buffer 1
		.amdhsa_user_sgpr_dispatch_ptr 0
		.amdhsa_user_sgpr_queue_ptr 0
		.amdhsa_user_sgpr_kernarg_segment_ptr 1
		.amdhsa_user_sgpr_dispatch_id 0
		.amdhsa_user_sgpr_flat_scratch_init 0
		.amdhsa_user_sgpr_kernarg_preload_length 0
		.amdhsa_user_sgpr_kernarg_preload_offset 0
		.amdhsa_user_sgpr_private_segment_size 0
		.amdhsa_uses_dynamic_stack 0
		.amdhsa_system_sgpr_private_segment_wavefront_offset 0
		.amdhsa_system_sgpr_workgroup_id_x 1
		.amdhsa_system_sgpr_workgroup_id_y 0
		.amdhsa_system_sgpr_workgroup_id_z 0
		.amdhsa_system_sgpr_workgroup_info 0
		.amdhsa_system_vgpr_workitem_id 0
		.amdhsa_next_free_vgpr 55
		.amdhsa_next_free_sgpr 49
		.amdhsa_accum_offset 56
		.amdhsa_reserve_vcc 1
		.amdhsa_reserve_flat_scratch 0
		.amdhsa_float_round_mode_32 0
		.amdhsa_float_round_mode_16_64 0
		.amdhsa_float_denorm_mode_32 3
		.amdhsa_float_denorm_mode_16_64 3
		.amdhsa_dx10_clamp 1
		.amdhsa_ieee_mode 1
		.amdhsa_fp16_overflow 0
		.amdhsa_tg_split 0
		.amdhsa_exception_fp_ieee_invalid_op 0
		.amdhsa_exception_fp_denorm_src 0
		.amdhsa_exception_fp_ieee_div_zero 0
		.amdhsa_exception_fp_ieee_overflow 0
		.amdhsa_exception_fp_ieee_underflow 0
		.amdhsa_exception_fp_ieee_inexact 0
		.amdhsa_exception_int_div_zero 0
	.end_amdhsa_kernel
	.section	.text._ZN4vllm31rms_norm_per_block_quant_kernelIN3c108BFloat16EaLb1ELb0ELi128EEEvPT0_PfPKT_S8_PKffiiPS6_l,"axG",@progbits,_ZN4vllm31rms_norm_per_block_quant_kernelIN3c108BFloat16EaLb1ELb0ELi128EEEvPT0_PfPKT_S8_PKffiiPS6_l,comdat
.Lfunc_end71:
	.size	_ZN4vllm31rms_norm_per_block_quant_kernelIN3c108BFloat16EaLb1ELb0ELi128EEEvPT0_PfPKT_S8_PKffiiPS6_l, .Lfunc_end71-_ZN4vllm31rms_norm_per_block_quant_kernelIN3c108BFloat16EaLb1ELb0ELi128EEEvPT0_PfPKT_S8_PKffiiPS6_l
                                        ; -- End function
	.section	.AMDGPU.csdata,"",@progbits
; Kernel info:
; codeLenInByte = 10316
; NumSgprs: 53
; NumVgprs: 55
; NumAgprs: 0
; TotalNumVgprs: 55
; ScratchSize: 0
; MemoryBound: 0
; FloatMode: 240
; IeeeMode: 1
; LDSByteSize: 4164 bytes/workgroup (compile time only)
; SGPRBlocks: 6
; VGPRBlocks: 6
; NumSGPRsForWavesPerEU: 53
; NumVGPRsForWavesPerEU: 55
; AccumOffset: 56
; Occupancy: 8
; WaveLimiterHint : 0
; COMPUTE_PGM_RSRC2:SCRATCH_EN: 0
; COMPUTE_PGM_RSRC2:USER_SGPR: 6
; COMPUTE_PGM_RSRC2:TRAP_HANDLER: 0
; COMPUTE_PGM_RSRC2:TGID_X_EN: 1
; COMPUTE_PGM_RSRC2:TGID_Y_EN: 0
; COMPUTE_PGM_RSRC2:TGID_Z_EN: 0
; COMPUTE_PGM_RSRC2:TIDIG_COMP_CNT: 0
; COMPUTE_PGM_RSRC3_GFX90A:ACCUM_OFFSET: 13
; COMPUTE_PGM_RSRC3_GFX90A:TG_SPLIT: 0
	.section	.text._ZN4vllm31rms_norm_per_block_quant_kernelIN3c108BFloat16ENS1_13Float8_e4m3fnELb0ELb1ELi128EEEvPT0_PfPKT_S9_PKffiiPS7_l,"axG",@progbits,_ZN4vllm31rms_norm_per_block_quant_kernelIN3c108BFloat16ENS1_13Float8_e4m3fnELb0ELb1ELi128EEEvPT0_PfPKT_S9_PKffiiPS7_l,comdat
	.protected	_ZN4vllm31rms_norm_per_block_quant_kernelIN3c108BFloat16ENS1_13Float8_e4m3fnELb0ELb1ELi128EEEvPT0_PfPKT_S9_PKffiiPS7_l ; -- Begin function _ZN4vllm31rms_norm_per_block_quant_kernelIN3c108BFloat16ENS1_13Float8_e4m3fnELb0ELb1ELi128EEEvPT0_PfPKT_S9_PKffiiPS7_l
	.globl	_ZN4vllm31rms_norm_per_block_quant_kernelIN3c108BFloat16ENS1_13Float8_e4m3fnELb0ELb1ELi128EEEvPT0_PfPKT_S9_PKffiiPS7_l
	.p2align	8
	.type	_ZN4vllm31rms_norm_per_block_quant_kernelIN3c108BFloat16ENS1_13Float8_e4m3fnELb0ELb1ELi128EEEvPT0_PfPKT_S9_PKffiiPS7_l,@function
_ZN4vllm31rms_norm_per_block_quant_kernelIN3c108BFloat16ENS1_13Float8_e4m3fnELb0ELb1ELi128EEEvPT0_PfPKT_S9_PKffiiPS7_l: ; @_ZN4vllm31rms_norm_per_block_quant_kernelIN3c108BFloat16ENS1_13Float8_e4m3fnELb0ELb1ELi128EEEvPT0_PfPKT_S9_PKffiiPS7_l
; %bb.0:
	s_load_dwordx4 s[16:19], s[4:5], 0x28
	s_load_dwordx8 s[8:15], s[4:5], 0x0
	s_load_dword s43, s[4:5], 0x48
	s_mov_b32 s7, 0
	v_mov_b32_e32 v1, 0
	s_waitcnt lgkmcnt(0)
	s_ashr_i32 s0, s18, 31
	s_mul_hi_u32 s1, s18, s6
	s_mul_i32 s0, s0, s6
	s_add_i32 s1, s1, s0
	s_mul_i32 s0, s18, s6
	s_lshl_b64 s[28:29], s[0:1], 1
	s_add_u32 s33, s12, s28
	s_addc_u32 s42, s13, s29
	s_ashr_i32 s18, s17, 2
	s_add_u32 s24, s4, 0x48
	s_mov_b32 s20, s17
	v_cmp_gt_u32_e64 s[0:1], s18, v0
	s_addc_u32 s25, s5, 0
	s_and_saveexec_b64 s[2:3], s[0:1]
	s_cbranch_execz .LBB72_10
; %bb.1:
	s_cmp_lt_u32 s6, s43
	s_cselect_b32 s19, 12, 18
	s_add_u32 s22, s24, s19
	s_addc_u32 s23, s25, 0
	v_mov_b32_e32 v3, 0
	global_load_ushort v8, v3, s[22:23]
	s_mov_b64 s[22:23], 0
	v_mov_b32_e32 v9, s42
	v_mov_b32_e32 v2, v0
                                        ; implicit-def: $sgpr26_sgpr27
	s_waitcnt vmcnt(0)
	v_add_u32_e32 v1, v8, v8
	v_mul_lo_u32 v10, v8, 3
	v_lshlrev_b32_e32 v11, 1, v8
	v_add_u32_e32 v12, v1, v8
	v_mov_b32_e32 v1, v3
	s_branch .LBB72_5
.LBB72_2:                               ;   in Loop: Header=BB72_5 Depth=1
	s_or_b64 exec, exec, s[36:37]
	s_orn2_b64 s[36:37], s[38:39], exec
.LBB72_3:                               ;   in Loop: Header=BB72_5 Depth=1
	s_or_b64 exec, exec, s[34:35]
	s_andn2_b64 s[26:27], s[26:27], exec
	s_and_b64 s[34:35], s[36:37], exec
	s_or_b64 s[26:27], s[26:27], s[34:35]
.LBB72_4:                               ;   in Loop: Header=BB72_5 Depth=1
	s_or_b64 exec, exec, s[30:31]
	s_and_b64 s[30:31], exec, s[26:27]
	s_or_b64 s[22:23], s[30:31], s[22:23]
	s_andn2_b64 exec, exec, s[22:23]
	s_cbranch_execz .LBB72_9
.LBB72_5:                               ; =>This Inner Loop Header: Depth=1
	v_lshlrev_b64 v[4:5], 3, v[2:3]
	v_add_co_u32_e32 v4, vcc, s33, v4
	v_addc_co_u32_e32 v5, vcc, v9, v5, vcc
	global_load_dwordx2 v[6:7], v[4:5], off
	v_add_u32_e32 v4, v2, v8
	v_cmp_gt_u32_e32 vcc, s18, v4
	s_or_b64 s[26:27], s[26:27], exec
	s_waitcnt vmcnt(0)
	v_lshlrev_b32_e32 v13, 16, v6
	v_and_b32_e32 v5, 0xffff0000, v6
	v_alignbit_b32 v6, v7, v6, 16
	v_fmac_f32_e32 v1, v13, v13
	v_and_b32_e32 v6, 0xffff0000, v6
	v_fmac_f32_e32 v1, v5, v5
	v_and_b32_e32 v7, 0xffff0000, v7
	v_fmac_f32_e32 v1, v6, v6
	v_fmac_f32_e32 v1, v7, v7
	s_and_saveexec_b64 s[30:31], vcc
	s_cbranch_execz .LBB72_4
; %bb.6:                                ;   in Loop: Header=BB72_5 Depth=1
	v_mov_b32_e32 v5, v3
	v_lshlrev_b64 v[6:7], 3, v[4:5]
	v_add_co_u32_e32 v6, vcc, s33, v6
	v_addc_co_u32_e32 v7, vcc, v9, v7, vcc
	global_load_dwordx2 v[14:15], v[6:7], off
	v_add_u32_e32 v6, v11, v2
	v_cmp_gt_u32_e32 vcc, s18, v6
	s_mov_b64 s[36:37], -1
	s_waitcnt vmcnt(0)
	v_lshlrev_b32_e32 v7, 16, v14
	v_and_b32_e32 v5, 0xffff0000, v14
	v_alignbit_b32 v13, v15, v14, 16
	v_fmac_f32_e32 v1, v7, v7
	v_and_b32_e32 v13, 0xffff0000, v13
	v_fmac_f32_e32 v1, v5, v5
	v_and_b32_e32 v14, 0xffff0000, v15
	v_fmac_f32_e32 v1, v13, v13
	v_fmac_f32_e32 v1, v14, v14
	s_and_saveexec_b64 s[34:35], vcc
	s_cbranch_execz .LBB72_3
; %bb.7:                                ;   in Loop: Header=BB72_5 Depth=1
	v_mov_b32_e32 v7, v3
	v_lshlrev_b64 v[6:7], 3, v[6:7]
	v_add_co_u32_e32 v6, vcc, s33, v6
	v_addc_co_u32_e32 v7, vcc, v9, v7, vcc
	global_load_dwordx2 v[6:7], v[6:7], off
	v_add_u32_e32 v2, v10, v2
	v_cmp_gt_u32_e32 vcc, s18, v2
	s_mov_b64 s[38:39], -1
	s_waitcnt vmcnt(0)
	v_lshlrev_b32_e32 v13, 16, v6
	v_and_b32_e32 v5, 0xffff0000, v6
	v_alignbit_b32 v6, v7, v6, 16
	v_fmac_f32_e32 v1, v13, v13
	v_and_b32_e32 v6, 0xffff0000, v6
	v_fmac_f32_e32 v1, v5, v5
	v_and_b32_e32 v7, 0xffff0000, v7
	v_fmac_f32_e32 v1, v6, v6
	v_fmac_f32_e32 v1, v7, v7
	s_and_saveexec_b64 s[36:37], vcc
	s_xor_b64 s[36:37], exec, s[36:37]
	s_cbranch_execz .LBB72_2
; %bb.8:                                ;   in Loop: Header=BB72_5 Depth=1
	v_lshlrev_b64 v[6:7], 3, v[2:3]
	v_add_co_u32_e32 v6, vcc, s33, v6
	v_addc_co_u32_e32 v7, vcc, v9, v7, vcc
	global_load_dwordx2 v[6:7], v[6:7], off
	v_add_u32_e32 v2, v12, v4
	v_cmp_le_u32_e32 vcc, s18, v2
	s_orn2_b64 s[38:39], vcc, exec
	s_waitcnt vmcnt(0)
	v_lshlrev_b32_e32 v5, 16, v6
	v_and_b32_e32 v4, 0xffff0000, v6
	v_alignbit_b32 v6, v7, v6, 16
	v_fmac_f32_e32 v1, v5, v5
	v_and_b32_e32 v6, 0xffff0000, v6
	v_fmac_f32_e32 v1, v4, v4
	v_and_b32_e32 v7, 0xffff0000, v7
	v_fmac_f32_e32 v1, v6, v6
	v_fmac_f32_e32 v1, v7, v7
	s_branch .LBB72_2
.LBB72_9:
	s_or_b64 exec, exec, s[22:23]
.LBB72_10:
	s_or_b64 exec, exec, s[2:3]
	v_mbcnt_lo_u32_b32 v2, -1, 0
	v_mbcnt_hi_u32_b32 v2, -1, v2
	v_and_b32_e32 v3, 63, v2
	v_cmp_ne_u32_e32 vcc, 63, v3
	s_load_dword s2, s[24:25], 0xc
	v_addc_co_u32_e32 v4, vcc, 0, v2, vcc
	v_lshlrev_b32_e32 v4, 2, v4
	ds_bpermute_b32 v4, v4, v1
	s_waitcnt lgkmcnt(0)
	s_and_b32 s19, s2, 0xffff
	v_and_b32_e32 v5, 0x3c0, v0
	v_sub_u32_e64 v5, s19, v5 clamp
	v_add_u32_e32 v6, 1, v2
	v_add_f32_e32 v4, v1, v4
	v_cmp_lt_u32_e32 vcc, v6, v5
	v_cndmask_b32_e32 v1, v1, v4, vcc
	v_cmp_gt_u32_e32 vcc, 62, v3
	v_cndmask_b32_e64 v4, 0, 1, vcc
	v_lshlrev_b32_e32 v4, 1, v4
	v_add_lshl_u32 v4, v4, v2, 2
	ds_bpermute_b32 v4, v4, v1
	v_add_u32_e32 v6, 2, v2
	v_cmp_lt_u32_e32 vcc, v6, v5
	v_add_u32_e32 v6, 4, v2
	s_waitcnt lgkmcnt(0)
	v_add_f32_e32 v4, v1, v4
	v_cndmask_b32_e32 v1, v1, v4, vcc
	v_cmp_gt_u32_e32 vcc, 60, v3
	v_cndmask_b32_e64 v4, 0, 1, vcc
	v_lshlrev_b32_e32 v4, 2, v4
	v_add_lshl_u32 v4, v4, v2, 2
	ds_bpermute_b32 v4, v4, v1
	v_cmp_lt_u32_e32 vcc, v6, v5
	v_add_u32_e32 v6, 8, v2
	s_waitcnt lgkmcnt(0)
	v_add_f32_e32 v4, v1, v4
	v_cndmask_b32_e32 v1, v1, v4, vcc
	v_cmp_gt_u32_e32 vcc, 56, v3
	v_cndmask_b32_e64 v4, 0, 1, vcc
	v_lshlrev_b32_e32 v4, 3, v4
	v_add_lshl_u32 v4, v4, v2, 2
	ds_bpermute_b32 v4, v4, v1
	;; [unrolled: 10-line block ×3, first 2 shown]
	v_cmp_lt_u32_e32 vcc, v6, v5
	s_waitcnt lgkmcnt(0)
	v_add_f32_e32 v4, v1, v4
	v_cndmask_b32_e32 v1, v1, v4, vcc
	v_cmp_gt_u32_e32 vcc, 32, v3
	v_cndmask_b32_e64 v3, 0, 1, vcc
	v_lshlrev_b32_e32 v3, 5, v3
	v_add_lshl_u32 v3, v3, v2, 2
	ds_bpermute_b32 v3, v3, v1
	v_add_u32_e32 v4, 32, v2
	v_cmp_lt_u32_e32 vcc, v4, v5
	s_waitcnt lgkmcnt(0)
	v_add_f32_e32 v3, v1, v3
	v_cndmask_b32_e32 v1, v1, v3, vcc
	v_cmp_eq_u32_e32 vcc, 0, v2
	s_and_saveexec_b64 s[2:3], vcc
	s_cbranch_execz .LBB72_12
; %bb.11:
	v_lshrrev_b32_e32 v3, 4, v0
	v_and_b32_e32 v3, 60, v3
	ds_write_b32 v3, v1 offset:4096
.LBB72_12:
	s_or_b64 exec, exec, s[2:3]
	v_cmp_gt_u32_e32 vcc, 16, v0
	s_waitcnt lgkmcnt(0)
	s_barrier
	s_and_saveexec_b64 s[22:23], vcc
	s_cbranch_execz .LBB72_14
; %bb.13:
	v_lshlrev_b32_e32 v1, 2, v2
	ds_read_b32 v1, v1 offset:4096
	v_and_b32_e32 v3, 15, v2
	v_cmp_ne_u32_e32 vcc, 15, v3
	v_addc_co_u32_e32 v4, vcc, 0, v2, vcc
	v_lshlrev_b32_e32 v4, 2, v4
	s_waitcnt lgkmcnt(0)
	ds_bpermute_b32 v4, v4, v1
	s_add_i32 s19, s19, 63
	s_lshr_b32 s19, s19, 6
	v_add_u32_e32 v5, 1, v3
	v_cmp_gt_u32_e64 s[2:3], 14, v3
	v_cmp_gt_u32_e32 vcc, s19, v5
	v_cndmask_b32_e64 v5, 0, 1, s[2:3]
	s_waitcnt lgkmcnt(0)
	v_add_f32_e32 v4, v1, v4
	v_lshlrev_b32_e32 v5, 1, v5
	v_cndmask_b32_e32 v4, v1, v4, vcc
	v_add_lshl_u32 v5, v5, v2, 2
	ds_bpermute_b32 v5, v5, v4
	v_add_u32_e32 v6, 2, v3
	v_cmp_gt_u32_e64 s[2:3], s19, v6
	v_add_u32_e32 v6, 4, v3
	s_waitcnt lgkmcnt(0)
	v_add_f32_e32 v5, v4, v5
	v_cndmask_b32_e64 v4, v4, v5, s[2:3]
	v_cmp_gt_u32_e64 s[2:3], 12, v3
	v_cndmask_b32_e64 v5, 0, 1, s[2:3]
	v_lshlrev_b32_e32 v5, 2, v5
	v_add_lshl_u32 v5, v5, v2, 2
	ds_bpermute_b32 v5, v5, v4
	v_cmp_gt_u32_e64 s[2:3], s19, v6
	s_waitcnt lgkmcnt(0)
	v_add_f32_e32 v5, v4, v5
	v_cndmask_b32_e64 v4, v4, v5, s[2:3]
	v_cmp_gt_u32_e64 s[2:3], 8, v3
	v_cndmask_b32_e64 v5, 0, 1, s[2:3]
	v_lshlrev_b32_e32 v5, 3, v5
	v_add_lshl_u32 v2, v5, v2, 2
	ds_bpermute_b32 v2, v2, v4
	v_add_u32_e32 v3, 8, v3
	v_cmp_gt_u32_e64 s[2:3], s19, v3
	s_waitcnt lgkmcnt(0)
	v_add_f32_e32 v2, v4, v2
	v_cndmask_b32_e64 v2, v4, v2, s[2:3]
	v_cndmask_b32_e32 v1, v1, v2, vcc
.LBB72_14:
	s_or_b64 exec, exec, s[22:23]
	v_cmp_eq_u32_e32 vcc, 0, v0
	s_and_saveexec_b64 s[2:3], vcc
	s_cbranch_execz .LBB72_16
; %bb.15:
	v_cvt_f32_i32_e32 v2, s17
	s_mov_b32 s19, 0x800000
	v_div_scale_f32 v3, s[22:23], v2, v2, v1
	v_rcp_f32_e32 v4, v3
	v_div_scale_f32 v5, vcc, v1, v2, v1
	v_fma_f32 v6, -v3, v4, 1.0
	v_fmac_f32_e32 v4, v6, v4
	v_mul_f32_e32 v6, v5, v4
	v_fma_f32 v7, -v3, v6, v5
	v_fmac_f32_e32 v6, v7, v4
	v_fma_f32 v3, -v3, v6, v5
	v_div_fmas_f32 v3, v3, v4, v6
	v_div_fixup_f32 v1, v3, v2, v1
	v_add_f32_e32 v1, s16, v1
	v_mul_f32_e32 v2, 0x4b800000, v1
	v_cmp_gt_f32_e32 vcc, s19, v1
	v_cndmask_b32_e32 v1, v1, v2, vcc
	v_rsq_f32_e32 v1, v1
	v_mul_f32_e32 v2, 0x45800000, v1
	v_cndmask_b32_e32 v1, v1, v2, vcc
	v_mov_b32_e32 v2, 0
	ds_write_b32 v2, v1 offset:4160
.LBB72_16:
	s_or_b64 exec, exec, s[2:3]
	s_ashr_i32 s21, s17, 31
	s_lshr_b32 s2, s21, 25
	s_add_i32 s16, s17, s2
	s_ashr_i32 s22, s16, 7
	s_cmp_lt_u32 s6, s43
	s_cselect_b32 s2, 12, 18
	s_add_u32 s2, s24, s2
	v_mov_b32_e32 v5, 0
	s_addc_u32 s3, s25, 0
	s_waitcnt lgkmcnt(0)
	s_barrier
	global_load_ushort v1, v5, s[2:3]
	ds_read_b32 v36, v5 offset:4160
	s_abs_i32 s2, s22
	v_cvt_f32_u32_e32 v2, s2
	s_ashr_i32 s3, s16, 31
	s_sub_i32 s16, 0, s2
	v_mov_b32_e32 v10, s18
	v_rcp_iflag_f32_e32 v2, v2
	v_mul_f32_e32 v2, 0x4f7ffffe, v2
	v_cvt_u32_f32_e32 v2, v2
	v_readfirstlane_b32 s19, v2
	s_mul_i32 s16, s16, s19
	s_mul_hi_u32 s16, s19, s16
	s_add_i32 s19, s19, s16
	s_waitcnt vmcnt(0)
	v_readfirstlane_b32 s16, v1
	s_mul_hi_u32 s19, s16, s19
	s_mul_i32 s23, s19, s2
	s_sub_i32 s23, s16, s23
	s_add_i32 s24, s19, 1
	s_sub_i32 s25, s23, s2
	s_cmp_ge_u32 s23, s2
	s_cselect_b32 s19, s24, s19
	s_cselect_b32 s23, s25, s23
	s_add_i32 s24, s19, 1
	s_cmp_ge_u32 s23, s2
	s_cselect_b32 s2, s24, s19
	s_xor_b32 s2, s2, s3
	s_sub_i32 s24, s2, s3
	s_abs_i32 s2, s24
	v_cvt_f32_u32_e32 v1, s2
	s_sub_i32 s3, 0, s2
	s_ashr_i32 s25, s24, 31
	s_ashr_i32 s19, s18, 31
	v_rcp_iflag_f32_e32 v1, v1
	v_mov_b32_e32 v11, s19
	v_mul_f32_e32 v1, 0x4f7ffffe, v1
	v_cvt_u32_f32_e32 v1, v1
	v_mul_lo_u32 v2, s3, v1
	v_mul_hi_u32 v2, v1, v2
	v_add_u32_e32 v1, v1, v2
	v_mul_hi_u32 v1, v0, v1
	v_mul_lo_u32 v2, v1, s2
	v_sub_u32_e32 v2, v0, v2
	v_add_u32_e32 v3, 1, v1
	v_cmp_le_u32_e32 vcc, s2, v2
	v_cndmask_b32_e32 v1, v1, v3, vcc
	v_subrev_u32_e32 v3, s2, v2
	v_cndmask_b32_e32 v2, v2, v3, vcc
	v_add_u32_e32 v3, 1, v1
	v_cmp_le_u32_e32 vcc, s2, v2
	v_cndmask_b32_e32 v1, v1, v3, vcc
	v_xor_b32_e32 v1, s25, v1
	v_subrev_u32_e32 v2, s25, v1
	v_mul_lo_u32 v1, v2, s24
	v_ashrrev_i32_e32 v3, 31, v2
	v_sub_u32_e32 v4, v0, v1
	v_lshlrev_b64 v[8:9], 5, v[2:3]
	v_add_co_u32_e32 v6, vcc, v8, v4
	v_addc_co_u32_e32 v7, vcc, 0, v9, vcc
	v_add_co_u32_e32 v8, vcc, 32, v8
	v_addc_co_u32_e32 v9, vcc, 0, v9, vcc
	v_cmp_gt_i64_e32 vcc, s[18:19], v[8:9]
	v_cndmask_b32_e32 v8, v10, v8, vcc
	v_cndmask_b32_e32 v9, v11, v9, vcc
	v_ashrrev_i32_e32 v11, 31, v8
	v_mov_b32_e32 v10, v8
	v_cmp_lt_i64_e32 vcc, v[6:7], v[10:11]
	s_and_saveexec_b64 s[26:27], vcc
	s_cbranch_execz .LBB72_26
; %bb.17:
	v_lshlrev_b64 v[28:29], 8, v[2:3]
	s_mul_i32 s23, s24, 24
	v_lshlrev_b64 v[12:13], 3, v[4:5]
	v_mov_b32_e32 v1, s29
	v_add_co_u32_e32 v5, vcc, s28, v28
	s_mul_hi_i32 s19, s24, 24
	s_add_u32 s2, s12, s23
	v_addc_co_u32_e32 v19, vcc, v1, v29, vcc
	s_addc_u32 s3, s13, s19
	v_mov_b32_e32 v1, s3
	v_add_co_u32_e32 v14, vcc, s2, v5
	s_lshl_b64 s[28:29], s[24:25], 5
	s_lshl_b64 s[2:3], s[24:25], 4
	s_add_u32 s30, s12, s2
	v_addc_co_u32_e32 v1, vcc, v1, v19, vcc
	s_addc_u32 s31, s13, s3
	v_mov_b32_e32 v15, s31
	v_add_co_u32_e32 v16, vcc, s30, v5
	s_lshl_b64 s[30:31], s[24:25], 3
	s_add_u32 s34, s12, s30
	v_addc_co_u32_e32 v15, vcc, v15, v19, vcc
	s_addc_u32 s35, s13, s31
	v_mov_b32_e32 v17, s35
	v_add_co_u32_e32 v18, vcc, s34, v5
	v_addc_co_u32_e32 v17, vcc, v17, v19, vcc
	v_mov_b32_e32 v21, s13
	v_add_co_u32_e32 v20, vcc, s12, v5
	s_add_u32 s12, s14, s23
	v_addc_co_u32_e32 v19, vcc, v21, v19, vcc
	s_addc_u32 s13, s15, s19
	v_mov_b32_e32 v5, s13
	v_add_co_u32_e32 v22, vcc, s12, v28
	s_add_u32 s2, s14, s2
	v_addc_co_u32_e32 v21, vcc, v5, v29, vcc
	s_addc_u32 s3, s15, s3
	v_mov_b32_e32 v5, s3
	v_add_co_u32_e32 v24, vcc, s2, v28
	s_add_u32 s2, s14, s30
	v_addc_co_u32_e32 v23, vcc, v5, v29, vcc
	s_addc_u32 s3, s15, s31
	v_mov_b32_e32 v5, s3
	v_add_co_u32_e32 v26, vcc, s2, v28
	v_addc_co_u32_e32 v25, vcc, v5, v29, vcc
	v_mov_b32_e32 v5, s15
	v_add_co_u32_e32 v28, vcc, s14, v28
	v_addc_co_u32_e32 v27, vcc, v5, v29, vcc
	s_mul_hi_i32 s19, s24, 3
	s_mul_i32 s23, s24, 3
	s_lshl_b64 s[30:31], s[24:25], 1
	s_mov_b64 s[12:13], 0
	v_mov_b32_e32 v5, 0
	s_movk_i32 s44, 0x7fff
	v_mov_b32_e32 v29, 0x7fc00000
	v_mov_b32_e32 v34, s25
	v_pk_mov_b32 v[30:31], v[6:7], v[6:7] op_sel:[0,1]
                                        ; implicit-def: $sgpr34_sgpr35
	s_branch .LBB72_21
.LBB72_18:                              ;   in Loop: Header=BB72_21 Depth=1
	s_or_b64 exec, exec, s[2:3]
	s_orn2_b64 s[2:3], s[40:41], exec
.LBB72_19:                              ;   in Loop: Header=BB72_21 Depth=1
	s_or_b64 exec, exec, s[38:39]
	s_andn2_b64 s[34:35], s[34:35], exec
	s_and_b64 s[2:3], s[2:3], exec
	s_or_b64 s[34:35], s[34:35], s[2:3]
.LBB72_20:                              ;   in Loop: Header=BB72_21 Depth=1
	s_or_b64 exec, exec, s[36:37]
	s_and_b64 s[2:3], exec, s[34:35]
	s_or_b64 s[12:13], s[2:3], s[12:13]
	s_andn2_b64 exec, exec, s[12:13]
	s_cbranch_execz .LBB72_25
.LBB72_21:                              ; =>This Inner Loop Header: Depth=1
	v_add_co_u32_e32 v32, vcc, v20, v12
	v_addc_co_u32_e32 v33, vcc, v19, v13, vcc
	global_load_dwordx2 v[38:39], v[32:33], off
	v_add_co_u32_e32 v32, vcc, v28, v12
	v_addc_co_u32_e32 v33, vcc, v27, v13, vcc
	global_load_dwordx2 v[40:41], v[32:33], off
	v_add_co_u32_e32 v32, vcc, s24, v30
	v_addc_co_u32_e32 v33, vcc, v31, v34, vcc
	v_cmp_lt_i64_e32 vcc, v[32:33], v[10:11]
	s_or_b64 s[34:35], s[34:35], exec
	s_waitcnt vmcnt(1)
	v_lshlrev_b32_e32 v42, 16, v38
	v_and_b32_e32 v35, 0xffff0000, v38
	s_waitcnt lgkmcnt(0)
	v_mul_f32_e32 v42, v36, v42
	v_alignbit_b32 v38, v39, v38, 16
	v_and_b32_e32 v39, 0xffff0000, v39
	v_mul_f32_e32 v35, v36, v35
	v_bfe_u32 v44, v42, 16, 1
	v_mul_f32_e32 v39, v36, v39
	v_bfe_u32 v45, v35, 16, 1
	v_add3_u32 v44, v42, v44, s44
	v_and_b32_e32 v38, 0xffff0000, v38
	v_bfe_u32 v46, v39, 16, 1
	v_add3_u32 v45, v35, v45, s44
	v_and_b32_e32 v44, 0xffff0000, v44
	v_cmp_o_f32_e64 s[2:3], v42, v42
	v_mul_f32_e32 v38, v36, v38
	v_add3_u32 v46, v39, v46, s44
	v_and_b32_e32 v45, 0xffff0000, v45
	v_cndmask_b32_e64 v42, v29, v44, s[2:3]
	v_cmp_o_f32_e64 s[2:3], v35, v35
	s_waitcnt vmcnt(0)
	v_lshlrev_b32_e32 v43, 16, v40
	v_bfe_u32 v47, v38, 16, 1
	v_and_b32_e32 v46, 0xffff0000, v46
	v_cndmask_b32_e64 v35, v29, v45, s[2:3]
	v_cmp_o_f32_e64 s[2:3], v39, v39
	v_and_b32_e32 v37, 0xffff0000, v40
	v_alignbit_b32 v40, v41, v40, 16
	v_and_b32_e32 v41, 0xffff0000, v41
	v_add3_u32 v47, v38, v47, s44
	v_cndmask_b32_e64 v39, v29, v46, s[2:3]
	v_mul_f32_e32 v42, v42, v43
	v_and_b32_e32 v44, 0xffff0000, v47
	v_mul_f32_e32 v35, v35, v37
	v_cmp_o_f32_e64 s[2:3], v38, v38
	v_mul_f32_e32 v38, v39, v41
	v_bfe_u32 v39, v42, 16, 1
	v_and_b32_e32 v40, 0xffff0000, v40
	v_cndmask_b32_e64 v37, v29, v44, s[2:3]
	v_bfe_u32 v41, v35, 16, 1
	v_add3_u32 v39, v42, v39, s44
	v_mul_f32_e32 v37, v37, v40
	v_bfe_u32 v40, v38, 16, 1
	v_add3_u32 v41, v35, v41, s44
	v_and_b32_e32 v39, 0xffff0000, v39
	v_cmp_o_f32_e64 s[2:3], v42, v42
	v_bfe_u32 v43, v37, 16, 1
	v_add3_u32 v40, v38, v40, s44
	v_and_b32_e32 v41, 0xffff0000, v41
	v_cndmask_b32_e64 v39, v29, |v39|, s[2:3]
	v_cmp_o_f32_e64 s[2:3], v35, v35
	v_add3_u32 v43, v37, v43, s44
	v_and_b32_e32 v40, 0xffff0000, v40
	v_cndmask_b32_e64 v35, v29, |v41|, s[2:3]
	v_cmp_o_f32_e64 s[2:3], v38, v38
	v_and_b32_e32 v41, 0xffff0000, v43
	v_cndmask_b32_e64 v38, v29, |v40|, s[2:3]
	v_cmp_o_f32_e64 s[2:3], v37, v37
	v_max3_f32 v5, v5, v39, v35
	v_cndmask_b32_e64 v35, v29, |v41|, s[2:3]
	v_max3_f32 v5, v5, v35, v38
	s_and_saveexec_b64 s[36:37], vcc
	s_cbranch_execz .LBB72_20
; %bb.22:                               ;   in Loop: Header=BB72_21 Depth=1
	v_add_co_u32_e32 v38, vcc, v18, v12
	v_addc_co_u32_e32 v39, vcc, v17, v13, vcc
	global_load_dwordx2 v[38:39], v[38:39], off
	v_add_co_u32_e32 v40, vcc, v26, v12
	v_addc_co_u32_e32 v41, vcc, v25, v13, vcc
	global_load_dwordx2 v[40:41], v[40:41], off
	v_mov_b32_e32 v35, s31
	v_add_co_u32_e32 v42, vcc, s30, v30
	v_addc_co_u32_e32 v43, vcc, v35, v31, vcc
	v_cmp_lt_i64_e32 vcc, v[42:43], v[10:11]
	s_waitcnt vmcnt(1)
	v_lshlrev_b32_e32 v42, 16, v38
	v_and_b32_e32 v35, 0xffff0000, v38
	v_mul_f32_e32 v42, v36, v42
	v_alignbit_b32 v38, v39, v38, 16
	v_and_b32_e32 v39, 0xffff0000, v39
	v_mul_f32_e32 v35, v36, v35
	v_bfe_u32 v44, v42, 16, 1
	v_mul_f32_e32 v39, v36, v39
	v_bfe_u32 v45, v35, 16, 1
	v_add3_u32 v44, v42, v44, s44
	v_and_b32_e32 v38, 0xffff0000, v38
	v_bfe_u32 v46, v39, 16, 1
	v_add3_u32 v45, v35, v45, s44
	v_and_b32_e32 v44, 0xffff0000, v44
	v_cmp_o_f32_e64 s[2:3], v42, v42
	v_mul_f32_e32 v38, v36, v38
	v_add3_u32 v46, v39, v46, s44
	v_and_b32_e32 v45, 0xffff0000, v45
	v_cndmask_b32_e64 v42, v29, v44, s[2:3]
	v_cmp_o_f32_e64 s[2:3], v35, v35
	s_waitcnt vmcnt(0)
	v_lshlrev_b32_e32 v43, 16, v40
	v_bfe_u32 v47, v38, 16, 1
	v_and_b32_e32 v46, 0xffff0000, v46
	v_cndmask_b32_e64 v35, v29, v45, s[2:3]
	v_cmp_o_f32_e64 s[2:3], v39, v39
	v_and_b32_e32 v37, 0xffff0000, v40
	v_alignbit_b32 v40, v41, v40, 16
	v_and_b32_e32 v41, 0xffff0000, v41
	v_add3_u32 v47, v38, v47, s44
	v_cndmask_b32_e64 v39, v29, v46, s[2:3]
	v_mul_f32_e32 v42, v42, v43
	v_and_b32_e32 v44, 0xffff0000, v47
	v_mul_f32_e32 v35, v35, v37
	v_cmp_o_f32_e64 s[2:3], v38, v38
	v_mul_f32_e32 v38, v39, v41
	v_bfe_u32 v39, v42, 16, 1
	v_and_b32_e32 v40, 0xffff0000, v40
	v_cndmask_b32_e64 v37, v29, v44, s[2:3]
	v_bfe_u32 v41, v35, 16, 1
	v_add3_u32 v39, v42, v39, s44
	v_mul_f32_e32 v37, v37, v40
	v_bfe_u32 v40, v38, 16, 1
	v_add3_u32 v41, v35, v41, s44
	v_and_b32_e32 v39, 0xffff0000, v39
	v_cmp_o_f32_e64 s[2:3], v42, v42
	v_bfe_u32 v43, v37, 16, 1
	v_add3_u32 v40, v38, v40, s44
	v_and_b32_e32 v41, 0xffff0000, v41
	v_cndmask_b32_e64 v39, v29, |v39|, s[2:3]
	v_cmp_o_f32_e64 s[2:3], v35, v35
	v_add3_u32 v43, v37, v43, s44
	v_and_b32_e32 v40, 0xffff0000, v40
	v_cndmask_b32_e64 v35, v29, |v41|, s[2:3]
	v_cmp_o_f32_e64 s[2:3], v38, v38
	v_and_b32_e32 v41, 0xffff0000, v43
	v_cndmask_b32_e64 v38, v29, |v40|, s[2:3]
	v_cmp_o_f32_e64 s[2:3], v37, v37
	v_max3_f32 v5, v5, v39, v35
	v_cndmask_b32_e64 v35, v29, |v41|, s[2:3]
	v_max3_f32 v5, v5, v35, v38
	s_mov_b64 s[2:3], -1
	s_and_saveexec_b64 s[38:39], vcc
	s_cbranch_execz .LBB72_19
; %bb.23:                               ;   in Loop: Header=BB72_21 Depth=1
	v_add_co_u32_e32 v38, vcc, v16, v12
	v_addc_co_u32_e32 v39, vcc, v15, v13, vcc
	global_load_dwordx2 v[38:39], v[38:39], off
	v_add_co_u32_e32 v40, vcc, v24, v12
	v_addc_co_u32_e32 v41, vcc, v23, v13, vcc
	global_load_dwordx2 v[40:41], v[40:41], off
	v_mov_b32_e32 v35, s19
	v_add_co_u32_e32 v30, vcc, s23, v30
	v_addc_co_u32_e32 v31, vcc, v35, v31, vcc
	v_cmp_lt_i64_e32 vcc, v[30:31], v[10:11]
	s_mov_b64 s[40:41], -1
	s_waitcnt vmcnt(1)
	v_lshlrev_b32_e32 v35, 16, v38
	v_and_b32_e32 v30, 0xffff0000, v38
	v_mul_f32_e32 v35, v36, v35
	v_alignbit_b32 v37, v39, v38, 16
	v_and_b32_e32 v38, 0xffff0000, v39
	v_mul_f32_e32 v30, v36, v30
	v_bfe_u32 v42, v35, 16, 1
	v_mul_f32_e32 v38, v36, v38
	v_bfe_u32 v43, v30, 16, 1
	v_add3_u32 v42, v35, v42, s44
	v_and_b32_e32 v37, 0xffff0000, v37
	v_bfe_u32 v44, v38, 16, 1
	v_add3_u32 v43, v30, v43, s44
	v_and_b32_e32 v42, 0xffff0000, v42
	v_cmp_o_f32_e64 s[2:3], v35, v35
	v_mul_f32_e32 v37, v36, v37
	v_add3_u32 v44, v38, v44, s44
	v_and_b32_e32 v43, 0xffff0000, v43
	v_cndmask_b32_e64 v35, v29, v42, s[2:3]
	v_cmp_o_f32_e64 s[2:3], v30, v30
	s_waitcnt vmcnt(0)
	v_lshlrev_b32_e32 v39, 16, v40
	v_bfe_u32 v45, v37, 16, 1
	v_and_b32_e32 v44, 0xffff0000, v44
	v_cndmask_b32_e64 v30, v29, v43, s[2:3]
	v_cmp_o_f32_e64 s[2:3], v38, v38
	v_and_b32_e32 v31, 0xffff0000, v40
	v_alignbit_b32 v40, v41, v40, 16
	v_and_b32_e32 v41, 0xffff0000, v41
	v_add3_u32 v45, v37, v45, s44
	v_cndmask_b32_e64 v38, v29, v44, s[2:3]
	v_mul_f32_e32 v35, v35, v39
	v_and_b32_e32 v42, 0xffff0000, v45
	v_mul_f32_e32 v30, v30, v31
	v_cmp_o_f32_e64 s[2:3], v37, v37
	v_mul_f32_e32 v37, v38, v41
	v_bfe_u32 v38, v35, 16, 1
	v_and_b32_e32 v40, 0xffff0000, v40
	v_cndmask_b32_e64 v31, v29, v42, s[2:3]
	v_bfe_u32 v39, v30, 16, 1
	v_add3_u32 v38, v35, v38, s44
	v_mul_f32_e32 v31, v31, v40
	v_bfe_u32 v40, v37, 16, 1
	v_add3_u32 v39, v30, v39, s44
	v_and_b32_e32 v38, 0xffff0000, v38
	v_cmp_o_f32_e64 s[2:3], v35, v35
	v_bfe_u32 v41, v31, 16, 1
	v_add3_u32 v40, v37, v40, s44
	v_and_b32_e32 v39, 0xffff0000, v39
	v_cndmask_b32_e64 v35, v29, |v38|, s[2:3]
	v_cmp_o_f32_e64 s[2:3], v30, v30
	v_add3_u32 v41, v31, v41, s44
	v_and_b32_e32 v40, 0xffff0000, v40
	v_cndmask_b32_e64 v30, v29, |v39|, s[2:3]
	v_cmp_o_f32_e64 s[2:3], v37, v37
	v_and_b32_e32 v38, 0xffff0000, v41
	v_cndmask_b32_e64 v37, v29, |v40|, s[2:3]
	v_cmp_o_f32_e64 s[2:3], v31, v31
	v_max3_f32 v5, v5, v35, v30
	v_cndmask_b32_e64 v30, v29, |v38|, s[2:3]
	v_max3_f32 v5, v5, v30, v37
                                        ; implicit-def: $vgpr30_vgpr31
	s_and_saveexec_b64 s[2:3], vcc
	s_xor_b64 s[2:3], exec, s[2:3]
	s_cbranch_execz .LBB72_18
; %bb.24:                               ;   in Loop: Header=BB72_21 Depth=1
	v_add_co_u32_e32 v30, vcc, v14, v12
	v_addc_co_u32_e32 v31, vcc, v1, v13, vcc
	global_load_dwordx2 v[38:39], v[30:31], off
	v_add_co_u32_e32 v30, vcc, v22, v12
	v_addc_co_u32_e32 v31, vcc, v21, v13, vcc
	global_load_dwordx2 v[40:41], v[30:31], off
	v_mov_b32_e32 v35, s29
	v_add_co_u32_e32 v14, vcc, s28, v14
	v_addc_co_u32_e32 v1, vcc, v1, v35, vcc
	v_add_co_u32_e32 v16, vcc, s28, v16
	s_add_u32 s40, s24, s24
	v_addc_co_u32_e32 v15, vcc, v15, v35, vcc
	s_addc_u32 s41, s25, s25
	v_add_co_u32_e32 v18, vcc, s28, v18
	v_addc_co_u32_e32 v17, vcc, v17, v35, vcc
	s_add_u32 s40, s40, s24
	s_addc_u32 s41, s41, s25
	v_add_co_u32_e32 v30, vcc, s40, v32
	v_mov_b32_e32 v31, s41
	v_addc_co_u32_e32 v31, vcc, v31, v33, vcc
	s_waitcnt vmcnt(1)
	v_lshlrev_b32_e32 v37, 16, v38
	v_and_b32_e32 v32, 0xffff0000, v38
	v_mul_f32_e32 v37, v36, v37
	v_alignbit_b32 v38, v39, v38, 16
	v_and_b32_e32 v39, 0xffff0000, v39
	v_mul_f32_e32 v32, v36, v32
	v_bfe_u32 v43, v37, 16, 1
	v_mul_f32_e32 v39, v36, v39
	v_bfe_u32 v44, v32, 16, 1
	v_add3_u32 v43, v37, v43, s44
	v_and_b32_e32 v38, 0xffff0000, v38
	v_bfe_u32 v45, v39, 16, 1
	v_add3_u32 v44, v32, v44, s44
	v_and_b32_e32 v43, 0xffff0000, v43
	v_cmp_o_f32_e32 vcc, v37, v37
	v_mul_f32_e32 v38, v36, v38
	v_add3_u32 v45, v39, v45, s44
	v_and_b32_e32 v44, 0xffff0000, v44
	v_cndmask_b32_e32 v37, v29, v43, vcc
	v_cmp_o_f32_e32 vcc, v32, v32
	s_waitcnt vmcnt(0)
	v_lshlrev_b32_e32 v42, 16, v40
	v_bfe_u32 v46, v38, 16, 1
	v_and_b32_e32 v45, 0xffff0000, v45
	v_cndmask_b32_e32 v32, v29, v44, vcc
	v_cmp_o_f32_e32 vcc, v39, v39
	v_and_b32_e32 v33, 0xffff0000, v40
	v_alignbit_b32 v40, v41, v40, 16
	v_and_b32_e32 v41, 0xffff0000, v41
	v_add3_u32 v46, v38, v46, s44
	v_cndmask_b32_e32 v39, v29, v45, vcc
	v_mul_f32_e32 v37, v37, v42
	v_and_b32_e32 v43, 0xffff0000, v46
	v_mul_f32_e32 v32, v32, v33
	v_cmp_o_f32_e32 vcc, v38, v38
	v_mul_f32_e32 v38, v39, v41
	v_bfe_u32 v39, v37, 16, 1
	v_and_b32_e32 v40, 0xffff0000, v40
	v_cndmask_b32_e32 v33, v29, v43, vcc
	v_bfe_u32 v41, v32, 16, 1
	v_add3_u32 v39, v37, v39, s44
	v_mul_f32_e32 v33, v33, v40
	v_bfe_u32 v40, v38, 16, 1
	v_add3_u32 v41, v32, v41, s44
	v_and_b32_e32 v39, 0xffff0000, v39
	v_cmp_o_f32_e32 vcc, v37, v37
	v_bfe_u32 v42, v33, 16, 1
	v_add3_u32 v40, v38, v40, s44
	v_and_b32_e32 v41, 0xffff0000, v41
	v_cndmask_b32_e64 v37, v29, |v39|, vcc
	v_cmp_o_f32_e32 vcc, v32, v32
	v_add3_u32 v42, v33, v42, s44
	v_and_b32_e32 v40, 0xffff0000, v40
	v_cndmask_b32_e64 v32, v29, |v41|, vcc
	v_cmp_o_f32_e32 vcc, v38, v38
	v_and_b32_e32 v39, 0xffff0000, v42
	v_cndmask_b32_e64 v38, v29, |v40|, vcc
	v_cmp_o_f32_e32 vcc, v33, v33
	v_max3_f32 v5, v5, v37, v32
	v_cndmask_b32_e64 v32, v29, |v39|, vcc
	v_add_co_u32_e32 v20, vcc, s28, v20
	v_addc_co_u32_e32 v19, vcc, v19, v35, vcc
	v_add_co_u32_e32 v22, vcc, s28, v22
	v_addc_co_u32_e32 v21, vcc, v21, v35, vcc
	;; [unrolled: 2-line block ×5, first 2 shown]
	v_cmp_ge_i64_e32 vcc, v[30:31], v[10:11]
	v_max3_f32 v5, v5, v32, v38
	s_orn2_b64 s[40:41], vcc, exec
	s_branch .LBB72_18
.LBB72_25:
	s_or_b64 exec, exec, s[12:13]
.LBB72_26:
	s_or_b64 exec, exec, s[26:27]
	s_lshr_b32 s19, s16, 6
	v_cvt_f32_u32_e32 v10, s19
	v_lshlrev_b32_e32 v1, 2, v0
	ds_write_b32 v1, v5
	s_sub_i32 s12, 0, s19
	v_rcp_iflag_f32_e32 v5, v10
	s_add_i32 s2, s22, s19
	s_add_i32 s2, s2, -1
	s_ashr_i32 s3, s2, 31
	v_mul_f32_e32 v5, 0x4f7ffffe, v5
	v_cvt_u32_f32_e32 v5, v5
	s_abs_i32 s2, s2
	s_waitcnt lgkmcnt(0)
	s_barrier
	v_readfirstlane_b32 s13, v5
	s_mul_i32 s12, s12, s13
	s_mul_hi_u32 s12, s13, s12
	s_add_i32 s13, s13, s12
	s_mul_hi_u32 s12, s2, s13
	s_mul_i32 s13, s12, s19
	s_sub_i32 s2, s2, s13
	s_add_i32 s13, s12, 1
	s_sub_i32 s23, s2, s19
	s_cmp_ge_u32 s2, s19
	s_cselect_b32 s12, s13, s12
	s_cselect_b32 s2, s23, s2
	s_add_i32 s13, s12, 1
	s_cmp_ge_u32 s2, s19
	s_cselect_b32 s2, s13, s12
	s_xor_b32 s2, s2, s3
	s_sub_i32 s2, s2, s3
	s_ashr_i32 s3, s2, 31
	v_cmp_lt_i64_e64 s[12:13], s[2:3], 1
	s_and_b64 vcc, exec, s[12:13]
	s_cbranch_vccnz .LBB72_48
; %bb.27:
	v_and_b32_e32 v12, 63, v0
	v_add_co_u32_e32 v14, vcc, 32, v12
	v_addc_co_u32_e64 v15, s[12:13], 0, 0, vcc
	v_add_co_u32_e32 v16, vcc, 16, v12
	v_addc_co_u32_e64 v17, s[12:13], 0, 0, vcc
	;; [unrolled: 2-line block ×4, first 2 shown]
	v_add_co_u32_e32 v22, vcc, 2, v12
	v_lshrrev_b32_e32 v10, 6, v0
	v_addc_co_u32_e64 v23, s[12:13], 0, 0, vcc
	v_add_co_u32_e32 v24, vcc, 1, v12
	v_addc_co_u32_e64 v25, s[12:13], 0, 0, vcc
	v_mul_lo_u32 v5, s24, v10
	v_lshlrev_b32_e32 v5, 2, v5
	v_lshlrev_b32_e32 v26, 2, v12
	s_movk_i32 s12, 0x100
	v_mov_b32_e32 v11, 0
	v_add3_u32 v5, v5, v26, s12
	s_mul_i32 s12, s24, s19
	s_ashr_i32 s23, s22, 31
	v_mov_b32_e32 v13, v11
	s_lshl_b32 s36, s12, 2
	s_mov_b64 s[12:13], 0
	v_mov_b32_e32 v37, s19
	s_mov_b64 s[26:27], src_shared_base
	s_branch .LBB72_30
.LBB72_28:                              ;   in Loop: Header=BB72_30 Depth=1
	s_or_b64 exec, exec, s[30:31]
	v_mov_b32_e32 v27, s27
	flat_load_dword v26, v[26:27] glc
	s_waitcnt vmcnt(0)
.LBB72_29:                              ;   in Loop: Header=BB72_30 Depth=1
	s_or_b64 exec, exec, s[28:29]
	s_add_u32 s12, s12, 1
	s_addc_u32 s13, s13, 0
	s_cmp_eq_u64 s[12:13], s[2:3]
	v_add_u32_e32 v5, s36, v5
	s_cbranch_scc1 .LBB72_48
.LBB72_30:                              ; =>This Loop Header: Depth=1
                                        ;     Child Loop BB72_33 Depth 2
	v_mad_u64_u32 v[30:31], s[28:29], s12, v37, v[10:11]
	s_mul_i32 s26, s13, s19
	v_add_u32_e32 v31, s26, v31
	v_cmp_gt_i64_e32 vcc, s[22:23], v[30:31]
	s_and_saveexec_b64 s[28:29], vcc
	s_cbranch_execz .LBB72_29
; %bb.31:                               ;   in Loop: Header=BB72_30 Depth=1
	v_pk_mov_b32 v[32:33], s[24:25], s[24:25] op_sel:[0,1]
	v_mul_lo_u32 v29, v31, s24
	v_mul_lo_u32 v38, v30, s25
	v_mad_u64_u32 v[32:33], s[30:31], v30, s24, v[32:33]
	v_add3_u32 v33, v29, v33, v38
	v_mov_b32_e32 v28, s21
	v_cmp_gt_i64_e32 vcc, s[20:21], v[32:33]
	s_waitcnt lgkmcnt(0)
	v_mad_u64_u32 v[26:27], s[30:31], v30, s24, v[12:13]
	v_cndmask_b32_e32 v33, v28, v33, vcc
	v_mov_b32_e32 v28, s17
	v_add3_u32 v27, v29, v27, v38
	v_cndmask_b32_e32 v32, v28, v32, vcc
	v_add_co_u32_e32 v34, vcc, 64, v26
	v_addc_co_u32_e32 v35, vcc, 0, v27, vcc
	v_cmp_lt_i64_e32 vcc, v[34:35], v[32:33]
	v_lshlrev_b32_e32 v28, 2, v26
	s_and_saveexec_b64 s[30:31], vcc
	s_cbranch_execz .LBB72_34
; %bb.32:                               ;   in Loop: Header=BB72_30 Depth=1
	ds_read_b32 v31, v28
	s_mov_b64 s[34:35], 0
	v_mov_b32_e32 v27, v5
.LBB72_33:                              ;   Parent Loop BB72_30 Depth=1
                                        ; =>  This Inner Loop Header: Depth=2
	ds_read_b32 v39, v27
	v_add_co_u32_e32 v34, vcc, 64, v34
	v_addc_co_u32_e32 v35, vcc, 0, v35, vcc
	s_waitcnt lgkmcnt(1)
	v_max_f32_e32 v31, v31, v31
	v_cmp_ge_i64_e32 vcc, v[34:35], v[32:33]
	s_waitcnt lgkmcnt(0)
	v_max_f32_e32 v39, v39, v39
	v_add_u32_e32 v27, 0x100, v27
	s_or_b64 s[34:35], vcc, s[34:35]
	v_max_f32_e32 v31, v31, v39
	ds_write_b32 v28, v31
	s_andn2_b64 exec, exec, s[34:35]
	s_cbranch_execnz .LBB72_33
.LBB72_34:                              ;   in Loop: Header=BB72_30 Depth=1
	s_or_b64 exec, exec, s[30:31]
	v_mad_u64_u32 v[30:31], s[30:31], v30, s24, 0
	v_add3_u32 v27, v31, v38, v29
	v_sub_co_u32_e32 v30, vcc, v32, v30
	v_subb_co_u32_e32 v31, vcc, v33, v27, vcc
	v_cmp_gt_i64_e32 vcc, 64, v[30:31]
	v_cndmask_b32_e32 v31, 0, v31, vcc
	v_cndmask_b32_e32 v30, 64, v30, vcc
	v_cmp_lt_i64_e32 vcc, v[14:15], v[30:31]
	s_and_saveexec_b64 s[30:31], vcc
	s_cbranch_execnz .LBB72_46
; %bb.35:                               ;   in Loop: Header=BB72_30 Depth=1
	s_or_b64 exec, exec, s[30:31]
	v_cmp_lt_i64_e32 vcc, v[16:17], v[30:31]
	s_and_saveexec_b64 s[30:31], vcc
	s_cbranch_execnz .LBB72_47
.LBB72_36:                              ;   in Loop: Header=BB72_30 Depth=1
	s_or_b64 exec, exec, s[30:31]
	v_cmp_lt_i64_e32 vcc, v[18:19], v[30:31]
	s_and_saveexec_b64 s[30:31], vcc
	s_cbranch_execz .LBB72_38
.LBB72_37:                              ;   in Loop: Header=BB72_30 Depth=1
	v_mov_b32_e32 v29, s27
	v_add_u32_e32 v32, 32, v28
	v_mov_b32_e32 v33, s27
	flat_load_dword v27, v[28:29] glc
	s_waitcnt vmcnt(0)
	flat_load_dword v34, v[32:33] glc
	s_waitcnt vmcnt(0) lgkmcnt(0)
	v_max_f32_e32 v27, v27, v27
	v_max_f32_e32 v32, v34, v34
	;; [unrolled: 1-line block ×3, first 2 shown]
	flat_store_dword v[28:29], v27
	s_waitcnt vmcnt(0)
.LBB72_38:                              ;   in Loop: Header=BB72_30 Depth=1
	s_or_b64 exec, exec, s[30:31]
	v_cmp_ge_i64_e32 vcc, v[20:21], v[30:31]
	s_and_saveexec_b64 s[30:31], vcc
	s_xor_b64 s[30:31], exec, s[30:31]
; %bb.39:                               ;   in Loop: Header=BB72_30 Depth=1
                                        ; implicit-def: $vgpr28
; %bb.40:                               ;   in Loop: Header=BB72_30 Depth=1
	s_andn2_saveexec_b64 s[30:31], s[30:31]
	s_cbranch_execz .LBB72_42
; %bb.41:                               ;   in Loop: Header=BB72_30 Depth=1
	v_mov_b32_e32 v29, s27
	v_add_u32_e32 v32, 16, v28
	v_mov_b32_e32 v33, s27
	flat_load_dword v27, v[28:29] glc
	s_waitcnt vmcnt(0)
	flat_load_dword v34, v[32:33] glc
	s_waitcnt vmcnt(0) lgkmcnt(0)
	v_max_f32_e32 v27, v27, v27
	v_max_f32_e32 v32, v34, v34
	;; [unrolled: 1-line block ×3, first 2 shown]
	flat_store_dword v[28:29], v27
	s_waitcnt vmcnt(0)
.LBB72_42:                              ;   in Loop: Header=BB72_30 Depth=1
	s_or_b64 exec, exec, s[30:31]
	v_cmp_lt_i64_e32 vcc, v[22:23], v[30:31]
	v_lshlrev_b32_e32 v26, 2, v26
	s_and_saveexec_b64 s[30:31], vcc
	s_cbranch_execz .LBB72_44
; %bb.43:                               ;   in Loop: Header=BB72_30 Depth=1
	v_mov_b32_e32 v27, s27
	v_add_u32_e32 v28, 8, v26
	v_mov_b32_e32 v29, s27
	flat_load_dword v32, v[26:27] glc
	s_waitcnt vmcnt(0)
	flat_load_dword v33, v[28:29] glc
	s_waitcnt vmcnt(0) lgkmcnt(0)
	v_max_f32_e32 v28, v32, v32
	v_max_f32_e32 v29, v33, v33
	;; [unrolled: 1-line block ×3, first 2 shown]
	flat_store_dword v[26:27], v28
	s_waitcnt vmcnt(0)
.LBB72_44:                              ;   in Loop: Header=BB72_30 Depth=1
	s_or_b64 exec, exec, s[30:31]
	v_cmp_lt_i64_e32 vcc, v[24:25], v[30:31]
	s_and_saveexec_b64 s[30:31], vcc
	s_cbranch_execz .LBB72_28
; %bb.45:                               ;   in Loop: Header=BB72_30 Depth=1
	v_mov_b32_e32 v27, s27
	v_add_u32_e32 v28, 4, v26
	v_mov_b32_e32 v29, s27
	flat_load_dword v30, v[26:27] glc
	s_waitcnt vmcnt(0)
	flat_load_dword v31, v[28:29] glc
	s_waitcnt vmcnt(0) lgkmcnt(0)
	v_max_f32_e32 v28, v30, v30
	v_max_f32_e32 v29, v31, v31
	;; [unrolled: 1-line block ×3, first 2 shown]
	flat_store_dword v[26:27], v28
	s_waitcnt vmcnt(0)
	s_branch .LBB72_28
.LBB72_46:                              ;   in Loop: Header=BB72_30 Depth=1
	v_mov_b32_e32 v29, s27
	v_add_u32_e32 v32, 0x80, v28
	v_mov_b32_e32 v33, s27
	flat_load_dword v27, v[28:29] glc
	s_waitcnt vmcnt(0)
	flat_load_dword v34, v[32:33] glc
	s_waitcnt vmcnt(0) lgkmcnt(0)
	v_max_f32_e32 v27, v27, v27
	v_max_f32_e32 v32, v34, v34
	;; [unrolled: 1-line block ×3, first 2 shown]
	flat_store_dword v[28:29], v27
	s_waitcnt vmcnt(0)
	s_or_b64 exec, exec, s[30:31]
	v_cmp_lt_i64_e32 vcc, v[16:17], v[30:31]
	s_and_saveexec_b64 s[30:31], vcc
	s_cbranch_execz .LBB72_36
.LBB72_47:                              ;   in Loop: Header=BB72_30 Depth=1
	v_mov_b32_e32 v29, s27
	v_add_u32_e32 v32, 64, v28
	v_mov_b32_e32 v33, s27
	flat_load_dword v27, v[28:29] glc
	s_waitcnt vmcnt(0)
	flat_load_dword v34, v[32:33] glc
	s_waitcnt vmcnt(0) lgkmcnt(0)
	v_max_f32_e32 v27, v27, v27
	v_max_f32_e32 v32, v34, v34
	;; [unrolled: 1-line block ×3, first 2 shown]
	flat_store_dword v[28:29], v27
	s_waitcnt vmcnt(0)
	s_or_b64 exec, exec, s[30:31]
	v_cmp_lt_i64_e32 vcc, v[18:19], v[30:31]
	s_and_saveexec_b64 s[30:31], vcc
	s_cbranch_execnz .LBB72_37
	s_branch .LBB72_38
.LBB72_48:
	s_load_dwordx2 s[12:13], s[4:5], 0x40
	v_cmp_eq_u32_e32 vcc, 0, v4
	v_cmp_lt_i64_e64 s[2:3], v[6:7], v[8:9]
	s_and_b64 s[2:3], vcc, s[2:3]
	s_waitcnt lgkmcnt(0)
	s_barrier
	s_and_saveexec_b64 s[22:23], s[2:3]
	s_cbranch_execz .LBB72_55
; %bb.49:
	s_load_dwordx2 s[2:3], s[4:5], 0x20
	ds_read_b32 v1, v1
	s_waitcnt lgkmcnt(0)
	s_cmp_eq_u64 s[2:3], 0
	s_cbranch_scc1 .LBB72_51
; %bb.50:
	s_load_dword s2, s[2:3], 0x0
	v_max_f32_e32 v1, v1, v1
	s_waitcnt lgkmcnt(0)
	v_max_f32_e64 v4, s2, s2
	v_min_f32_e32 v1, v1, v4
.LBB72_51:
	s_add_u32 s3, s12, s43
	s_addc_u32 s4, s13, 0
	s_add_u32 s24, s3, -1
	s_addc_u32 s25, s4, -1
	s_or_b64 s[4:5], s[24:25], s[12:13]
	s_mov_b32 s2, 0
	s_mov_b32 s3, s5
	s_cmp_lg_u64 s[2:3], 0
	s_mov_b64 s[26:27], -1
	s_cbranch_scc0 .LBB72_164
; %bb.52:
	s_ashr_i32 s2, s13, 31
	s_add_u32 s4, s12, s2
	s_mov_b32 s3, s2
	s_addc_u32 s5, s13, s2
	s_xor_b64 s[28:29], s[4:5], s[2:3]
	v_cvt_f32_u32_e32 v4, s28
	v_cvt_f32_u32_e32 v5, s29
	s_sub_u32 s2, 0, s28
	s_subb_u32 s3, 0, s29
	v_madmk_f32 v4, v5, 0x4f800000, v4
	v_rcp_f32_e32 v4, v4
	v_mul_f32_e32 v4, 0x5f7ffffc, v4
	v_mul_f32_e32 v5, 0x2f800000, v4
	v_trunc_f32_e32 v5, v5
	v_madmk_f32 v4, v5, 0xcf800000, v4
	v_cvt_u32_f32_e32 v5, v5
	v_cvt_u32_f32_e32 v4, v4
	v_readfirstlane_b32 s4, v5
	v_readfirstlane_b32 s5, v4
	s_mul_i32 s19, s2, s4
	s_mul_hi_u32 s30, s2, s5
	s_mul_i32 s20, s3, s5
	s_add_i32 s19, s30, s19
	s_add_i32 s19, s19, s20
	s_mul_i32 s31, s2, s5
	s_mul_hi_u32 s20, s5, s19
	s_mul_i32 s30, s5, s19
	s_mul_hi_u32 s5, s5, s31
	s_add_u32 s5, s5, s30
	s_addc_u32 s20, 0, s20
	s_mul_hi_u32 s34, s4, s31
	s_mul_i32 s31, s4, s31
	s_add_u32 s5, s5, s31
	s_mul_hi_u32 s30, s4, s19
	s_addc_u32 s5, s20, s34
	s_addc_u32 s20, s30, 0
	s_mul_i32 s19, s4, s19
	s_add_u32 s5, s5, s19
	s_addc_u32 s19, 0, s20
	v_add_co_u32_e32 v4, vcc, s5, v4
	s_cmp_lg_u64 vcc, 0
	s_addc_u32 s4, s4, s19
	v_readfirstlane_b32 s19, v4
	s_mul_i32 s5, s2, s4
	s_mul_hi_u32 s20, s2, s19
	s_add_i32 s5, s20, s5
	s_mul_i32 s3, s3, s19
	s_add_i32 s5, s5, s3
	s_mul_i32 s2, s2, s19
	s_mul_hi_u32 s20, s4, s2
	s_mul_i32 s30, s4, s2
	s_mul_i32 s34, s19, s5
	s_mul_hi_u32 s2, s19, s2
	s_mul_hi_u32 s31, s19, s5
	s_add_u32 s2, s2, s34
	s_addc_u32 s19, 0, s31
	s_add_u32 s2, s2, s30
	s_mul_hi_u32 s3, s4, s5
	s_addc_u32 s2, s19, s20
	s_addc_u32 s3, s3, 0
	s_mul_i32 s5, s4, s5
	s_add_u32 s2, s2, s5
	s_addc_u32 s3, 0, s3
	v_add_co_u32_e32 v4, vcc, s2, v4
	s_cmp_lg_u64 vcc, 0
	s_addc_u32 s4, s4, s3
	s_ashr_i32 s30, s25, 31
	s_add_u32 s2, s24, s30
	s_mov_b32 s31, s30
	s_addc_u32 s3, s25, s30
	s_xor_b64 s[34:35], s[2:3], s[30:31]
	v_readfirstlane_b32 s5, v4
	s_mul_i32 s3, s34, s4
	s_mul_hi_u32 s19, s34, s5
	s_mul_hi_u32 s2, s34, s4
	s_add_u32 s3, s19, s3
	s_addc_u32 s2, 0, s2
	s_mul_hi_u32 s20, s35, s5
	s_mul_i32 s5, s35, s5
	s_add_u32 s3, s3, s5
	s_mul_hi_u32 s19, s35, s4
	s_addc_u32 s2, s2, s20
	s_addc_u32 s3, s19, 0
	s_mul_i32 s4, s35, s4
	s_add_u32 s2, s2, s4
	s_addc_u32 s3, 0, s3
	s_mul_i32 s3, s28, s3
	s_mul_hi_u32 s4, s28, s2
	s_add_i32 s3, s4, s3
	s_mul_i32 s4, s29, s2
	s_mul_i32 s2, s28, s2
	s_add_i32 s19, s3, s4
	v_mov_b32_e32 v4, s2
	s_sub_i32 s3, s35, s19
	v_sub_co_u32_e32 v4, vcc, s34, v4
	s_cmp_lg_u64 vcc, 0
	s_subb_u32 s20, s3, s29
	v_subrev_co_u32_e64 v5, s[2:3], s28, v4
	s_cmp_lg_u64 s[2:3], 0
	s_subb_u32 s31, s20, 0
	s_cmp_ge_u32 s31, s29
	s_cselect_b32 s34, -1, 0
	v_cmp_le_u32_e64 s[4:5], s28, v5
	s_cmp_eq_u32 s31, s29
	v_cndmask_b32_e64 v6, 0, -1, s[4:5]
	v_mov_b32_e32 v7, s34
	s_cselect_b64 s[4:5], -1, 0
	s_cmp_lg_u64 s[2:3], 0
	v_cndmask_b32_e64 v6, v7, v6, s[4:5]
	s_subb_u32 s4, s20, s29
	v_subrev_co_u32_e64 v7, s[2:3], s28, v5
	s_cmp_lg_u64 s[2:3], 0
	s_subb_u32 s4, s4, 0
	v_cmp_ne_u32_e64 s[2:3], 0, v6
	v_cndmask_b32_e64 v5, v5, v7, s[2:3]
	v_mov_b32_e32 v6, s31
	v_mov_b32_e32 v7, s4
	s_cmp_lg_u64 vcc, 0
	v_cndmask_b32_e64 v6, v6, v7, s[2:3]
	s_subb_u32 s2, s35, s19
	s_cmp_ge_u32 s2, s29
	s_cselect_b32 s3, -1, 0
	v_cmp_le_u32_e32 vcc, s28, v4
	s_cmp_eq_u32 s2, s29
	v_cndmask_b32_e64 v7, 0, -1, vcc
	v_mov_b32_e32 v8, s3
	s_cselect_b64 vcc, -1, 0
	v_cndmask_b32_e32 v7, v8, v7, vcc
	v_cmp_ne_u32_e32 vcc, 0, v7
	v_mov_b32_e32 v8, s2
	v_cndmask_b32_e32 v4, v4, v5, vcc
	v_cndmask_b32_e32 v6, v8, v6, vcc
	v_xor_b32_e32 v4, s30, v4
	v_xor_b32_e32 v5, s30, v6
	v_mov_b32_e32 v6, s30
	v_subrev_co_u32_e32 v4, vcc, s30, v4
	v_subb_co_u32_e32 v5, vcc, v5, v6, vcc
	s_cbranch_execnz .LBB72_54
.LBB72_53:
	v_cvt_f32_u32_e32 v4, s12
	s_sub_i32 s2, 0, s12
	v_rcp_iflag_f32_e32 v4, v4
	v_mul_f32_e32 v4, 0x4f7ffffe, v4
	v_cvt_u32_f32_e32 v4, v4
	v_mul_lo_u32 v5, s2, v4
	v_mul_hi_u32 v5, v4, v5
	v_add_u32_e32 v4, v4, v5
	v_mul_hi_u32 v4, s24, v4
	v_mul_lo_u32 v4, v4, s12
	v_sub_u32_e32 v4, s24, v4
	v_subrev_u32_e32 v5, s12, v4
	v_cmp_le_u32_e32 vcc, s12, v4
	v_cndmask_b32_e32 v4, v4, v5, vcc
	v_subrev_u32_e32 v5, s12, v4
	v_cmp_le_u32_e32 vcc, s12, v4
	v_cndmask_b32_e32 v4, v4, v5, vcc
	v_mov_b32_e32 v5, 0
.LBB72_54:
	s_mov_b32 s4, 0x43e00000
	v_div_scale_f32 v6, s[2:3], s4, s4, v1
	v_rcp_f32_e32 v7, v6
	v_div_scale_f32 v8, vcc, v1, s4, v1
	v_fma_f32 v9, -v6, v7, 1.0
	v_fmac_f32_e32 v7, v9, v7
	v_mul_f32_e32 v9, v8, v7
	v_fma_f32 v10, -v6, v9, v8
	v_fmac_f32_e32 v9, v10, v7
	v_fma_f32 v6, -v6, v9, v8
	v_div_fmas_f32 v6, v6, v7, v9
	v_div_fixup_f32 v1, v6, s4, v1
	v_mov_b32_e32 v6, s25
	v_sub_co_u32_e32 v4, vcc, s24, v4
	v_subb_co_u32_e32 v5, vcc, v6, v5, vcc
	v_mul_lo_u32 v5, v5, v2
	v_mul_lo_u32 v6, v4, v3
	v_mad_u64_u32 v[2:3], s[2:3], v4, v2, 0
	s_lshl_b64 s[2:3], s[6:7], 2
	v_add3_u32 v3, v3, v6, v5
	s_add_u32 s2, s2, s10
	v_lshlrev_b64 v[2:3], 2, v[2:3]
	s_addc_u32 s3, s3, s11
	v_mov_b32_e32 v4, s3
	v_add_co_u32_e32 v2, vcc, s2, v2
	v_max_f32_e32 v1, 0x36924925, v1
	v_addc_co_u32_e32 v3, vcc, v4, v3, vcc
	global_store_dword v[2:3], v1, off
.LBB72_55:
	s_or_b64 exec, exec, s[22:23]
	s_barrier
	s_and_saveexec_b64 s[2:3], s[0:1]
	s_cbranch_execz .LBB72_163
; %bb.56:
	s_add_u32 s1, s12, s43
	s_addc_u32 s2, s13, 0
	s_add_u32 s4, s1, -1
	s_addc_u32 s5, s2, -1
	s_or_b64 s[2:3], s[4:5], s[12:13]
	s_mov_b32 s0, 0
	s_mov_b32 s1, s3
	s_cmp_lg_u64 s[0:1], 0
	s_mov_b64 s[22:23], -1
	s_cbranch_scc0 .LBB72_165
; %bb.57:
	s_ashr_i32 s0, s13, 31
	s_add_u32 s2, s12, s0
	s_mov_b32 s1, s0
	s_addc_u32 s3, s13, s0
	s_xor_b64 s[24:25], s[2:3], s[0:1]
	v_cvt_f32_u32_e32 v1, s24
	v_cvt_f32_u32_e32 v2, s25
	s_sub_u32 s0, 0, s24
	s_subb_u32 s1, 0, s25
	v_madmk_f32 v1, v2, 0x4f800000, v1
	v_rcp_f32_e32 v1, v1
	v_mul_f32_e32 v1, 0x5f7ffffc, v1
	v_mul_f32_e32 v2, 0x2f800000, v1
	v_trunc_f32_e32 v2, v2
	v_madmk_f32 v1, v2, 0xcf800000, v1
	v_cvt_u32_f32_e32 v2, v2
	v_cvt_u32_f32_e32 v1, v1
	v_readfirstlane_b32 s2, v2
	v_readfirstlane_b32 s3, v1
	s_mul_i32 s13, s0, s2
	s_mul_hi_u32 s20, s0, s3
	s_mul_i32 s19, s1, s3
	s_add_i32 s13, s20, s13
	s_add_i32 s13, s13, s19
	s_mul_i32 s26, s0, s3
	s_mul_hi_u32 s19, s3, s13
	s_mul_i32 s20, s3, s13
	s_mul_hi_u32 s3, s3, s26
	s_add_u32 s3, s3, s20
	s_addc_u32 s19, 0, s19
	s_mul_hi_u32 s27, s2, s26
	s_mul_i32 s26, s2, s26
	s_add_u32 s3, s3, s26
	s_mul_hi_u32 s20, s2, s13
	s_addc_u32 s3, s19, s27
	s_addc_u32 s19, s20, 0
	s_mul_i32 s13, s2, s13
	s_add_u32 s3, s3, s13
	s_addc_u32 s13, 0, s19
	v_add_co_u32_e32 v1, vcc, s3, v1
	s_cmp_lg_u64 vcc, 0
	s_addc_u32 s2, s2, s13
	v_readfirstlane_b32 s13, v1
	s_mul_i32 s3, s0, s2
	s_mul_hi_u32 s19, s0, s13
	s_add_i32 s3, s19, s3
	s_mul_i32 s1, s1, s13
	s_add_i32 s3, s3, s1
	s_mul_i32 s0, s0, s13
	s_mul_hi_u32 s19, s2, s0
	s_mul_i32 s20, s2, s0
	s_mul_i32 s27, s13, s3
	s_mul_hi_u32 s0, s13, s0
	s_mul_hi_u32 s26, s13, s3
	s_add_u32 s0, s0, s27
	s_addc_u32 s13, 0, s26
	s_add_u32 s0, s0, s20
	s_mul_hi_u32 s1, s2, s3
	s_addc_u32 s0, s13, s19
	s_addc_u32 s1, s1, 0
	s_mul_i32 s3, s2, s3
	s_add_u32 s0, s0, s3
	s_addc_u32 s1, 0, s1
	v_add_co_u32_e32 v1, vcc, s0, v1
	s_cmp_lg_u64 vcc, 0
	s_addc_u32 s2, s2, s1
	s_ashr_i32 s26, s5, 31
	s_add_u32 s0, s4, s26
	s_mov_b32 s27, s26
	s_addc_u32 s1, s5, s26
	s_xor_b64 s[28:29], s[0:1], s[26:27]
	v_readfirstlane_b32 s3, v1
	s_mul_i32 s1, s28, s2
	s_mul_hi_u32 s13, s28, s3
	s_mul_hi_u32 s0, s28, s2
	s_add_u32 s1, s13, s1
	s_addc_u32 s0, 0, s0
	s_mul_hi_u32 s19, s29, s3
	s_mul_i32 s3, s29, s3
	s_add_u32 s1, s1, s3
	s_mul_hi_u32 s13, s29, s2
	s_addc_u32 s0, s0, s19
	s_addc_u32 s1, s13, 0
	s_mul_i32 s2, s29, s2
	s_add_u32 s0, s0, s2
	s_addc_u32 s1, 0, s1
	s_mul_i32 s1, s24, s1
	s_mul_hi_u32 s2, s24, s0
	s_add_i32 s1, s2, s1
	s_mul_i32 s2, s25, s0
	s_mul_i32 s0, s24, s0
	s_add_i32 s13, s1, s2
	v_mov_b32_e32 v1, s0
	s_sub_i32 s1, s29, s13
	v_sub_co_u32_e32 v1, vcc, s28, v1
	s_cmp_lg_u64 vcc, 0
	s_subb_u32 s19, s1, s25
	v_subrev_co_u32_e64 v2, s[0:1], s24, v1
	s_cmp_lg_u64 s[0:1], 0
	s_subb_u32 s20, s19, 0
	s_cmp_ge_u32 s20, s25
	s_cselect_b32 s27, -1, 0
	v_cmp_le_u32_e64 s[2:3], s24, v2
	s_cmp_eq_u32 s20, s25
	v_cndmask_b32_e64 v3, 0, -1, s[2:3]
	v_mov_b32_e32 v4, s27
	s_cselect_b64 s[2:3], -1, 0
	s_cmp_lg_u64 s[0:1], 0
	v_cndmask_b32_e64 v3, v4, v3, s[2:3]
	s_subb_u32 s2, s19, s25
	v_subrev_co_u32_e64 v4, s[0:1], s24, v2
	s_cmp_lg_u64 s[0:1], 0
	s_subb_u32 s2, s2, 0
	v_cmp_ne_u32_e64 s[0:1], 0, v3
	v_cndmask_b32_e64 v2, v2, v4, s[0:1]
	v_mov_b32_e32 v3, s20
	v_mov_b32_e32 v4, s2
	s_cmp_lg_u64 vcc, 0
	v_cndmask_b32_e64 v3, v3, v4, s[0:1]
	s_subb_u32 s0, s29, s13
	s_cmp_ge_u32 s0, s25
	s_cselect_b32 s1, -1, 0
	v_cmp_le_u32_e32 vcc, s24, v1
	s_cmp_eq_u32 s0, s25
	v_cndmask_b32_e64 v4, 0, -1, vcc
	v_mov_b32_e32 v5, s1
	s_cselect_b64 vcc, -1, 0
	v_cndmask_b32_e32 v4, v5, v4, vcc
	v_cmp_ne_u32_e32 vcc, 0, v4
	v_mov_b32_e32 v5, s0
	v_cndmask_b32_e32 v1, v1, v2, vcc
	v_cndmask_b32_e32 v3, v5, v3, vcc
	v_xor_b32_e32 v1, s26, v1
	v_xor_b32_e32 v3, s26, v3
	v_mov_b32_e32 v4, s26
	v_subrev_co_u32_e32 v2, vcc, s26, v1
	v_subb_co_u32_e32 v3, vcc, v3, v4, vcc
	s_cbranch_execnz .LBB72_59
.LBB72_58:
	v_cvt_f32_u32_e32 v1, s12
	s_sub_i32 s0, 0, s12
	v_mov_b32_e32 v3, 0
	v_rcp_iflag_f32_e32 v1, v1
	v_mul_f32_e32 v1, 0x4f7ffffe, v1
	v_cvt_u32_f32_e32 v1, v1
	v_mul_lo_u32 v2, s0, v1
	v_mul_hi_u32 v2, v1, v2
	v_add_u32_e32 v1, v1, v2
	v_mul_hi_u32 v1, s4, v1
	v_mul_lo_u32 v1, v1, s12
	v_sub_u32_e32 v1, s4, v1
	v_subrev_u32_e32 v2, s12, v1
	v_cmp_le_u32_e32 vcc, s12, v1
	v_cndmask_b32_e32 v1, v1, v2, vcc
	v_subrev_u32_e32 v2, s12, v1
	v_cmp_le_u32_e32 vcc, s12, v1
	v_cndmask_b32_e32 v2, v1, v2, vcc
.LBB72_59:
	s_mul_i32 s0, s21, s6
	s_mul_hi_u32 s1, s17, s6
	s_add_i32 s1, s1, s0
	s_mul_i32 s0, s17, s6
	s_add_u32 s12, s8, s0
	s_addc_u32 s13, s9, s1
	s_lshl_b64 s[0:1], s[6:7], 2
	s_add_u32 s17, s10, s0
	s_addc_u32 s19, s11, s1
	v_mov_b32_e32 v1, s5
	v_sub_co_u32_e32 v10, vcc, s4, v2
	v_subb_co_u32_e32 v11, vcc, v1, v3, vcc
	s_mul_i32 s20, s16, 3
	s_lshl_b32 s21, s16, 1
	s_mov_b64 s[0:1], 0
	v_mov_b32_e32 v1, 0
	v_mov_b32_e32 v12, s42
	;; [unrolled: 1-line block ×4, first 2 shown]
	s_movk_i32 s22, 0x7fff
	v_mov_b32_e32 v15, 0x7fc00000
	s_mov_b32 s23, 0x43f00000
	s_mov_b32 s24, 0x3c7fffff
	s_mov_b32 s25, 0x407ffff
	s_mov_b32 s26, 0x46800000
	s_movk_i32 s27, 0x80
	s_movk_i32 s28, 0xff
	s_branch .LBB72_65
.LBB72_60:                              ;   in Loop: Header=BB72_65 Depth=1
	s_or_b64 exec, exec, s[10:11]
.LBB72_61:                              ;   in Loop: Header=BB72_65 Depth=1
	s_or_b64 exec, exec, s[8:9]
	v_and_b32_sdwa v7, v18, s27 dst_sel:DWORD dst_unused:UNUSED_PAD src0_sel:BYTE_3 src1_sel:DWORD
	v_and_b32_sdwa v8, v17, s27 dst_sel:DWORD dst_unused:UNUSED_PAD src0_sel:BYTE_3 src1_sel:DWORD
	v_lshrrev_b32_e32 v18, 24, v16
	v_lshlrev_b64 v[16:17], 2, v[0:1]
	v_mov_b32_e32 v0, s13
	v_add_co_u32_e32 v16, vcc, s12, v16
	v_and_or_b32 v4, v4, s28, v7
	v_addc_co_u32_e32 v17, vcc, v0, v17, vcc
	v_lshlrev_b32_e32 v0, 24, v6
	v_and_b32_e32 v5, 0x80000000, v5
	v_lshlrev_b32_e32 v4, 16, v4
	v_or3_b32 v0, v5, v0, v4
	v_and_or_b32 v3, v3, s28, v8
	v_and_b32_e32 v4, 0xff, v9
	v_lshlrev_b32_e32 v3, 8, v3
	v_and_or_b32 v4, v18, s27, v4
	s_add_i32 s8, s16, s16
	v_or3_b32 v0, v0, v3, v4
	s_add_i32 s8, s8, s16
	global_store_dword v[16:17], v0, off
	v_add_u32_e32 v0, s8, v2
	v_cmp_le_u32_e32 vcc, s18, v0
	s_orn2_b64 s[8:9], vcc, exec
.LBB72_62:                              ;   in Loop: Header=BB72_65 Depth=1
	s_or_b64 exec, exec, s[6:7]
	s_orn2_b64 s[6:7], s[8:9], exec
.LBB72_63:                              ;   in Loop: Header=BB72_65 Depth=1
	s_or_b64 exec, exec, s[4:5]
	s_orn2_b64 s[4:5], s[6:7], exec
.LBB72_64:                              ;   in Loop: Header=BB72_65 Depth=1
	s_or_b64 exec, exec, s[2:3]
	s_and_b64 s[2:3], exec, s[4:5]
	s_or_b64 s[0:1], s[2:3], s[0:1]
	s_andn2_b64 exec, exec, s[0:1]
	s_cbranch_execz .LBB72_163
.LBB72_65:                              ; =>This Inner Loop Header: Depth=1
	v_lshlrev_b64 v[2:3], 3, v[0:1]
	v_add_co_u32_e32 v4, vcc, s33, v2
	v_addc_co_u32_e32 v5, vcc, v12, v3, vcc
	global_load_dwordx2 v[4:5], v[4:5], off
	v_add_co_u32_e32 v2, vcc, s14, v2
	v_bfe_u32 v9, v0, 5, 25
	v_addc_co_u32_e32 v3, vcc, v13, v3, vcc
	v_mad_u64_u32 v[6:7], s[2:3], v10, v9, 0
	global_load_dwordx2 v[2:3], v[2:3], off
	v_mov_b32_e32 v8, v7
	v_mad_u64_u32 v[8:9], s[2:3], v11, v9, v[8:9]
	v_mov_b32_e32 v7, v8
	v_lshlrev_b64 v[6:7], 2, v[6:7]
	v_add_co_u32_e32 v6, vcc, s17, v6
	v_addc_co_u32_e32 v7, vcc, v14, v7, vcc
	global_load_dword v7, v[6:7], off
	s_waitcnt vmcnt(2)
	v_lshlrev_b32_e32 v6, 16, v4
	v_mul_f32_e32 v6, v36, v6
	v_bfe_u32 v9, v6, 16, 1
	v_add3_u32 v9, v6, v9, s22
	v_and_b32_e32 v9, 0xffff0000, v9
	v_cmp_o_f32_e32 vcc, v6, v6
	v_cndmask_b32_e32 v6, v15, v9, vcc
	s_waitcnt vmcnt(1)
	v_lshlrev_b32_e32 v8, 16, v2
	v_mul_f32_e32 v6, v6, v8
	v_bfe_u32 v8, v6, 16, 1
	v_add3_u32 v8, v6, v8, s22
	v_and_b32_e32 v8, 0xffff0000, v8
	v_cmp_o_f32_e32 vcc, v6, v6
	v_cndmask_b32_e32 v8, v15, v8, vcc
	v_mov_b32_e32 v6, 0x7f
	s_waitcnt vmcnt(0)
	v_div_scale_f32 v9, s[2:3], v7, v7, v8
	v_rcp_f32_e32 v16, v9
	v_div_scale_f32 v17, vcc, v8, v7, v8
	v_fma_f32 v18, -v9, v16, 1.0
	v_fmac_f32_e32 v16, v18, v16
	v_mul_f32_e32 v18, v17, v16
	v_fma_f32 v19, -v9, v18, v17
	v_fmac_f32_e32 v18, v19, v16
	v_fma_f32 v9, -v9, v18, v17
	v_div_fmas_f32 v9, v9, v16, v18
	v_div_fixup_f32 v8, v9, v7, v8
	v_min_f32_e32 v8, 0x43e00000, v8
	v_max_f32_e32 v9, 0xc3e00000, v8
	v_and_b32_e32 v16, 0x7fffffff, v9
	v_cmp_gt_u32_e32 vcc, s23, v16
	v_mov_b32_e32 v8, 0x7f
	s_and_saveexec_b64 s[2:3], vcc
	s_cbranch_execz .LBB72_71
; %bb.66:                               ;   in Loop: Header=BB72_65 Depth=1
	v_cmp_lt_u32_e32 vcc, s24, v16
                                        ; implicit-def: $vgpr8
	s_and_saveexec_b64 s[4:5], vcc
	s_xor_b64 s[4:5], exec, s[4:5]
; %bb.67:                               ;   in Loop: Header=BB72_65 Depth=1
	v_bfe_u32 v8, v9, 20, 1
	v_add3_u32 v8, v9, v8, s25
	v_lshrrev_b32_e32 v8, 20, v8
; %bb.68:                               ;   in Loop: Header=BB72_65 Depth=1
	s_andn2_saveexec_b64 s[4:5], s[4:5]
; %bb.69:                               ;   in Loop: Header=BB72_65 Depth=1
	v_add_f32_e64 v8, |v9|, s26
; %bb.70:                               ;   in Loop: Header=BB72_65 Depth=1
	s_or_b64 exec, exec, s[4:5]
.LBB72_71:                              ;   in Loop: Header=BB72_65 Depth=1
	s_or_b64 exec, exec, s[2:3]
	v_and_b32_e32 v16, 0xffff0000, v4
	v_mul_f32_e32 v16, v36, v16
	v_bfe_u32 v18, v16, 16, 1
	v_add3_u32 v18, v16, v18, s22
	v_and_b32_e32 v18, 0xffff0000, v18
	v_cmp_o_f32_e32 vcc, v16, v16
	v_and_b32_e32 v17, 0xffff0000, v2
	v_cndmask_b32_e32 v16, v15, v18, vcc
	v_mul_f32_e32 v16, v16, v17
	v_bfe_u32 v17, v16, 16, 1
	v_add3_u32 v17, v16, v17, s22
	v_and_b32_e32 v17, 0xffff0000, v17
	v_cmp_o_f32_e32 vcc, v16, v16
	v_cndmask_b32_e32 v16, v15, v17, vcc
	v_div_scale_f32 v17, s[2:3], v7, v7, v16
	v_rcp_f32_e32 v18, v17
	v_fma_f32 v19, -v17, v18, 1.0
	v_fmac_f32_e32 v18, v19, v18
	v_div_scale_f32 v19, vcc, v16, v7, v16
	v_mul_f32_e32 v20, v19, v18
	v_fma_f32 v21, -v17, v20, v19
	v_fmac_f32_e32 v20, v21, v18
	v_fma_f32 v17, -v17, v20, v19
	v_div_fmas_f32 v17, v17, v18, v20
	v_div_fixup_f32 v16, v17, v7, v16
	v_min_f32_e32 v16, 0x43e00000, v16
	v_max_f32_e32 v16, 0xc3e00000, v16
	v_and_b32_e32 v17, 0x7fffffff, v16
	v_cmp_gt_u32_e32 vcc, s23, v17
	s_and_saveexec_b64 s[2:3], vcc
	s_cbranch_execz .LBB72_77
; %bb.72:                               ;   in Loop: Header=BB72_65 Depth=1
	v_cmp_lt_u32_e32 vcc, s24, v17
                                        ; implicit-def: $vgpr6
	s_and_saveexec_b64 s[4:5], vcc
	s_xor_b64 s[4:5], exec, s[4:5]
; %bb.73:                               ;   in Loop: Header=BB72_65 Depth=1
	v_bfe_u32 v6, v16, 20, 1
	v_add3_u32 v6, v16, v6, s25
	v_lshrrev_b32_e32 v6, 20, v6
; %bb.74:                               ;   in Loop: Header=BB72_65 Depth=1
	s_andn2_saveexec_b64 s[4:5], s[4:5]
; %bb.75:                               ;   in Loop: Header=BB72_65 Depth=1
	v_add_f32_e64 v6, |v16|, s26
; %bb.76:                               ;   in Loop: Header=BB72_65 Depth=1
	s_or_b64 exec, exec, s[4:5]
.LBB72_77:                              ;   in Loop: Header=BB72_65 Depth=1
	s_or_b64 exec, exec, s[2:3]
	v_alignbit_b32 v4, v5, v4, 16
	v_and_b32_e32 v4, 0xffff0000, v4
	v_mul_f32_e32 v4, v36, v4
	v_bfe_u32 v17, v4, 16, 1
	v_add3_u32 v17, v4, v17, s22
	v_and_b32_e32 v17, 0xffff0000, v17
	v_cmp_o_f32_e32 vcc, v4, v4
	v_alignbit_b32 v2, v3, v2, 16
	v_cndmask_b32_e32 v4, v15, v17, vcc
	v_and_b32_e32 v2, 0xffff0000, v2
	v_mul_f32_e32 v2, v4, v2
	v_bfe_u32 v4, v2, 16, 1
	v_add3_u32 v4, v2, v4, s22
	v_and_b32_e32 v4, 0xffff0000, v4
	v_cmp_o_f32_e32 vcc, v2, v2
	v_cndmask_b32_e32 v2, v15, v4, vcc
	v_div_scale_f32 v4, s[2:3], v7, v7, v2
	v_rcp_f32_e32 v17, v4
	v_fma_f32 v18, -v4, v17, 1.0
	v_fmac_f32_e32 v17, v18, v17
	v_div_scale_f32 v18, vcc, v2, v7, v2
	v_mul_f32_e32 v19, v18, v17
	v_fma_f32 v20, -v4, v19, v18
	v_fmac_f32_e32 v19, v20, v17
	v_fma_f32 v4, -v4, v19, v18
	v_div_fmas_f32 v4, v4, v17, v19
	v_div_fixup_f32 v2, v4, v7, v2
	v_min_f32_e32 v2, 0x43e00000, v2
	v_max_f32_e32 v17, 0xc3e00000, v2
	v_and_b32_e32 v18, 0x7fffffff, v17
	v_cmp_gt_u32_e32 vcc, s23, v18
	v_mov_b32_e32 v4, 0x7f
	v_mov_b32_e32 v2, 0x7f
	s_and_saveexec_b64 s[2:3], vcc
	s_cbranch_execz .LBB72_83
; %bb.78:                               ;   in Loop: Header=BB72_65 Depth=1
	v_cmp_lt_u32_e32 vcc, s24, v18
                                        ; implicit-def: $vgpr2
	s_and_saveexec_b64 s[4:5], vcc
	s_xor_b64 s[4:5], exec, s[4:5]
; %bb.79:                               ;   in Loop: Header=BB72_65 Depth=1
	v_bfe_u32 v2, v17, 20, 1
	v_add3_u32 v2, v17, v2, s25
	v_lshrrev_b32_e32 v2, 20, v2
; %bb.80:                               ;   in Loop: Header=BB72_65 Depth=1
	s_andn2_saveexec_b64 s[4:5], s[4:5]
; %bb.81:                               ;   in Loop: Header=BB72_65 Depth=1
	v_add_f32_e64 v2, |v17|, s26
; %bb.82:                               ;   in Loop: Header=BB72_65 Depth=1
	s_or_b64 exec, exec, s[4:5]
.LBB72_83:                              ;   in Loop: Header=BB72_65 Depth=1
	s_or_b64 exec, exec, s[2:3]
	v_and_b32_e32 v5, 0xffff0000, v5
	v_mul_f32_e32 v5, v36, v5
	v_bfe_u32 v18, v5, 16, 1
	v_add3_u32 v18, v5, v18, s22
	v_and_b32_e32 v18, 0xffff0000, v18
	v_cmp_o_f32_e32 vcc, v5, v5
	v_cndmask_b32_e32 v5, v15, v18, vcc
	v_and_b32_e32 v3, 0xffff0000, v3
	v_mul_f32_e32 v3, v5, v3
	v_bfe_u32 v5, v3, 16, 1
	v_add3_u32 v5, v3, v5, s22
	v_and_b32_e32 v5, 0xffff0000, v5
	v_cmp_o_f32_e32 vcc, v3, v3
	v_cndmask_b32_e32 v3, v15, v5, vcc
	v_div_scale_f32 v5, s[2:3], v7, v7, v3
	v_rcp_f32_e32 v18, v5
	v_fma_f32 v19, -v5, v18, 1.0
	v_fmac_f32_e32 v18, v19, v18
	v_div_scale_f32 v19, vcc, v3, v7, v3
	v_mul_f32_e32 v20, v19, v18
	v_fma_f32 v21, -v5, v20, v19
	v_fmac_f32_e32 v20, v21, v18
	v_fma_f32 v5, -v5, v20, v19
	v_div_fmas_f32 v5, v5, v18, v20
	v_div_fixup_f32 v3, v5, v7, v3
	v_min_f32_e32 v3, 0x43e00000, v3
	v_max_f32_e32 v3, 0xc3e00000, v3
	v_and_b32_e32 v5, 0x7fffffff, v3
	v_cmp_gt_u32_e32 vcc, s23, v5
	s_and_saveexec_b64 s[2:3], vcc
	s_cbranch_execz .LBB72_89
; %bb.84:                               ;   in Loop: Header=BB72_65 Depth=1
	v_cmp_lt_u32_e32 vcc, s24, v5
                                        ; implicit-def: $vgpr4
	s_and_saveexec_b64 s[4:5], vcc
	s_xor_b64 s[4:5], exec, s[4:5]
; %bb.85:                               ;   in Loop: Header=BB72_65 Depth=1
	v_bfe_u32 v4, v3, 20, 1
	v_add3_u32 v4, v3, v4, s25
	v_lshrrev_b32_e32 v4, 20, v4
; %bb.86:                               ;   in Loop: Header=BB72_65 Depth=1
	s_andn2_saveexec_b64 s[4:5], s[4:5]
; %bb.87:                               ;   in Loop: Header=BB72_65 Depth=1
	v_add_f32_e64 v4, |v3|, s26
; %bb.88:                               ;   in Loop: Header=BB72_65 Depth=1
	s_or_b64 exec, exec, s[4:5]
.LBB72_89:                              ;   in Loop: Header=BB72_65 Depth=1
	s_or_b64 exec, exec, s[2:3]
	v_and_b32_sdwa v5, v17, s27 dst_sel:DWORD dst_unused:UNUSED_PAD src0_sel:BYTE_3 src1_sel:DWORD
	v_and_or_b32 v2, v2, s28, v5
	v_and_b32_sdwa v7, v16, s27 dst_sel:DWORD dst_unused:UNUSED_PAD src0_sel:BYTE_3 src1_sel:DWORD
	v_lshlrev_b32_e32 v4, 24, v4
	v_and_b32_e32 v3, 0x80000000, v3
	v_lshlrev_b32_e32 v2, 16, v2
	v_lshrrev_b32_e32 v9, 24, v9
	v_lshlrev_b64 v[16:17], 2, v[0:1]
	v_or3_b32 v2, v3, v4, v2
	v_and_or_b32 v3, v6, s28, v7
	v_and_b32_e32 v4, 0xff, v8
	v_mov_b32_e32 v18, s13
	v_add_co_u32_e32 v16, vcc, s12, v16
	v_lshlrev_b32_e32 v3, 8, v3
	v_and_or_b32 v4, v9, s27, v4
	v_addc_co_u32_e32 v17, vcc, v18, v17, vcc
	v_or3_b32 v2, v2, v3, v4
	global_store_dword v[16:17], v2, off
	v_add_u32_e32 v2, s16, v0
	v_cmp_gt_u32_e32 vcc, s18, v2
	s_mov_b64 s[4:5], -1
	s_and_saveexec_b64 s[2:3], vcc
	s_cbranch_execz .LBB72_64
; %bb.90:                               ;   in Loop: Header=BB72_65 Depth=1
	v_mov_b32_e32 v3, v1
	v_lshlrev_b64 v[6:7], 3, v[2:3]
	v_mov_b32_e32 v5, s42
	v_add_co_u32_e32 v4, vcc, s33, v6
	v_addc_co_u32_e32 v5, vcc, v5, v7, vcc
	global_load_dwordx2 v[4:5], v[4:5], off
	v_mov_b32_e32 v8, s15
	v_add_co_u32_e32 v6, vcc, s14, v6
	v_bfe_u32 v17, v2, 5, 25
	v_addc_co_u32_e32 v7, vcc, v8, v7, vcc
	v_mad_u64_u32 v[8:9], s[4:5], v10, v17, 0
	global_load_dwordx2 v[6:7], v[6:7], off
	v_mov_b32_e32 v16, v9
	v_mad_u64_u32 v[16:17], s[4:5], v11, v17, v[16:17]
	v_mov_b32_e32 v9, v16
	v_lshlrev_b64 v[8:9], 2, v[8:9]
	v_mov_b32_e32 v16, s19
	v_add_co_u32_e32 v8, vcc, s17, v8
	v_addc_co_u32_e32 v9, vcc, v16, v9, vcc
	global_load_dword v9, v[8:9], off
	s_waitcnt vmcnt(2)
	v_lshlrev_b32_e32 v8, 16, v4
	v_mul_f32_e32 v8, v36, v8
	v_bfe_u32 v17, v8, 16, 1
	v_add3_u32 v17, v8, v17, s22
	v_and_b32_e32 v17, 0xffff0000, v17
	v_cmp_o_f32_e32 vcc, v8, v8
	v_cndmask_b32_e32 v8, v15, v17, vcc
	s_waitcnt vmcnt(1)
	v_lshlrev_b32_e32 v16, 16, v6
	v_mul_f32_e32 v8, v8, v16
	v_bfe_u32 v16, v8, 16, 1
	v_add3_u32 v16, v8, v16, s22
	v_and_b32_e32 v16, 0xffff0000, v16
	v_cmp_o_f32_e32 vcc, v8, v8
	v_cndmask_b32_e32 v16, v15, v16, vcc
	v_mov_b32_e32 v8, 0x7f
	s_waitcnt vmcnt(0)
	v_div_scale_f32 v17, s[4:5], v9, v9, v16
	v_rcp_f32_e32 v18, v17
	v_div_scale_f32 v19, vcc, v16, v9, v16
	v_fma_f32 v20, -v17, v18, 1.0
	v_fmac_f32_e32 v18, v20, v18
	v_mul_f32_e32 v20, v19, v18
	v_fma_f32 v21, -v17, v20, v19
	v_fmac_f32_e32 v20, v21, v18
	v_fma_f32 v17, -v17, v20, v19
	v_div_fmas_f32 v17, v17, v18, v20
	v_div_fixup_f32 v16, v17, v9, v16
	v_min_f32_e32 v16, 0x43e00000, v16
	v_max_f32_e32 v17, 0xc3e00000, v16
	v_and_b32_e32 v18, 0x7fffffff, v17
	v_cmp_gt_u32_e32 vcc, s23, v18
	v_mov_b32_e32 v16, 0x7f
	s_and_saveexec_b64 s[4:5], vcc
	s_cbranch_execz .LBB72_96
; %bb.91:                               ;   in Loop: Header=BB72_65 Depth=1
	v_cmp_lt_u32_e32 vcc, s24, v18
                                        ; implicit-def: $vgpr16
	s_and_saveexec_b64 s[6:7], vcc
	s_xor_b64 s[6:7], exec, s[6:7]
; %bb.92:                               ;   in Loop: Header=BB72_65 Depth=1
	v_bfe_u32 v16, v17, 20, 1
	v_add3_u32 v16, v17, v16, s25
	v_lshrrev_b32_e32 v16, 20, v16
; %bb.93:                               ;   in Loop: Header=BB72_65 Depth=1
	s_andn2_saveexec_b64 s[6:7], s[6:7]
; %bb.94:                               ;   in Loop: Header=BB72_65 Depth=1
	v_add_f32_e64 v16, |v17|, s26
; %bb.95:                               ;   in Loop: Header=BB72_65 Depth=1
	s_or_b64 exec, exec, s[6:7]
.LBB72_96:                              ;   in Loop: Header=BB72_65 Depth=1
	s_or_b64 exec, exec, s[4:5]
	v_and_b32_e32 v18, 0xffff0000, v4
	v_mul_f32_e32 v18, v36, v18
	v_bfe_u32 v20, v18, 16, 1
	v_add3_u32 v20, v18, v20, s22
	v_and_b32_e32 v20, 0xffff0000, v20
	v_cmp_o_f32_e32 vcc, v18, v18
	v_and_b32_e32 v19, 0xffff0000, v6
	v_cndmask_b32_e32 v18, v15, v20, vcc
	v_mul_f32_e32 v18, v18, v19
	v_bfe_u32 v19, v18, 16, 1
	v_add3_u32 v19, v18, v19, s22
	v_and_b32_e32 v19, 0xffff0000, v19
	v_cmp_o_f32_e32 vcc, v18, v18
	v_cndmask_b32_e32 v18, v15, v19, vcc
	v_div_scale_f32 v19, s[4:5], v9, v9, v18
	v_rcp_f32_e32 v20, v19
	v_fma_f32 v21, -v19, v20, 1.0
	v_fmac_f32_e32 v20, v21, v20
	v_div_scale_f32 v21, vcc, v18, v9, v18
	v_mul_f32_e32 v22, v21, v20
	v_fma_f32 v23, -v19, v22, v21
	v_fmac_f32_e32 v22, v23, v20
	v_fma_f32 v19, -v19, v22, v21
	v_div_fmas_f32 v19, v19, v20, v22
	v_div_fixup_f32 v18, v19, v9, v18
	v_min_f32_e32 v18, 0x43e00000, v18
	v_max_f32_e32 v18, 0xc3e00000, v18
	v_and_b32_e32 v19, 0x7fffffff, v18
	v_cmp_gt_u32_e32 vcc, s23, v19
	s_and_saveexec_b64 s[4:5], vcc
	s_cbranch_execz .LBB72_102
; %bb.97:                               ;   in Loop: Header=BB72_65 Depth=1
	v_cmp_lt_u32_e32 vcc, s24, v19
                                        ; implicit-def: $vgpr8
	s_and_saveexec_b64 s[6:7], vcc
	s_xor_b64 s[6:7], exec, s[6:7]
; %bb.98:                               ;   in Loop: Header=BB72_65 Depth=1
	v_bfe_u32 v8, v18, 20, 1
	v_add3_u32 v8, v18, v8, s25
	v_lshrrev_b32_e32 v8, 20, v8
; %bb.99:                               ;   in Loop: Header=BB72_65 Depth=1
	s_andn2_saveexec_b64 s[6:7], s[6:7]
; %bb.100:                              ;   in Loop: Header=BB72_65 Depth=1
	v_add_f32_e64 v8, |v18|, s26
; %bb.101:                              ;   in Loop: Header=BB72_65 Depth=1
	s_or_b64 exec, exec, s[6:7]
.LBB72_102:                             ;   in Loop: Header=BB72_65 Depth=1
	s_or_b64 exec, exec, s[4:5]
	v_alignbit_b32 v4, v5, v4, 16
	v_and_b32_e32 v4, 0xffff0000, v4
	v_mul_f32_e32 v4, v36, v4
	v_bfe_u32 v19, v4, 16, 1
	v_add3_u32 v19, v4, v19, s22
	v_and_b32_e32 v19, 0xffff0000, v19
	v_cmp_o_f32_e32 vcc, v4, v4
	v_alignbit_b32 v6, v7, v6, 16
	v_cndmask_b32_e32 v4, v15, v19, vcc
	v_and_b32_e32 v6, 0xffff0000, v6
	v_mul_f32_e32 v4, v4, v6
	v_bfe_u32 v6, v4, 16, 1
	v_add3_u32 v6, v4, v6, s22
	v_and_b32_e32 v6, 0xffff0000, v6
	v_cmp_o_f32_e32 vcc, v4, v4
	v_cndmask_b32_e32 v4, v15, v6, vcc
	v_div_scale_f32 v6, s[4:5], v9, v9, v4
	v_rcp_f32_e32 v19, v6
	v_fma_f32 v20, -v6, v19, 1.0
	v_fmac_f32_e32 v19, v20, v19
	v_div_scale_f32 v20, vcc, v4, v9, v4
	v_mul_f32_e32 v21, v20, v19
	v_fma_f32 v22, -v6, v21, v20
	v_fmac_f32_e32 v21, v22, v19
	v_fma_f32 v6, -v6, v21, v20
	v_div_fmas_f32 v6, v6, v19, v21
	v_div_fixup_f32 v4, v6, v9, v4
	v_min_f32_e32 v4, 0x43e00000, v4
	v_max_f32_e32 v19, 0xc3e00000, v4
	v_and_b32_e32 v20, 0x7fffffff, v19
	v_cmp_gt_u32_e32 vcc, s23, v20
	v_mov_b32_e32 v6, 0x7f
	v_mov_b32_e32 v4, 0x7f
	s_and_saveexec_b64 s[4:5], vcc
	s_cbranch_execz .LBB72_108
; %bb.103:                              ;   in Loop: Header=BB72_65 Depth=1
	v_cmp_lt_u32_e32 vcc, s24, v20
                                        ; implicit-def: $vgpr4
	s_and_saveexec_b64 s[6:7], vcc
	s_xor_b64 s[6:7], exec, s[6:7]
; %bb.104:                              ;   in Loop: Header=BB72_65 Depth=1
	v_bfe_u32 v4, v19, 20, 1
	v_add3_u32 v4, v19, v4, s25
	v_lshrrev_b32_e32 v4, 20, v4
; %bb.105:                              ;   in Loop: Header=BB72_65 Depth=1
	s_andn2_saveexec_b64 s[6:7], s[6:7]
; %bb.106:                              ;   in Loop: Header=BB72_65 Depth=1
	v_add_f32_e64 v4, |v19|, s26
; %bb.107:                              ;   in Loop: Header=BB72_65 Depth=1
	s_or_b64 exec, exec, s[6:7]
.LBB72_108:                             ;   in Loop: Header=BB72_65 Depth=1
	s_or_b64 exec, exec, s[4:5]
	v_and_b32_e32 v5, 0xffff0000, v5
	v_mul_f32_e32 v5, v36, v5
	v_bfe_u32 v20, v5, 16, 1
	v_add3_u32 v20, v5, v20, s22
	v_and_b32_e32 v20, 0xffff0000, v20
	v_cmp_o_f32_e32 vcc, v5, v5
	v_cndmask_b32_e32 v5, v15, v20, vcc
	v_and_b32_e32 v7, 0xffff0000, v7
	v_mul_f32_e32 v5, v5, v7
	v_bfe_u32 v7, v5, 16, 1
	v_add3_u32 v7, v5, v7, s22
	v_and_b32_e32 v7, 0xffff0000, v7
	v_cmp_o_f32_e32 vcc, v5, v5
	v_cndmask_b32_e32 v5, v15, v7, vcc
	v_div_scale_f32 v7, s[4:5], v9, v9, v5
	v_rcp_f32_e32 v20, v7
	v_fma_f32 v21, -v7, v20, 1.0
	v_fmac_f32_e32 v20, v21, v20
	v_div_scale_f32 v21, vcc, v5, v9, v5
	v_mul_f32_e32 v22, v21, v20
	v_fma_f32 v23, -v7, v22, v21
	v_fmac_f32_e32 v22, v23, v20
	v_fma_f32 v7, -v7, v22, v21
	v_div_fmas_f32 v7, v7, v20, v22
	v_div_fixup_f32 v5, v7, v9, v5
	v_min_f32_e32 v5, 0x43e00000, v5
	v_max_f32_e32 v5, 0xc3e00000, v5
	v_and_b32_e32 v7, 0x7fffffff, v5
	v_cmp_gt_u32_e32 vcc, s23, v7
	s_and_saveexec_b64 s[4:5], vcc
	s_cbranch_execz .LBB72_114
; %bb.109:                              ;   in Loop: Header=BB72_65 Depth=1
	v_cmp_lt_u32_e32 vcc, s24, v7
                                        ; implicit-def: $vgpr6
	s_and_saveexec_b64 s[6:7], vcc
	s_xor_b64 s[6:7], exec, s[6:7]
; %bb.110:                              ;   in Loop: Header=BB72_65 Depth=1
	v_bfe_u32 v6, v5, 20, 1
	v_add3_u32 v6, v5, v6, s25
	v_lshrrev_b32_e32 v6, 20, v6
; %bb.111:                              ;   in Loop: Header=BB72_65 Depth=1
	s_andn2_saveexec_b64 s[6:7], s[6:7]
; %bb.112:                              ;   in Loop: Header=BB72_65 Depth=1
	v_add_f32_e64 v6, |v5|, s26
; %bb.113:                              ;   in Loop: Header=BB72_65 Depth=1
	s_or_b64 exec, exec, s[6:7]
.LBB72_114:                             ;   in Loop: Header=BB72_65 Depth=1
	s_or_b64 exec, exec, s[4:5]
	v_and_b32_sdwa v7, v19, s27 dst_sel:DWORD dst_unused:UNUSED_PAD src0_sel:BYTE_3 src1_sel:DWORD
	v_and_b32_sdwa v9, v18, s27 dst_sel:DWORD dst_unused:UNUSED_PAD src0_sel:BYTE_3 src1_sel:DWORD
	v_lshlrev_b64 v[18:19], 2, v[2:3]
	v_mov_b32_e32 v3, s13
	v_add_co_u32_e32 v18, vcc, s12, v18
	v_and_or_b32 v4, v4, s28, v7
	v_addc_co_u32_e32 v19, vcc, v3, v19, vcc
	v_lshlrev_b32_e32 v3, 24, v6
	v_and_b32_e32 v5, 0x80000000, v5
	v_lshlrev_b32_e32 v4, 16, v4
	v_lshrrev_b32_e32 v17, 24, v17
	v_or3_b32 v3, v5, v3, v4
	v_and_or_b32 v4, v8, s28, v9
	v_and_b32_e32 v5, 0xff, v16
	v_lshlrev_b32_e32 v4, 8, v4
	v_and_or_b32 v5, v17, s27, v5
	v_or3_b32 v3, v3, v4, v5
	v_add_u32_e32 v4, s21, v0
	v_cmp_gt_u32_e32 vcc, s18, v4
	s_mov_b64 s[6:7], -1
	global_store_dword v[18:19], v3, off
	s_and_saveexec_b64 s[4:5], vcc
	s_cbranch_execz .LBB72_63
; %bb.115:                              ;   in Loop: Header=BB72_65 Depth=1
	v_mov_b32_e32 v5, v1
	v_lshlrev_b64 v[8:9], 3, v[4:5]
	v_mov_b32_e32 v3, s42
	v_add_co_u32_e32 v6, vcc, s33, v8
	v_addc_co_u32_e32 v7, vcc, v3, v9, vcc
	global_load_dwordx2 v[6:7], v[6:7], off
	v_mov_b32_e32 v3, s15
	v_add_co_u32_e32 v8, vcc, s14, v8
	v_addc_co_u32_e32 v9, vcc, v3, v9, vcc
	v_bfe_u32 v3, v4, 5, 25
	v_mad_u64_u32 v[16:17], s[6:7], v10, v3, 0
	global_load_dwordx2 v[8:9], v[8:9], off
	v_mov_b32_e32 v18, v17
	v_mad_u64_u32 v[18:19], s[6:7], v11, v3, v[18:19]
	v_mov_b32_e32 v17, v18
	v_lshlrev_b64 v[16:17], 2, v[16:17]
	v_mov_b32_e32 v3, s19
	v_add_co_u32_e32 v16, vcc, s17, v16
	v_addc_co_u32_e32 v17, vcc, v3, v17, vcc
	global_load_dword v16, v[16:17], off
	s_waitcnt vmcnt(2)
	v_lshlrev_b32_e32 v3, 16, v6
	v_mul_f32_e32 v3, v36, v3
	v_bfe_u32 v18, v3, 16, 1
	v_add3_u32 v18, v3, v18, s22
	v_and_b32_e32 v18, 0xffff0000, v18
	v_cmp_o_f32_e32 vcc, v3, v3
	v_cndmask_b32_e32 v3, v15, v18, vcc
	s_waitcnt vmcnt(1)
	v_lshlrev_b32_e32 v17, 16, v8
	v_mul_f32_e32 v3, v3, v17
	v_bfe_u32 v17, v3, 16, 1
	v_add3_u32 v17, v3, v17, s22
	v_and_b32_e32 v17, 0xffff0000, v17
	v_cmp_o_f32_e32 vcc, v3, v3
	v_cndmask_b32_e32 v17, v15, v17, vcc
	v_mov_b32_e32 v3, 0x7f
	s_waitcnt vmcnt(0)
	v_div_scale_f32 v18, s[6:7], v16, v16, v17
	v_rcp_f32_e32 v19, v18
	v_div_scale_f32 v20, vcc, v17, v16, v17
	v_fma_f32 v21, -v18, v19, 1.0
	v_fmac_f32_e32 v19, v21, v19
	v_mul_f32_e32 v21, v20, v19
	v_fma_f32 v22, -v18, v21, v20
	v_fmac_f32_e32 v21, v22, v19
	v_fma_f32 v18, -v18, v21, v20
	v_div_fmas_f32 v18, v18, v19, v21
	v_div_fixup_f32 v17, v18, v16, v17
	v_min_f32_e32 v17, 0x43e00000, v17
	v_max_f32_e32 v18, 0xc3e00000, v17
	v_and_b32_e32 v19, 0x7fffffff, v18
	v_cmp_gt_u32_e32 vcc, s23, v19
	v_mov_b32_e32 v17, 0x7f
	s_and_saveexec_b64 s[6:7], vcc
	s_cbranch_execz .LBB72_121
; %bb.116:                              ;   in Loop: Header=BB72_65 Depth=1
	v_cmp_lt_u32_e32 vcc, s24, v19
                                        ; implicit-def: $vgpr17
	s_and_saveexec_b64 s[8:9], vcc
	s_xor_b64 s[8:9], exec, s[8:9]
; %bb.117:                              ;   in Loop: Header=BB72_65 Depth=1
	v_bfe_u32 v17, v18, 20, 1
	v_add3_u32 v17, v18, v17, s25
	v_lshrrev_b32_e32 v17, 20, v17
; %bb.118:                              ;   in Loop: Header=BB72_65 Depth=1
	s_andn2_saveexec_b64 s[8:9], s[8:9]
; %bb.119:                              ;   in Loop: Header=BB72_65 Depth=1
	v_add_f32_e64 v17, |v18|, s26
; %bb.120:                              ;   in Loop: Header=BB72_65 Depth=1
	s_or_b64 exec, exec, s[8:9]
.LBB72_121:                             ;   in Loop: Header=BB72_65 Depth=1
	s_or_b64 exec, exec, s[6:7]
	v_and_b32_e32 v19, 0xffff0000, v6
	v_mul_f32_e32 v19, v36, v19
	v_bfe_u32 v21, v19, 16, 1
	v_add3_u32 v21, v19, v21, s22
	v_and_b32_e32 v21, 0xffff0000, v21
	v_cmp_o_f32_e32 vcc, v19, v19
	v_and_b32_e32 v20, 0xffff0000, v8
	v_cndmask_b32_e32 v19, v15, v21, vcc
	v_mul_f32_e32 v19, v19, v20
	v_bfe_u32 v20, v19, 16, 1
	v_add3_u32 v20, v19, v20, s22
	v_and_b32_e32 v20, 0xffff0000, v20
	v_cmp_o_f32_e32 vcc, v19, v19
	v_cndmask_b32_e32 v19, v15, v20, vcc
	v_div_scale_f32 v20, s[6:7], v16, v16, v19
	v_rcp_f32_e32 v21, v20
	v_fma_f32 v22, -v20, v21, 1.0
	v_fmac_f32_e32 v21, v22, v21
	v_div_scale_f32 v22, vcc, v19, v16, v19
	v_mul_f32_e32 v23, v22, v21
	v_fma_f32 v24, -v20, v23, v22
	v_fmac_f32_e32 v23, v24, v21
	v_fma_f32 v20, -v20, v23, v22
	v_div_fmas_f32 v20, v20, v21, v23
	v_div_fixup_f32 v19, v20, v16, v19
	v_min_f32_e32 v19, 0x43e00000, v19
	v_max_f32_e32 v19, 0xc3e00000, v19
	v_and_b32_e32 v20, 0x7fffffff, v19
	v_cmp_gt_u32_e32 vcc, s23, v20
	s_and_saveexec_b64 s[6:7], vcc
	s_cbranch_execz .LBB72_127
; %bb.122:                              ;   in Loop: Header=BB72_65 Depth=1
	v_cmp_lt_u32_e32 vcc, s24, v20
                                        ; implicit-def: $vgpr3
	s_and_saveexec_b64 s[8:9], vcc
	s_xor_b64 s[8:9], exec, s[8:9]
; %bb.123:                              ;   in Loop: Header=BB72_65 Depth=1
	v_bfe_u32 v3, v19, 20, 1
	v_add3_u32 v3, v19, v3, s25
	v_lshrrev_b32_e32 v3, 20, v3
; %bb.124:                              ;   in Loop: Header=BB72_65 Depth=1
	s_andn2_saveexec_b64 s[8:9], s[8:9]
; %bb.125:                              ;   in Loop: Header=BB72_65 Depth=1
	v_add_f32_e64 v3, |v19|, s26
; %bb.126:                              ;   in Loop: Header=BB72_65 Depth=1
	s_or_b64 exec, exec, s[8:9]
.LBB72_127:                             ;   in Loop: Header=BB72_65 Depth=1
	s_or_b64 exec, exec, s[6:7]
	v_alignbit_b32 v6, v7, v6, 16
	v_and_b32_e32 v6, 0xffff0000, v6
	v_mul_f32_e32 v6, v36, v6
	v_bfe_u32 v20, v6, 16, 1
	v_add3_u32 v20, v6, v20, s22
	v_and_b32_e32 v20, 0xffff0000, v20
	v_cmp_o_f32_e32 vcc, v6, v6
	v_alignbit_b32 v8, v9, v8, 16
	v_cndmask_b32_e32 v6, v15, v20, vcc
	v_and_b32_e32 v8, 0xffff0000, v8
	v_mul_f32_e32 v6, v6, v8
	v_bfe_u32 v8, v6, 16, 1
	v_add3_u32 v8, v6, v8, s22
	v_and_b32_e32 v8, 0xffff0000, v8
	v_cmp_o_f32_e32 vcc, v6, v6
	v_cndmask_b32_e32 v6, v15, v8, vcc
	v_div_scale_f32 v8, s[6:7], v16, v16, v6
	v_rcp_f32_e32 v20, v8
	v_fma_f32 v21, -v8, v20, 1.0
	v_fmac_f32_e32 v20, v21, v20
	v_div_scale_f32 v21, vcc, v6, v16, v6
	v_mul_f32_e32 v22, v21, v20
	v_fma_f32 v23, -v8, v22, v21
	v_fmac_f32_e32 v22, v23, v20
	v_fma_f32 v8, -v8, v22, v21
	v_div_fmas_f32 v8, v8, v20, v22
	v_div_fixup_f32 v6, v8, v16, v6
	v_min_f32_e32 v6, 0x43e00000, v6
	v_max_f32_e32 v20, 0xc3e00000, v6
	v_and_b32_e32 v21, 0x7fffffff, v20
	v_cmp_gt_u32_e32 vcc, s23, v21
	v_mov_b32_e32 v8, 0x7f
	v_mov_b32_e32 v6, 0x7f
	s_and_saveexec_b64 s[6:7], vcc
	s_cbranch_execz .LBB72_133
; %bb.128:                              ;   in Loop: Header=BB72_65 Depth=1
	v_cmp_lt_u32_e32 vcc, s24, v21
                                        ; implicit-def: $vgpr6
	s_and_saveexec_b64 s[8:9], vcc
	s_xor_b64 s[8:9], exec, s[8:9]
; %bb.129:                              ;   in Loop: Header=BB72_65 Depth=1
	v_bfe_u32 v6, v20, 20, 1
	v_add3_u32 v6, v20, v6, s25
	v_lshrrev_b32_e32 v6, 20, v6
; %bb.130:                              ;   in Loop: Header=BB72_65 Depth=1
	s_andn2_saveexec_b64 s[8:9], s[8:9]
; %bb.131:                              ;   in Loop: Header=BB72_65 Depth=1
	v_add_f32_e64 v6, |v20|, s26
; %bb.132:                              ;   in Loop: Header=BB72_65 Depth=1
	s_or_b64 exec, exec, s[8:9]
.LBB72_133:                             ;   in Loop: Header=BB72_65 Depth=1
	s_or_b64 exec, exec, s[6:7]
	v_and_b32_e32 v7, 0xffff0000, v7
	v_mul_f32_e32 v7, v36, v7
	v_bfe_u32 v21, v7, 16, 1
	v_add3_u32 v21, v7, v21, s22
	v_and_b32_e32 v21, 0xffff0000, v21
	v_cmp_o_f32_e32 vcc, v7, v7
	v_cndmask_b32_e32 v7, v15, v21, vcc
	v_and_b32_e32 v9, 0xffff0000, v9
	v_mul_f32_e32 v7, v7, v9
	v_bfe_u32 v9, v7, 16, 1
	v_add3_u32 v9, v7, v9, s22
	v_and_b32_e32 v9, 0xffff0000, v9
	v_cmp_o_f32_e32 vcc, v7, v7
	v_cndmask_b32_e32 v7, v15, v9, vcc
	v_div_scale_f32 v9, s[6:7], v16, v16, v7
	v_rcp_f32_e32 v21, v9
	v_fma_f32 v22, -v9, v21, 1.0
	v_fmac_f32_e32 v21, v22, v21
	v_div_scale_f32 v22, vcc, v7, v16, v7
	v_mul_f32_e32 v23, v22, v21
	v_fma_f32 v24, -v9, v23, v22
	v_fmac_f32_e32 v23, v24, v21
	v_fma_f32 v9, -v9, v23, v22
	v_div_fmas_f32 v9, v9, v21, v23
	v_div_fixup_f32 v7, v9, v16, v7
	v_min_f32_e32 v7, 0x43e00000, v7
	v_max_f32_e32 v7, 0xc3e00000, v7
	v_and_b32_e32 v9, 0x7fffffff, v7
	v_cmp_gt_u32_e32 vcc, s23, v9
	s_and_saveexec_b64 s[6:7], vcc
	s_cbranch_execz .LBB72_139
; %bb.134:                              ;   in Loop: Header=BB72_65 Depth=1
	v_cmp_lt_u32_e32 vcc, s24, v9
                                        ; implicit-def: $vgpr8
	s_and_saveexec_b64 s[8:9], vcc
	s_xor_b64 s[8:9], exec, s[8:9]
; %bb.135:                              ;   in Loop: Header=BB72_65 Depth=1
	v_bfe_u32 v8, v7, 20, 1
	v_add3_u32 v8, v7, v8, s25
	v_lshrrev_b32_e32 v8, 20, v8
; %bb.136:                              ;   in Loop: Header=BB72_65 Depth=1
	s_andn2_saveexec_b64 s[8:9], s[8:9]
; %bb.137:                              ;   in Loop: Header=BB72_65 Depth=1
	v_add_f32_e64 v8, |v7|, s26
; %bb.138:                              ;   in Loop: Header=BB72_65 Depth=1
	s_or_b64 exec, exec, s[8:9]
.LBB72_139:                             ;   in Loop: Header=BB72_65 Depth=1
	s_or_b64 exec, exec, s[6:7]
	v_and_b32_sdwa v9, v20, s27 dst_sel:DWORD dst_unused:UNUSED_PAD src0_sel:BYTE_3 src1_sel:DWORD
	v_and_or_b32 v6, v6, s28, v9
	v_and_b32_sdwa v16, v19, s27 dst_sel:DWORD dst_unused:UNUSED_PAD src0_sel:BYTE_3 src1_sel:DWORD
	v_lshlrev_b64 v[4:5], 2, v[4:5]
	v_lshlrev_b32_e32 v8, 24, v8
	v_and_b32_e32 v7, 0x80000000, v7
	v_lshlrev_b32_e32 v6, 16, v6
	v_lshrrev_b32_e32 v18, 24, v18
	v_mov_b32_e32 v19, s13
	v_add_co_u32_e32 v4, vcc, s12, v4
	v_or3_b32 v6, v7, v8, v6
	v_and_or_b32 v3, v3, s28, v16
	v_and_b32_e32 v7, 0xff, v17
	v_addc_co_u32_e32 v5, vcc, v19, v5, vcc
	v_lshlrev_b32_e32 v3, 8, v3
	v_and_or_b32 v7, v18, s27, v7
	v_add_u32_e32 v0, s20, v0
	v_or3_b32 v3, v6, v3, v7
	v_cmp_gt_u32_e32 vcc, s18, v0
	s_mov_b64 s[8:9], -1
	global_store_dword v[4:5], v3, off
	s_and_saveexec_b64 s[6:7], vcc
	s_cbranch_execz .LBB72_62
; %bb.140:                              ;   in Loop: Header=BB72_65 Depth=1
	v_lshlrev_b64 v[6:7], 3, v[0:1]
	v_mov_b32_e32 v3, s42
	v_add_co_u32_e32 v4, vcc, s33, v6
	v_addc_co_u32_e32 v5, vcc, v3, v7, vcc
	global_load_dwordx2 v[4:5], v[4:5], off
	v_mov_b32_e32 v3, s15
	v_add_co_u32_e32 v6, vcc, s14, v6
	v_addc_co_u32_e32 v7, vcc, v3, v7, vcc
	v_bfe_u32 v3, v0, 5, 25
	v_mad_u64_u32 v[8:9], s[8:9], v10, v3, 0
	global_load_dwordx2 v[6:7], v[6:7], off
	v_mov_b32_e32 v16, v9
	v_mad_u64_u32 v[16:17], s[8:9], v11, v3, v[16:17]
	v_mov_b32_e32 v9, v16
	v_lshlrev_b64 v[8:9], 2, v[8:9]
	v_mov_b32_e32 v3, s19
	v_add_co_u32_e32 v8, vcc, s17, v8
	v_addc_co_u32_e32 v9, vcc, v3, v9, vcc
	global_load_dword v8, v[8:9], off
	s_waitcnt vmcnt(2)
	v_lshlrev_b32_e32 v3, 16, v4
	v_mul_f32_e32 v3, v36, v3
	v_bfe_u32 v16, v3, 16, 1
	v_add3_u32 v16, v3, v16, s22
	v_and_b32_e32 v16, 0xffff0000, v16
	v_cmp_o_f32_e32 vcc, v3, v3
	v_cndmask_b32_e32 v3, v15, v16, vcc
	s_waitcnt vmcnt(1)
	v_lshlrev_b32_e32 v9, 16, v6
	v_mul_f32_e32 v3, v3, v9
	v_bfe_u32 v9, v3, 16, 1
	v_add3_u32 v9, v3, v9, s22
	v_and_b32_e32 v9, 0xffff0000, v9
	v_cmp_o_f32_e32 vcc, v3, v3
	v_cndmask_b32_e32 v9, v15, v9, vcc
	v_mov_b32_e32 v3, 0x7f
	s_waitcnt vmcnt(0)
	v_div_scale_f32 v16, s[8:9], v8, v8, v9
	v_rcp_f32_e32 v17, v16
	v_div_scale_f32 v18, vcc, v9, v8, v9
	v_fma_f32 v19, -v16, v17, 1.0
	v_fmac_f32_e32 v17, v19, v17
	v_mul_f32_e32 v19, v18, v17
	v_fma_f32 v20, -v16, v19, v18
	v_fmac_f32_e32 v19, v20, v17
	v_fma_f32 v16, -v16, v19, v18
	v_div_fmas_f32 v16, v16, v17, v19
	v_div_fixup_f32 v9, v16, v8, v9
	v_min_f32_e32 v9, 0x43e00000, v9
	v_max_f32_e32 v16, 0xc3e00000, v9
	v_and_b32_e32 v17, 0x7fffffff, v16
	v_cmp_gt_u32_e32 vcc, s23, v17
	v_mov_b32_e32 v9, 0x7f
	s_and_saveexec_b64 s[8:9], vcc
	s_cbranch_execz .LBB72_146
; %bb.141:                              ;   in Loop: Header=BB72_65 Depth=1
	v_cmp_lt_u32_e32 vcc, s24, v17
                                        ; implicit-def: $vgpr9
	s_and_saveexec_b64 s[10:11], vcc
	s_xor_b64 s[10:11], exec, s[10:11]
; %bb.142:                              ;   in Loop: Header=BB72_65 Depth=1
	v_bfe_u32 v9, v16, 20, 1
	v_add3_u32 v9, v16, v9, s25
	v_lshrrev_b32_e32 v9, 20, v9
; %bb.143:                              ;   in Loop: Header=BB72_65 Depth=1
	s_andn2_saveexec_b64 s[10:11], s[10:11]
; %bb.144:                              ;   in Loop: Header=BB72_65 Depth=1
	v_add_f32_e64 v9, |v16|, s26
; %bb.145:                              ;   in Loop: Header=BB72_65 Depth=1
	s_or_b64 exec, exec, s[10:11]
.LBB72_146:                             ;   in Loop: Header=BB72_65 Depth=1
	s_or_b64 exec, exec, s[8:9]
	v_and_b32_e32 v17, 0xffff0000, v4
	v_mul_f32_e32 v17, v36, v17
	v_bfe_u32 v19, v17, 16, 1
	v_add3_u32 v19, v17, v19, s22
	v_and_b32_e32 v19, 0xffff0000, v19
	v_cmp_o_f32_e32 vcc, v17, v17
	v_and_b32_e32 v18, 0xffff0000, v6
	v_cndmask_b32_e32 v17, v15, v19, vcc
	v_mul_f32_e32 v17, v17, v18
	v_bfe_u32 v18, v17, 16, 1
	v_add3_u32 v18, v17, v18, s22
	v_and_b32_e32 v18, 0xffff0000, v18
	v_cmp_o_f32_e32 vcc, v17, v17
	v_cndmask_b32_e32 v17, v15, v18, vcc
	v_div_scale_f32 v18, s[8:9], v8, v8, v17
	v_rcp_f32_e32 v19, v18
	v_fma_f32 v20, -v18, v19, 1.0
	v_fmac_f32_e32 v19, v20, v19
	v_div_scale_f32 v20, vcc, v17, v8, v17
	v_mul_f32_e32 v21, v20, v19
	v_fma_f32 v22, -v18, v21, v20
	v_fmac_f32_e32 v21, v22, v19
	v_fma_f32 v18, -v18, v21, v20
	v_div_fmas_f32 v18, v18, v19, v21
	v_div_fixup_f32 v17, v18, v8, v17
	v_min_f32_e32 v17, 0x43e00000, v17
	v_max_f32_e32 v17, 0xc3e00000, v17
	v_and_b32_e32 v18, 0x7fffffff, v17
	v_cmp_gt_u32_e32 vcc, s23, v18
	s_and_saveexec_b64 s[8:9], vcc
	s_cbranch_execz .LBB72_152
; %bb.147:                              ;   in Loop: Header=BB72_65 Depth=1
	v_cmp_lt_u32_e32 vcc, s24, v18
                                        ; implicit-def: $vgpr3
	s_and_saveexec_b64 s[10:11], vcc
	s_xor_b64 s[10:11], exec, s[10:11]
; %bb.148:                              ;   in Loop: Header=BB72_65 Depth=1
	v_bfe_u32 v3, v17, 20, 1
	v_add3_u32 v3, v17, v3, s25
	v_lshrrev_b32_e32 v3, 20, v3
; %bb.149:                              ;   in Loop: Header=BB72_65 Depth=1
	s_andn2_saveexec_b64 s[10:11], s[10:11]
; %bb.150:                              ;   in Loop: Header=BB72_65 Depth=1
	v_add_f32_e64 v3, |v17|, s26
; %bb.151:                              ;   in Loop: Header=BB72_65 Depth=1
	s_or_b64 exec, exec, s[10:11]
.LBB72_152:                             ;   in Loop: Header=BB72_65 Depth=1
	s_or_b64 exec, exec, s[8:9]
	v_alignbit_b32 v4, v5, v4, 16
	v_and_b32_e32 v4, 0xffff0000, v4
	v_mul_f32_e32 v4, v36, v4
	v_bfe_u32 v18, v4, 16, 1
	v_add3_u32 v18, v4, v18, s22
	v_and_b32_e32 v18, 0xffff0000, v18
	v_cmp_o_f32_e32 vcc, v4, v4
	v_alignbit_b32 v6, v7, v6, 16
	v_cndmask_b32_e32 v4, v15, v18, vcc
	v_and_b32_e32 v6, 0xffff0000, v6
	v_mul_f32_e32 v4, v4, v6
	v_bfe_u32 v6, v4, 16, 1
	v_add3_u32 v6, v4, v6, s22
	v_and_b32_e32 v6, 0xffff0000, v6
	v_cmp_o_f32_e32 vcc, v4, v4
	v_cndmask_b32_e32 v4, v15, v6, vcc
	v_div_scale_f32 v6, s[8:9], v8, v8, v4
	v_rcp_f32_e32 v18, v6
	v_fma_f32 v19, -v6, v18, 1.0
	v_fmac_f32_e32 v18, v19, v18
	v_div_scale_f32 v19, vcc, v4, v8, v4
	v_mul_f32_e32 v20, v19, v18
	v_fma_f32 v21, -v6, v20, v19
	v_fmac_f32_e32 v20, v21, v18
	v_fma_f32 v6, -v6, v20, v19
	v_div_fmas_f32 v6, v6, v18, v20
	v_div_fixup_f32 v4, v6, v8, v4
	v_min_f32_e32 v4, 0x43e00000, v4
	v_max_f32_e32 v18, 0xc3e00000, v4
	v_and_b32_e32 v19, 0x7fffffff, v18
	v_cmp_gt_u32_e32 vcc, s23, v19
	v_mov_b32_e32 v6, 0x7f
	v_mov_b32_e32 v4, 0x7f
	s_and_saveexec_b64 s[8:9], vcc
	s_cbranch_execz .LBB72_158
; %bb.153:                              ;   in Loop: Header=BB72_65 Depth=1
	v_cmp_lt_u32_e32 vcc, s24, v19
                                        ; implicit-def: $vgpr4
	s_and_saveexec_b64 s[10:11], vcc
	s_xor_b64 s[10:11], exec, s[10:11]
; %bb.154:                              ;   in Loop: Header=BB72_65 Depth=1
	v_bfe_u32 v4, v18, 20, 1
	v_add3_u32 v4, v18, v4, s25
	v_lshrrev_b32_e32 v4, 20, v4
; %bb.155:                              ;   in Loop: Header=BB72_65 Depth=1
	s_andn2_saveexec_b64 s[10:11], s[10:11]
; %bb.156:                              ;   in Loop: Header=BB72_65 Depth=1
	v_add_f32_e64 v4, |v18|, s26
; %bb.157:                              ;   in Loop: Header=BB72_65 Depth=1
	s_or_b64 exec, exec, s[10:11]
.LBB72_158:                             ;   in Loop: Header=BB72_65 Depth=1
	s_or_b64 exec, exec, s[8:9]
	v_and_b32_e32 v5, 0xffff0000, v5
	v_mul_f32_e32 v5, v36, v5
	v_bfe_u32 v19, v5, 16, 1
	v_add3_u32 v19, v5, v19, s22
	v_and_b32_e32 v19, 0xffff0000, v19
	v_cmp_o_f32_e32 vcc, v5, v5
	v_cndmask_b32_e32 v5, v15, v19, vcc
	v_and_b32_e32 v7, 0xffff0000, v7
	v_mul_f32_e32 v5, v5, v7
	v_bfe_u32 v7, v5, 16, 1
	v_add3_u32 v7, v5, v7, s22
	v_and_b32_e32 v7, 0xffff0000, v7
	v_cmp_o_f32_e32 vcc, v5, v5
	v_cndmask_b32_e32 v5, v15, v7, vcc
	v_div_scale_f32 v7, s[8:9], v8, v8, v5
	v_rcp_f32_e32 v19, v7
	v_fma_f32 v20, -v7, v19, 1.0
	v_fmac_f32_e32 v19, v20, v19
	v_div_scale_f32 v20, vcc, v5, v8, v5
	v_mul_f32_e32 v21, v20, v19
	v_fma_f32 v22, -v7, v21, v20
	v_fmac_f32_e32 v21, v22, v19
	v_fma_f32 v7, -v7, v21, v20
	v_div_fmas_f32 v7, v7, v19, v21
	v_div_fixup_f32 v5, v7, v8, v5
	v_min_f32_e32 v5, 0x43e00000, v5
	v_max_f32_e32 v5, 0xc3e00000, v5
	v_and_b32_e32 v7, 0x7fffffff, v5
	v_cmp_gt_u32_e32 vcc, s23, v7
	s_and_saveexec_b64 s[8:9], vcc
	s_cbranch_execz .LBB72_61
; %bb.159:                              ;   in Loop: Header=BB72_65 Depth=1
	v_cmp_lt_u32_e32 vcc, s24, v7
                                        ; implicit-def: $vgpr6
	s_and_saveexec_b64 s[10:11], vcc
	s_xor_b64 s[10:11], exec, s[10:11]
; %bb.160:                              ;   in Loop: Header=BB72_65 Depth=1
	v_bfe_u32 v6, v5, 20, 1
	v_add3_u32 v6, v5, v6, s25
	v_lshrrev_b32_e32 v6, 20, v6
; %bb.161:                              ;   in Loop: Header=BB72_65 Depth=1
	s_andn2_saveexec_b64 s[10:11], s[10:11]
	s_cbranch_execz .LBB72_60
; %bb.162:                              ;   in Loop: Header=BB72_65 Depth=1
	v_add_f32_e64 v6, |v5|, s26
	s_branch .LBB72_60
.LBB72_163:
	s_endpgm
.LBB72_164:
                                        ; implicit-def: $vgpr4_vgpr5
	s_andn2_b64 vcc, exec, s[26:27]
	s_cbranch_vccz .LBB72_53
	s_branch .LBB72_54
.LBB72_165:
                                        ; implicit-def: $vgpr2_vgpr3
	s_andn2_b64 vcc, exec, s[22:23]
	s_cbranch_vccz .LBB72_58
	s_branch .LBB72_59
	.section	.rodata,"a",@progbits
	.p2align	6, 0x0
	.amdhsa_kernel _ZN4vllm31rms_norm_per_block_quant_kernelIN3c108BFloat16ENS1_13Float8_e4m3fnELb0ELb1ELi128EEEvPT0_PfPKT_S9_PKffiiPS7_l
		.amdhsa_group_segment_fixed_size 4164
		.amdhsa_private_segment_fixed_size 0
		.amdhsa_kernarg_size 328
		.amdhsa_user_sgpr_count 6
		.amdhsa_user_sgpr_private_segment_buffer 1
		.amdhsa_user_sgpr_dispatch_ptr 0
		.amdhsa_user_sgpr_queue_ptr 0
		.amdhsa_user_sgpr_kernarg_segment_ptr 1
		.amdhsa_user_sgpr_dispatch_id 0
		.amdhsa_user_sgpr_flat_scratch_init 0
		.amdhsa_user_sgpr_kernarg_preload_length 0
		.amdhsa_user_sgpr_kernarg_preload_offset 0
		.amdhsa_user_sgpr_private_segment_size 0
		.amdhsa_uses_dynamic_stack 0
		.amdhsa_system_sgpr_private_segment_wavefront_offset 0
		.amdhsa_system_sgpr_workgroup_id_x 1
		.amdhsa_system_sgpr_workgroup_id_y 0
		.amdhsa_system_sgpr_workgroup_id_z 0
		.amdhsa_system_sgpr_workgroup_info 0
		.amdhsa_system_vgpr_workitem_id 0
		.amdhsa_next_free_vgpr 48
		.amdhsa_next_free_sgpr 45
		.amdhsa_accum_offset 48
		.amdhsa_reserve_vcc 1
		.amdhsa_reserve_flat_scratch 0
		.amdhsa_float_round_mode_32 0
		.amdhsa_float_round_mode_16_64 0
		.amdhsa_float_denorm_mode_32 3
		.amdhsa_float_denorm_mode_16_64 3
		.amdhsa_dx10_clamp 1
		.amdhsa_ieee_mode 1
		.amdhsa_fp16_overflow 0
		.amdhsa_tg_split 0
		.amdhsa_exception_fp_ieee_invalid_op 0
		.amdhsa_exception_fp_denorm_src 0
		.amdhsa_exception_fp_ieee_div_zero 0
		.amdhsa_exception_fp_ieee_overflow 0
		.amdhsa_exception_fp_ieee_underflow 0
		.amdhsa_exception_fp_ieee_inexact 0
		.amdhsa_exception_int_div_zero 0
	.end_amdhsa_kernel
	.section	.text._ZN4vllm31rms_norm_per_block_quant_kernelIN3c108BFloat16ENS1_13Float8_e4m3fnELb0ELb1ELi128EEEvPT0_PfPKT_S9_PKffiiPS7_l,"axG",@progbits,_ZN4vllm31rms_norm_per_block_quant_kernelIN3c108BFloat16ENS1_13Float8_e4m3fnELb0ELb1ELi128EEEvPT0_PfPKT_S9_PKffiiPS7_l,comdat
.Lfunc_end72:
	.size	_ZN4vllm31rms_norm_per_block_quant_kernelIN3c108BFloat16ENS1_13Float8_e4m3fnELb0ELb1ELi128EEEvPT0_PfPKT_S9_PKffiiPS7_l, .Lfunc_end72-_ZN4vllm31rms_norm_per_block_quant_kernelIN3c108BFloat16ENS1_13Float8_e4m3fnELb0ELb1ELi128EEEvPT0_PfPKT_S9_PKffiiPS7_l
                                        ; -- End function
	.section	.AMDGPU.csdata,"",@progbits
; Kernel info:
; codeLenInByte = 12408
; NumSgprs: 49
; NumVgprs: 48
; NumAgprs: 0
; TotalNumVgprs: 48
; ScratchSize: 0
; MemoryBound: 0
; FloatMode: 240
; IeeeMode: 1
; LDSByteSize: 4164 bytes/workgroup (compile time only)
; SGPRBlocks: 6
; VGPRBlocks: 5
; NumSGPRsForWavesPerEU: 49
; NumVGPRsForWavesPerEU: 48
; AccumOffset: 48
; Occupancy: 8
; WaveLimiterHint : 0
; COMPUTE_PGM_RSRC2:SCRATCH_EN: 0
; COMPUTE_PGM_RSRC2:USER_SGPR: 6
; COMPUTE_PGM_RSRC2:TRAP_HANDLER: 0
; COMPUTE_PGM_RSRC2:TGID_X_EN: 1
; COMPUTE_PGM_RSRC2:TGID_Y_EN: 0
; COMPUTE_PGM_RSRC2:TGID_Z_EN: 0
; COMPUTE_PGM_RSRC2:TIDIG_COMP_CNT: 0
; COMPUTE_PGM_RSRC3_GFX90A:ACCUM_OFFSET: 11
; COMPUTE_PGM_RSRC3_GFX90A:TG_SPLIT: 0
	.section	.text._ZN4vllm31rms_norm_per_block_quant_kernelIN3c108BFloat16ENS1_15Float8_e4m3fnuzELb0ELb1ELi128EEEvPT0_PfPKT_S9_PKffiiPS7_l,"axG",@progbits,_ZN4vllm31rms_norm_per_block_quant_kernelIN3c108BFloat16ENS1_15Float8_e4m3fnuzELb0ELb1ELi128EEEvPT0_PfPKT_S9_PKffiiPS7_l,comdat
	.protected	_ZN4vllm31rms_norm_per_block_quant_kernelIN3c108BFloat16ENS1_15Float8_e4m3fnuzELb0ELb1ELi128EEEvPT0_PfPKT_S9_PKffiiPS7_l ; -- Begin function _ZN4vllm31rms_norm_per_block_quant_kernelIN3c108BFloat16ENS1_15Float8_e4m3fnuzELb0ELb1ELi128EEEvPT0_PfPKT_S9_PKffiiPS7_l
	.globl	_ZN4vllm31rms_norm_per_block_quant_kernelIN3c108BFloat16ENS1_15Float8_e4m3fnuzELb0ELb1ELi128EEEvPT0_PfPKT_S9_PKffiiPS7_l
	.p2align	8
	.type	_ZN4vllm31rms_norm_per_block_quant_kernelIN3c108BFloat16ENS1_15Float8_e4m3fnuzELb0ELb1ELi128EEEvPT0_PfPKT_S9_PKffiiPS7_l,@function
_ZN4vllm31rms_norm_per_block_quant_kernelIN3c108BFloat16ENS1_15Float8_e4m3fnuzELb0ELb1ELi128EEEvPT0_PfPKT_S9_PKffiiPS7_l: ; @_ZN4vllm31rms_norm_per_block_quant_kernelIN3c108BFloat16ENS1_15Float8_e4m3fnuzELb0ELb1ELi128EEEvPT0_PfPKT_S9_PKffiiPS7_l
; %bb.0:
	s_load_dwordx4 s[16:19], s[4:5], 0x28
	s_load_dwordx8 s[8:15], s[4:5], 0x0
	s_load_dword s43, s[4:5], 0x48
	s_mov_b32 s7, 0
	v_mov_b32_e32 v1, 0
	s_waitcnt lgkmcnt(0)
	s_ashr_i32 s0, s18, 31
	s_mul_hi_u32 s1, s18, s6
	s_mul_i32 s0, s0, s6
	s_add_i32 s1, s1, s0
	s_mul_i32 s0, s18, s6
	s_lshl_b64 s[28:29], s[0:1], 1
	s_add_u32 s33, s12, s28
	s_addc_u32 s42, s13, s29
	s_ashr_i32 s18, s17, 2
	s_add_u32 s24, s4, 0x48
	s_mov_b32 s20, s17
	v_cmp_gt_u32_e64 s[0:1], s18, v0
	s_addc_u32 s25, s5, 0
	s_and_saveexec_b64 s[2:3], s[0:1]
	s_cbranch_execz .LBB73_10
; %bb.1:
	s_cmp_lt_u32 s6, s43
	s_cselect_b32 s19, 12, 18
	s_add_u32 s22, s24, s19
	s_addc_u32 s23, s25, 0
	v_mov_b32_e32 v3, 0
	global_load_ushort v8, v3, s[22:23]
	s_mov_b64 s[22:23], 0
	v_mov_b32_e32 v9, s42
	v_mov_b32_e32 v2, v0
                                        ; implicit-def: $sgpr26_sgpr27
	s_waitcnt vmcnt(0)
	v_add_u32_e32 v1, v8, v8
	v_mul_lo_u32 v10, v8, 3
	v_lshlrev_b32_e32 v11, 1, v8
	v_add_u32_e32 v12, v1, v8
	v_mov_b32_e32 v1, v3
	s_branch .LBB73_5
.LBB73_2:                               ;   in Loop: Header=BB73_5 Depth=1
	s_or_b64 exec, exec, s[36:37]
	s_orn2_b64 s[36:37], s[38:39], exec
.LBB73_3:                               ;   in Loop: Header=BB73_5 Depth=1
	s_or_b64 exec, exec, s[34:35]
	s_andn2_b64 s[26:27], s[26:27], exec
	s_and_b64 s[34:35], s[36:37], exec
	s_or_b64 s[26:27], s[26:27], s[34:35]
.LBB73_4:                               ;   in Loop: Header=BB73_5 Depth=1
	s_or_b64 exec, exec, s[30:31]
	s_and_b64 s[30:31], exec, s[26:27]
	s_or_b64 s[22:23], s[30:31], s[22:23]
	s_andn2_b64 exec, exec, s[22:23]
	s_cbranch_execz .LBB73_9
.LBB73_5:                               ; =>This Inner Loop Header: Depth=1
	v_lshlrev_b64 v[4:5], 3, v[2:3]
	v_add_co_u32_e32 v4, vcc, s33, v4
	v_addc_co_u32_e32 v5, vcc, v9, v5, vcc
	global_load_dwordx2 v[6:7], v[4:5], off
	v_add_u32_e32 v4, v2, v8
	v_cmp_gt_u32_e32 vcc, s18, v4
	s_or_b64 s[26:27], s[26:27], exec
	s_waitcnt vmcnt(0)
	v_lshlrev_b32_e32 v13, 16, v6
	v_and_b32_e32 v5, 0xffff0000, v6
	v_alignbit_b32 v6, v7, v6, 16
	v_fmac_f32_e32 v1, v13, v13
	v_and_b32_e32 v6, 0xffff0000, v6
	v_fmac_f32_e32 v1, v5, v5
	v_and_b32_e32 v7, 0xffff0000, v7
	v_fmac_f32_e32 v1, v6, v6
	v_fmac_f32_e32 v1, v7, v7
	s_and_saveexec_b64 s[30:31], vcc
	s_cbranch_execz .LBB73_4
; %bb.6:                                ;   in Loop: Header=BB73_5 Depth=1
	v_mov_b32_e32 v5, v3
	v_lshlrev_b64 v[6:7], 3, v[4:5]
	v_add_co_u32_e32 v6, vcc, s33, v6
	v_addc_co_u32_e32 v7, vcc, v9, v7, vcc
	global_load_dwordx2 v[14:15], v[6:7], off
	v_add_u32_e32 v6, v11, v2
	v_cmp_gt_u32_e32 vcc, s18, v6
	s_mov_b64 s[36:37], -1
	s_waitcnt vmcnt(0)
	v_lshlrev_b32_e32 v7, 16, v14
	v_and_b32_e32 v5, 0xffff0000, v14
	v_alignbit_b32 v13, v15, v14, 16
	v_fmac_f32_e32 v1, v7, v7
	v_and_b32_e32 v13, 0xffff0000, v13
	v_fmac_f32_e32 v1, v5, v5
	v_and_b32_e32 v14, 0xffff0000, v15
	v_fmac_f32_e32 v1, v13, v13
	v_fmac_f32_e32 v1, v14, v14
	s_and_saveexec_b64 s[34:35], vcc
	s_cbranch_execz .LBB73_3
; %bb.7:                                ;   in Loop: Header=BB73_5 Depth=1
	v_mov_b32_e32 v7, v3
	v_lshlrev_b64 v[6:7], 3, v[6:7]
	v_add_co_u32_e32 v6, vcc, s33, v6
	v_addc_co_u32_e32 v7, vcc, v9, v7, vcc
	global_load_dwordx2 v[6:7], v[6:7], off
	v_add_u32_e32 v2, v10, v2
	v_cmp_gt_u32_e32 vcc, s18, v2
	s_mov_b64 s[38:39], -1
	s_waitcnt vmcnt(0)
	v_lshlrev_b32_e32 v13, 16, v6
	v_and_b32_e32 v5, 0xffff0000, v6
	v_alignbit_b32 v6, v7, v6, 16
	v_fmac_f32_e32 v1, v13, v13
	v_and_b32_e32 v6, 0xffff0000, v6
	v_fmac_f32_e32 v1, v5, v5
	v_and_b32_e32 v7, 0xffff0000, v7
	v_fmac_f32_e32 v1, v6, v6
	v_fmac_f32_e32 v1, v7, v7
	s_and_saveexec_b64 s[36:37], vcc
	s_xor_b64 s[36:37], exec, s[36:37]
	s_cbranch_execz .LBB73_2
; %bb.8:                                ;   in Loop: Header=BB73_5 Depth=1
	v_lshlrev_b64 v[6:7], 3, v[2:3]
	v_add_co_u32_e32 v6, vcc, s33, v6
	v_addc_co_u32_e32 v7, vcc, v9, v7, vcc
	global_load_dwordx2 v[6:7], v[6:7], off
	v_add_u32_e32 v2, v12, v4
	v_cmp_le_u32_e32 vcc, s18, v2
	s_orn2_b64 s[38:39], vcc, exec
	s_waitcnt vmcnt(0)
	v_lshlrev_b32_e32 v5, 16, v6
	v_and_b32_e32 v4, 0xffff0000, v6
	v_alignbit_b32 v6, v7, v6, 16
	v_fmac_f32_e32 v1, v5, v5
	v_and_b32_e32 v6, 0xffff0000, v6
	v_fmac_f32_e32 v1, v4, v4
	v_and_b32_e32 v7, 0xffff0000, v7
	v_fmac_f32_e32 v1, v6, v6
	v_fmac_f32_e32 v1, v7, v7
	s_branch .LBB73_2
.LBB73_9:
	s_or_b64 exec, exec, s[22:23]
.LBB73_10:
	s_or_b64 exec, exec, s[2:3]
	v_mbcnt_lo_u32_b32 v2, -1, 0
	v_mbcnt_hi_u32_b32 v2, -1, v2
	v_and_b32_e32 v3, 63, v2
	v_cmp_ne_u32_e32 vcc, 63, v3
	s_load_dword s2, s[24:25], 0xc
	v_addc_co_u32_e32 v4, vcc, 0, v2, vcc
	v_lshlrev_b32_e32 v4, 2, v4
	ds_bpermute_b32 v4, v4, v1
	s_waitcnt lgkmcnt(0)
	s_and_b32 s19, s2, 0xffff
	v_and_b32_e32 v5, 0x3c0, v0
	v_sub_u32_e64 v5, s19, v5 clamp
	v_add_u32_e32 v6, 1, v2
	v_add_f32_e32 v4, v1, v4
	v_cmp_lt_u32_e32 vcc, v6, v5
	v_cndmask_b32_e32 v1, v1, v4, vcc
	v_cmp_gt_u32_e32 vcc, 62, v3
	v_cndmask_b32_e64 v4, 0, 1, vcc
	v_lshlrev_b32_e32 v4, 1, v4
	v_add_lshl_u32 v4, v4, v2, 2
	ds_bpermute_b32 v4, v4, v1
	v_add_u32_e32 v6, 2, v2
	v_cmp_lt_u32_e32 vcc, v6, v5
	v_add_u32_e32 v6, 4, v2
	s_waitcnt lgkmcnt(0)
	v_add_f32_e32 v4, v1, v4
	v_cndmask_b32_e32 v1, v1, v4, vcc
	v_cmp_gt_u32_e32 vcc, 60, v3
	v_cndmask_b32_e64 v4, 0, 1, vcc
	v_lshlrev_b32_e32 v4, 2, v4
	v_add_lshl_u32 v4, v4, v2, 2
	ds_bpermute_b32 v4, v4, v1
	v_cmp_lt_u32_e32 vcc, v6, v5
	v_add_u32_e32 v6, 8, v2
	s_waitcnt lgkmcnt(0)
	v_add_f32_e32 v4, v1, v4
	v_cndmask_b32_e32 v1, v1, v4, vcc
	v_cmp_gt_u32_e32 vcc, 56, v3
	v_cndmask_b32_e64 v4, 0, 1, vcc
	v_lshlrev_b32_e32 v4, 3, v4
	v_add_lshl_u32 v4, v4, v2, 2
	ds_bpermute_b32 v4, v4, v1
	;; [unrolled: 10-line block ×3, first 2 shown]
	v_cmp_lt_u32_e32 vcc, v6, v5
	s_waitcnt lgkmcnt(0)
	v_add_f32_e32 v4, v1, v4
	v_cndmask_b32_e32 v1, v1, v4, vcc
	v_cmp_gt_u32_e32 vcc, 32, v3
	v_cndmask_b32_e64 v3, 0, 1, vcc
	v_lshlrev_b32_e32 v3, 5, v3
	v_add_lshl_u32 v3, v3, v2, 2
	ds_bpermute_b32 v3, v3, v1
	v_add_u32_e32 v4, 32, v2
	v_cmp_lt_u32_e32 vcc, v4, v5
	s_waitcnt lgkmcnt(0)
	v_add_f32_e32 v3, v1, v3
	v_cndmask_b32_e32 v1, v1, v3, vcc
	v_cmp_eq_u32_e32 vcc, 0, v2
	s_and_saveexec_b64 s[2:3], vcc
	s_cbranch_execz .LBB73_12
; %bb.11:
	v_lshrrev_b32_e32 v3, 4, v0
	v_and_b32_e32 v3, 60, v3
	ds_write_b32 v3, v1 offset:4096
.LBB73_12:
	s_or_b64 exec, exec, s[2:3]
	v_cmp_gt_u32_e32 vcc, 16, v0
	s_waitcnt lgkmcnt(0)
	s_barrier
	s_and_saveexec_b64 s[22:23], vcc
	s_cbranch_execz .LBB73_14
; %bb.13:
	v_lshlrev_b32_e32 v1, 2, v2
	ds_read_b32 v1, v1 offset:4096
	v_and_b32_e32 v3, 15, v2
	v_cmp_ne_u32_e32 vcc, 15, v3
	v_addc_co_u32_e32 v4, vcc, 0, v2, vcc
	v_lshlrev_b32_e32 v4, 2, v4
	s_waitcnt lgkmcnt(0)
	ds_bpermute_b32 v4, v4, v1
	s_add_i32 s19, s19, 63
	s_lshr_b32 s19, s19, 6
	v_add_u32_e32 v5, 1, v3
	v_cmp_gt_u32_e64 s[2:3], 14, v3
	v_cmp_gt_u32_e32 vcc, s19, v5
	v_cndmask_b32_e64 v5, 0, 1, s[2:3]
	s_waitcnt lgkmcnt(0)
	v_add_f32_e32 v4, v1, v4
	v_lshlrev_b32_e32 v5, 1, v5
	v_cndmask_b32_e32 v4, v1, v4, vcc
	v_add_lshl_u32 v5, v5, v2, 2
	ds_bpermute_b32 v5, v5, v4
	v_add_u32_e32 v6, 2, v3
	v_cmp_gt_u32_e64 s[2:3], s19, v6
	v_add_u32_e32 v6, 4, v3
	s_waitcnt lgkmcnt(0)
	v_add_f32_e32 v5, v4, v5
	v_cndmask_b32_e64 v4, v4, v5, s[2:3]
	v_cmp_gt_u32_e64 s[2:3], 12, v3
	v_cndmask_b32_e64 v5, 0, 1, s[2:3]
	v_lshlrev_b32_e32 v5, 2, v5
	v_add_lshl_u32 v5, v5, v2, 2
	ds_bpermute_b32 v5, v5, v4
	v_cmp_gt_u32_e64 s[2:3], s19, v6
	s_waitcnt lgkmcnt(0)
	v_add_f32_e32 v5, v4, v5
	v_cndmask_b32_e64 v4, v4, v5, s[2:3]
	v_cmp_gt_u32_e64 s[2:3], 8, v3
	v_cndmask_b32_e64 v5, 0, 1, s[2:3]
	v_lshlrev_b32_e32 v5, 3, v5
	v_add_lshl_u32 v2, v5, v2, 2
	ds_bpermute_b32 v2, v2, v4
	v_add_u32_e32 v3, 8, v3
	v_cmp_gt_u32_e64 s[2:3], s19, v3
	s_waitcnt lgkmcnt(0)
	v_add_f32_e32 v2, v4, v2
	v_cndmask_b32_e64 v2, v4, v2, s[2:3]
	v_cndmask_b32_e32 v1, v1, v2, vcc
.LBB73_14:
	s_or_b64 exec, exec, s[22:23]
	v_cmp_eq_u32_e32 vcc, 0, v0
	s_and_saveexec_b64 s[2:3], vcc
	s_cbranch_execz .LBB73_16
; %bb.15:
	v_cvt_f32_i32_e32 v2, s17
	s_mov_b32 s19, 0x800000
	v_div_scale_f32 v3, s[22:23], v2, v2, v1
	v_rcp_f32_e32 v4, v3
	v_div_scale_f32 v5, vcc, v1, v2, v1
	v_fma_f32 v6, -v3, v4, 1.0
	v_fmac_f32_e32 v4, v6, v4
	v_mul_f32_e32 v6, v5, v4
	v_fma_f32 v7, -v3, v6, v5
	v_fmac_f32_e32 v6, v7, v4
	v_fma_f32 v3, -v3, v6, v5
	v_div_fmas_f32 v3, v3, v4, v6
	v_div_fixup_f32 v1, v3, v2, v1
	v_add_f32_e32 v1, s16, v1
	v_mul_f32_e32 v2, 0x4b800000, v1
	v_cmp_gt_f32_e32 vcc, s19, v1
	v_cndmask_b32_e32 v1, v1, v2, vcc
	v_rsq_f32_e32 v1, v1
	v_mul_f32_e32 v2, 0x45800000, v1
	v_cndmask_b32_e32 v1, v1, v2, vcc
	v_mov_b32_e32 v2, 0
	ds_write_b32 v2, v1 offset:4160
.LBB73_16:
	s_or_b64 exec, exec, s[2:3]
	s_ashr_i32 s21, s17, 31
	s_lshr_b32 s2, s21, 25
	s_add_i32 s16, s17, s2
	s_ashr_i32 s22, s16, 7
	s_cmp_lt_u32 s6, s43
	s_cselect_b32 s2, 12, 18
	s_add_u32 s2, s24, s2
	v_mov_b32_e32 v5, 0
	s_addc_u32 s3, s25, 0
	s_waitcnt lgkmcnt(0)
	s_barrier
	global_load_ushort v1, v5, s[2:3]
	ds_read_b32 v36, v5 offset:4160
	s_abs_i32 s2, s22
	v_cvt_f32_u32_e32 v2, s2
	s_ashr_i32 s3, s16, 31
	s_sub_i32 s16, 0, s2
	v_mov_b32_e32 v10, s18
	v_rcp_iflag_f32_e32 v2, v2
	v_mul_f32_e32 v2, 0x4f7ffffe, v2
	v_cvt_u32_f32_e32 v2, v2
	v_readfirstlane_b32 s19, v2
	s_mul_i32 s16, s16, s19
	s_mul_hi_u32 s16, s19, s16
	s_add_i32 s19, s19, s16
	s_waitcnt vmcnt(0)
	v_readfirstlane_b32 s16, v1
	s_mul_hi_u32 s19, s16, s19
	s_mul_i32 s23, s19, s2
	s_sub_i32 s23, s16, s23
	s_add_i32 s24, s19, 1
	s_sub_i32 s25, s23, s2
	s_cmp_ge_u32 s23, s2
	s_cselect_b32 s19, s24, s19
	s_cselect_b32 s23, s25, s23
	s_add_i32 s24, s19, 1
	s_cmp_ge_u32 s23, s2
	s_cselect_b32 s2, s24, s19
	s_xor_b32 s2, s2, s3
	s_sub_i32 s24, s2, s3
	s_abs_i32 s2, s24
	v_cvt_f32_u32_e32 v1, s2
	s_sub_i32 s3, 0, s2
	s_ashr_i32 s25, s24, 31
	s_ashr_i32 s19, s18, 31
	v_rcp_iflag_f32_e32 v1, v1
	v_mov_b32_e32 v11, s19
	v_mul_f32_e32 v1, 0x4f7ffffe, v1
	v_cvt_u32_f32_e32 v1, v1
	v_mul_lo_u32 v2, s3, v1
	v_mul_hi_u32 v2, v1, v2
	v_add_u32_e32 v1, v1, v2
	v_mul_hi_u32 v1, v0, v1
	v_mul_lo_u32 v2, v1, s2
	v_sub_u32_e32 v2, v0, v2
	v_add_u32_e32 v3, 1, v1
	v_cmp_le_u32_e32 vcc, s2, v2
	v_cndmask_b32_e32 v1, v1, v3, vcc
	v_subrev_u32_e32 v3, s2, v2
	v_cndmask_b32_e32 v2, v2, v3, vcc
	v_add_u32_e32 v3, 1, v1
	v_cmp_le_u32_e32 vcc, s2, v2
	v_cndmask_b32_e32 v1, v1, v3, vcc
	v_xor_b32_e32 v1, s25, v1
	v_subrev_u32_e32 v2, s25, v1
	v_mul_lo_u32 v1, v2, s24
	v_ashrrev_i32_e32 v3, 31, v2
	v_sub_u32_e32 v4, v0, v1
	v_lshlrev_b64 v[8:9], 5, v[2:3]
	v_add_co_u32_e32 v6, vcc, v8, v4
	v_addc_co_u32_e32 v7, vcc, 0, v9, vcc
	v_add_co_u32_e32 v8, vcc, 32, v8
	v_addc_co_u32_e32 v9, vcc, 0, v9, vcc
	v_cmp_gt_i64_e32 vcc, s[18:19], v[8:9]
	v_cndmask_b32_e32 v8, v10, v8, vcc
	v_cndmask_b32_e32 v9, v11, v9, vcc
	v_ashrrev_i32_e32 v11, 31, v8
	v_mov_b32_e32 v10, v8
	v_cmp_lt_i64_e32 vcc, v[6:7], v[10:11]
	s_and_saveexec_b64 s[26:27], vcc
	s_cbranch_execz .LBB73_26
; %bb.17:
	v_lshlrev_b64 v[28:29], 8, v[2:3]
	s_mul_i32 s23, s24, 24
	v_lshlrev_b64 v[12:13], 3, v[4:5]
	v_mov_b32_e32 v1, s29
	v_add_co_u32_e32 v5, vcc, s28, v28
	s_mul_hi_i32 s19, s24, 24
	s_add_u32 s2, s12, s23
	v_addc_co_u32_e32 v19, vcc, v1, v29, vcc
	s_addc_u32 s3, s13, s19
	v_mov_b32_e32 v1, s3
	v_add_co_u32_e32 v14, vcc, s2, v5
	s_lshl_b64 s[28:29], s[24:25], 5
	s_lshl_b64 s[2:3], s[24:25], 4
	s_add_u32 s30, s12, s2
	v_addc_co_u32_e32 v1, vcc, v1, v19, vcc
	s_addc_u32 s31, s13, s3
	v_mov_b32_e32 v15, s31
	v_add_co_u32_e32 v16, vcc, s30, v5
	s_lshl_b64 s[30:31], s[24:25], 3
	s_add_u32 s34, s12, s30
	v_addc_co_u32_e32 v15, vcc, v15, v19, vcc
	s_addc_u32 s35, s13, s31
	v_mov_b32_e32 v17, s35
	v_add_co_u32_e32 v18, vcc, s34, v5
	v_addc_co_u32_e32 v17, vcc, v17, v19, vcc
	v_mov_b32_e32 v21, s13
	v_add_co_u32_e32 v20, vcc, s12, v5
	s_add_u32 s12, s14, s23
	v_addc_co_u32_e32 v19, vcc, v21, v19, vcc
	s_addc_u32 s13, s15, s19
	v_mov_b32_e32 v5, s13
	v_add_co_u32_e32 v22, vcc, s12, v28
	s_add_u32 s2, s14, s2
	v_addc_co_u32_e32 v21, vcc, v5, v29, vcc
	s_addc_u32 s3, s15, s3
	;; [unrolled: 5-line block ×3, first 2 shown]
	v_mov_b32_e32 v5, s3
	v_add_co_u32_e32 v26, vcc, s2, v28
	v_addc_co_u32_e32 v25, vcc, v5, v29, vcc
	v_mov_b32_e32 v5, s15
	v_add_co_u32_e32 v28, vcc, s14, v28
	v_addc_co_u32_e32 v27, vcc, v5, v29, vcc
	s_mul_hi_i32 s19, s24, 3
	s_mul_i32 s23, s24, 3
	s_lshl_b64 s[30:31], s[24:25], 1
	s_mov_b64 s[12:13], 0
	v_mov_b32_e32 v5, 0
	s_movk_i32 s44, 0x7fff
	v_mov_b32_e32 v29, 0x7fc00000
	v_mov_b32_e32 v34, s25
	v_pk_mov_b32 v[30:31], v[6:7], v[6:7] op_sel:[0,1]
                                        ; implicit-def: $sgpr34_sgpr35
	s_branch .LBB73_21
.LBB73_18:                              ;   in Loop: Header=BB73_21 Depth=1
	s_or_b64 exec, exec, s[2:3]
	s_orn2_b64 s[2:3], s[40:41], exec
.LBB73_19:                              ;   in Loop: Header=BB73_21 Depth=1
	s_or_b64 exec, exec, s[38:39]
	s_andn2_b64 s[34:35], s[34:35], exec
	s_and_b64 s[2:3], s[2:3], exec
	s_or_b64 s[34:35], s[34:35], s[2:3]
.LBB73_20:                              ;   in Loop: Header=BB73_21 Depth=1
	s_or_b64 exec, exec, s[36:37]
	s_and_b64 s[2:3], exec, s[34:35]
	s_or_b64 s[12:13], s[2:3], s[12:13]
	s_andn2_b64 exec, exec, s[12:13]
	s_cbranch_execz .LBB73_25
.LBB73_21:                              ; =>This Inner Loop Header: Depth=1
	v_add_co_u32_e32 v32, vcc, v20, v12
	v_addc_co_u32_e32 v33, vcc, v19, v13, vcc
	global_load_dwordx2 v[38:39], v[32:33], off
	v_add_co_u32_e32 v32, vcc, v28, v12
	v_addc_co_u32_e32 v33, vcc, v27, v13, vcc
	global_load_dwordx2 v[40:41], v[32:33], off
	v_add_co_u32_e32 v32, vcc, s24, v30
	v_addc_co_u32_e32 v33, vcc, v31, v34, vcc
	v_cmp_lt_i64_e32 vcc, v[32:33], v[10:11]
	s_or_b64 s[34:35], s[34:35], exec
	s_waitcnt vmcnt(1)
	v_lshlrev_b32_e32 v42, 16, v38
	v_and_b32_e32 v35, 0xffff0000, v38
	s_waitcnt lgkmcnt(0)
	v_mul_f32_e32 v42, v36, v42
	v_alignbit_b32 v38, v39, v38, 16
	v_and_b32_e32 v39, 0xffff0000, v39
	v_mul_f32_e32 v35, v36, v35
	v_bfe_u32 v44, v42, 16, 1
	v_mul_f32_e32 v39, v36, v39
	v_bfe_u32 v45, v35, 16, 1
	v_add3_u32 v44, v42, v44, s44
	v_and_b32_e32 v38, 0xffff0000, v38
	v_bfe_u32 v46, v39, 16, 1
	v_add3_u32 v45, v35, v45, s44
	v_and_b32_e32 v44, 0xffff0000, v44
	v_cmp_o_f32_e64 s[2:3], v42, v42
	v_mul_f32_e32 v38, v36, v38
	v_add3_u32 v46, v39, v46, s44
	v_and_b32_e32 v45, 0xffff0000, v45
	v_cndmask_b32_e64 v42, v29, v44, s[2:3]
	v_cmp_o_f32_e64 s[2:3], v35, v35
	s_waitcnt vmcnt(0)
	v_lshlrev_b32_e32 v43, 16, v40
	v_bfe_u32 v47, v38, 16, 1
	v_and_b32_e32 v46, 0xffff0000, v46
	v_cndmask_b32_e64 v35, v29, v45, s[2:3]
	v_cmp_o_f32_e64 s[2:3], v39, v39
	v_and_b32_e32 v37, 0xffff0000, v40
	v_alignbit_b32 v40, v41, v40, 16
	v_and_b32_e32 v41, 0xffff0000, v41
	v_add3_u32 v47, v38, v47, s44
	v_cndmask_b32_e64 v39, v29, v46, s[2:3]
	v_mul_f32_e32 v42, v42, v43
	v_and_b32_e32 v44, 0xffff0000, v47
	v_mul_f32_e32 v35, v35, v37
	v_cmp_o_f32_e64 s[2:3], v38, v38
	v_mul_f32_e32 v38, v39, v41
	v_bfe_u32 v39, v42, 16, 1
	v_and_b32_e32 v40, 0xffff0000, v40
	v_cndmask_b32_e64 v37, v29, v44, s[2:3]
	v_bfe_u32 v41, v35, 16, 1
	v_add3_u32 v39, v42, v39, s44
	v_mul_f32_e32 v37, v37, v40
	v_bfe_u32 v40, v38, 16, 1
	v_add3_u32 v41, v35, v41, s44
	v_and_b32_e32 v39, 0xffff0000, v39
	v_cmp_o_f32_e64 s[2:3], v42, v42
	v_bfe_u32 v43, v37, 16, 1
	v_add3_u32 v40, v38, v40, s44
	v_and_b32_e32 v41, 0xffff0000, v41
	v_cndmask_b32_e64 v39, v29, |v39|, s[2:3]
	v_cmp_o_f32_e64 s[2:3], v35, v35
	v_add3_u32 v43, v37, v43, s44
	v_and_b32_e32 v40, 0xffff0000, v40
	v_cndmask_b32_e64 v35, v29, |v41|, s[2:3]
	v_cmp_o_f32_e64 s[2:3], v38, v38
	v_and_b32_e32 v41, 0xffff0000, v43
	v_cndmask_b32_e64 v38, v29, |v40|, s[2:3]
	v_cmp_o_f32_e64 s[2:3], v37, v37
	v_max3_f32 v5, v5, v39, v35
	v_cndmask_b32_e64 v35, v29, |v41|, s[2:3]
	v_max3_f32 v5, v5, v35, v38
	s_and_saveexec_b64 s[36:37], vcc
	s_cbranch_execz .LBB73_20
; %bb.22:                               ;   in Loop: Header=BB73_21 Depth=1
	v_add_co_u32_e32 v38, vcc, v18, v12
	v_addc_co_u32_e32 v39, vcc, v17, v13, vcc
	global_load_dwordx2 v[38:39], v[38:39], off
	v_add_co_u32_e32 v40, vcc, v26, v12
	v_addc_co_u32_e32 v41, vcc, v25, v13, vcc
	global_load_dwordx2 v[40:41], v[40:41], off
	v_mov_b32_e32 v35, s31
	v_add_co_u32_e32 v42, vcc, s30, v30
	v_addc_co_u32_e32 v43, vcc, v35, v31, vcc
	v_cmp_lt_i64_e32 vcc, v[42:43], v[10:11]
	s_waitcnt vmcnt(1)
	v_lshlrev_b32_e32 v42, 16, v38
	v_and_b32_e32 v35, 0xffff0000, v38
	v_mul_f32_e32 v42, v36, v42
	v_alignbit_b32 v38, v39, v38, 16
	v_and_b32_e32 v39, 0xffff0000, v39
	v_mul_f32_e32 v35, v36, v35
	v_bfe_u32 v44, v42, 16, 1
	v_mul_f32_e32 v39, v36, v39
	v_bfe_u32 v45, v35, 16, 1
	v_add3_u32 v44, v42, v44, s44
	v_and_b32_e32 v38, 0xffff0000, v38
	v_bfe_u32 v46, v39, 16, 1
	v_add3_u32 v45, v35, v45, s44
	v_and_b32_e32 v44, 0xffff0000, v44
	v_cmp_o_f32_e64 s[2:3], v42, v42
	v_mul_f32_e32 v38, v36, v38
	v_add3_u32 v46, v39, v46, s44
	v_and_b32_e32 v45, 0xffff0000, v45
	v_cndmask_b32_e64 v42, v29, v44, s[2:3]
	v_cmp_o_f32_e64 s[2:3], v35, v35
	s_waitcnt vmcnt(0)
	v_lshlrev_b32_e32 v43, 16, v40
	v_bfe_u32 v47, v38, 16, 1
	v_and_b32_e32 v46, 0xffff0000, v46
	v_cndmask_b32_e64 v35, v29, v45, s[2:3]
	v_cmp_o_f32_e64 s[2:3], v39, v39
	v_and_b32_e32 v37, 0xffff0000, v40
	v_alignbit_b32 v40, v41, v40, 16
	v_and_b32_e32 v41, 0xffff0000, v41
	v_add3_u32 v47, v38, v47, s44
	v_cndmask_b32_e64 v39, v29, v46, s[2:3]
	v_mul_f32_e32 v42, v42, v43
	v_and_b32_e32 v44, 0xffff0000, v47
	v_mul_f32_e32 v35, v35, v37
	v_cmp_o_f32_e64 s[2:3], v38, v38
	v_mul_f32_e32 v38, v39, v41
	v_bfe_u32 v39, v42, 16, 1
	v_and_b32_e32 v40, 0xffff0000, v40
	v_cndmask_b32_e64 v37, v29, v44, s[2:3]
	v_bfe_u32 v41, v35, 16, 1
	v_add3_u32 v39, v42, v39, s44
	v_mul_f32_e32 v37, v37, v40
	v_bfe_u32 v40, v38, 16, 1
	v_add3_u32 v41, v35, v41, s44
	v_and_b32_e32 v39, 0xffff0000, v39
	v_cmp_o_f32_e64 s[2:3], v42, v42
	v_bfe_u32 v43, v37, 16, 1
	v_add3_u32 v40, v38, v40, s44
	v_and_b32_e32 v41, 0xffff0000, v41
	v_cndmask_b32_e64 v39, v29, |v39|, s[2:3]
	v_cmp_o_f32_e64 s[2:3], v35, v35
	v_add3_u32 v43, v37, v43, s44
	v_and_b32_e32 v40, 0xffff0000, v40
	v_cndmask_b32_e64 v35, v29, |v41|, s[2:3]
	v_cmp_o_f32_e64 s[2:3], v38, v38
	v_and_b32_e32 v41, 0xffff0000, v43
	v_cndmask_b32_e64 v38, v29, |v40|, s[2:3]
	v_cmp_o_f32_e64 s[2:3], v37, v37
	v_max3_f32 v5, v5, v39, v35
	v_cndmask_b32_e64 v35, v29, |v41|, s[2:3]
	v_max3_f32 v5, v5, v35, v38
	s_mov_b64 s[2:3], -1
	s_and_saveexec_b64 s[38:39], vcc
	s_cbranch_execz .LBB73_19
; %bb.23:                               ;   in Loop: Header=BB73_21 Depth=1
	v_add_co_u32_e32 v38, vcc, v16, v12
	v_addc_co_u32_e32 v39, vcc, v15, v13, vcc
	global_load_dwordx2 v[38:39], v[38:39], off
	v_add_co_u32_e32 v40, vcc, v24, v12
	v_addc_co_u32_e32 v41, vcc, v23, v13, vcc
	global_load_dwordx2 v[40:41], v[40:41], off
	v_mov_b32_e32 v35, s19
	v_add_co_u32_e32 v30, vcc, s23, v30
	v_addc_co_u32_e32 v31, vcc, v35, v31, vcc
	v_cmp_lt_i64_e32 vcc, v[30:31], v[10:11]
	s_mov_b64 s[40:41], -1
	s_waitcnt vmcnt(1)
	v_lshlrev_b32_e32 v35, 16, v38
	v_and_b32_e32 v30, 0xffff0000, v38
	v_mul_f32_e32 v35, v36, v35
	v_alignbit_b32 v37, v39, v38, 16
	v_and_b32_e32 v38, 0xffff0000, v39
	v_mul_f32_e32 v30, v36, v30
	v_bfe_u32 v42, v35, 16, 1
	v_mul_f32_e32 v38, v36, v38
	v_bfe_u32 v43, v30, 16, 1
	v_add3_u32 v42, v35, v42, s44
	v_and_b32_e32 v37, 0xffff0000, v37
	v_bfe_u32 v44, v38, 16, 1
	v_add3_u32 v43, v30, v43, s44
	v_and_b32_e32 v42, 0xffff0000, v42
	v_cmp_o_f32_e64 s[2:3], v35, v35
	v_mul_f32_e32 v37, v36, v37
	v_add3_u32 v44, v38, v44, s44
	v_and_b32_e32 v43, 0xffff0000, v43
	v_cndmask_b32_e64 v35, v29, v42, s[2:3]
	v_cmp_o_f32_e64 s[2:3], v30, v30
	s_waitcnt vmcnt(0)
	v_lshlrev_b32_e32 v39, 16, v40
	v_bfe_u32 v45, v37, 16, 1
	v_and_b32_e32 v44, 0xffff0000, v44
	v_cndmask_b32_e64 v30, v29, v43, s[2:3]
	v_cmp_o_f32_e64 s[2:3], v38, v38
	v_and_b32_e32 v31, 0xffff0000, v40
	v_alignbit_b32 v40, v41, v40, 16
	v_and_b32_e32 v41, 0xffff0000, v41
	v_add3_u32 v45, v37, v45, s44
	v_cndmask_b32_e64 v38, v29, v44, s[2:3]
	v_mul_f32_e32 v35, v35, v39
	v_and_b32_e32 v42, 0xffff0000, v45
	v_mul_f32_e32 v30, v30, v31
	v_cmp_o_f32_e64 s[2:3], v37, v37
	v_mul_f32_e32 v37, v38, v41
	v_bfe_u32 v38, v35, 16, 1
	v_and_b32_e32 v40, 0xffff0000, v40
	v_cndmask_b32_e64 v31, v29, v42, s[2:3]
	v_bfe_u32 v39, v30, 16, 1
	v_add3_u32 v38, v35, v38, s44
	v_mul_f32_e32 v31, v31, v40
	v_bfe_u32 v40, v37, 16, 1
	v_add3_u32 v39, v30, v39, s44
	v_and_b32_e32 v38, 0xffff0000, v38
	v_cmp_o_f32_e64 s[2:3], v35, v35
	v_bfe_u32 v41, v31, 16, 1
	v_add3_u32 v40, v37, v40, s44
	v_and_b32_e32 v39, 0xffff0000, v39
	v_cndmask_b32_e64 v35, v29, |v38|, s[2:3]
	v_cmp_o_f32_e64 s[2:3], v30, v30
	v_add3_u32 v41, v31, v41, s44
	v_and_b32_e32 v40, 0xffff0000, v40
	v_cndmask_b32_e64 v30, v29, |v39|, s[2:3]
	v_cmp_o_f32_e64 s[2:3], v37, v37
	v_and_b32_e32 v38, 0xffff0000, v41
	v_cndmask_b32_e64 v37, v29, |v40|, s[2:3]
	v_cmp_o_f32_e64 s[2:3], v31, v31
	v_max3_f32 v5, v5, v35, v30
	v_cndmask_b32_e64 v30, v29, |v38|, s[2:3]
	v_max3_f32 v5, v5, v30, v37
                                        ; implicit-def: $vgpr30_vgpr31
	s_and_saveexec_b64 s[2:3], vcc
	s_xor_b64 s[2:3], exec, s[2:3]
	s_cbranch_execz .LBB73_18
; %bb.24:                               ;   in Loop: Header=BB73_21 Depth=1
	v_add_co_u32_e32 v30, vcc, v14, v12
	v_addc_co_u32_e32 v31, vcc, v1, v13, vcc
	global_load_dwordx2 v[38:39], v[30:31], off
	v_add_co_u32_e32 v30, vcc, v22, v12
	v_addc_co_u32_e32 v31, vcc, v21, v13, vcc
	global_load_dwordx2 v[40:41], v[30:31], off
	v_mov_b32_e32 v35, s29
	v_add_co_u32_e32 v14, vcc, s28, v14
	v_addc_co_u32_e32 v1, vcc, v1, v35, vcc
	v_add_co_u32_e32 v16, vcc, s28, v16
	s_add_u32 s40, s24, s24
	v_addc_co_u32_e32 v15, vcc, v15, v35, vcc
	s_addc_u32 s41, s25, s25
	v_add_co_u32_e32 v18, vcc, s28, v18
	v_addc_co_u32_e32 v17, vcc, v17, v35, vcc
	s_add_u32 s40, s40, s24
	s_addc_u32 s41, s41, s25
	v_add_co_u32_e32 v30, vcc, s40, v32
	v_mov_b32_e32 v31, s41
	v_addc_co_u32_e32 v31, vcc, v31, v33, vcc
	s_waitcnt vmcnt(1)
	v_lshlrev_b32_e32 v37, 16, v38
	v_and_b32_e32 v32, 0xffff0000, v38
	v_mul_f32_e32 v37, v36, v37
	v_alignbit_b32 v38, v39, v38, 16
	v_and_b32_e32 v39, 0xffff0000, v39
	v_mul_f32_e32 v32, v36, v32
	v_bfe_u32 v43, v37, 16, 1
	v_mul_f32_e32 v39, v36, v39
	v_bfe_u32 v44, v32, 16, 1
	v_add3_u32 v43, v37, v43, s44
	v_and_b32_e32 v38, 0xffff0000, v38
	v_bfe_u32 v45, v39, 16, 1
	v_add3_u32 v44, v32, v44, s44
	v_and_b32_e32 v43, 0xffff0000, v43
	v_cmp_o_f32_e32 vcc, v37, v37
	v_mul_f32_e32 v38, v36, v38
	v_add3_u32 v45, v39, v45, s44
	v_and_b32_e32 v44, 0xffff0000, v44
	v_cndmask_b32_e32 v37, v29, v43, vcc
	v_cmp_o_f32_e32 vcc, v32, v32
	s_waitcnt vmcnt(0)
	v_lshlrev_b32_e32 v42, 16, v40
	v_bfe_u32 v46, v38, 16, 1
	v_and_b32_e32 v45, 0xffff0000, v45
	v_cndmask_b32_e32 v32, v29, v44, vcc
	v_cmp_o_f32_e32 vcc, v39, v39
	v_and_b32_e32 v33, 0xffff0000, v40
	v_alignbit_b32 v40, v41, v40, 16
	v_and_b32_e32 v41, 0xffff0000, v41
	v_add3_u32 v46, v38, v46, s44
	v_cndmask_b32_e32 v39, v29, v45, vcc
	v_mul_f32_e32 v37, v37, v42
	v_and_b32_e32 v43, 0xffff0000, v46
	v_mul_f32_e32 v32, v32, v33
	v_cmp_o_f32_e32 vcc, v38, v38
	v_mul_f32_e32 v38, v39, v41
	v_bfe_u32 v39, v37, 16, 1
	v_and_b32_e32 v40, 0xffff0000, v40
	v_cndmask_b32_e32 v33, v29, v43, vcc
	v_bfe_u32 v41, v32, 16, 1
	v_add3_u32 v39, v37, v39, s44
	v_mul_f32_e32 v33, v33, v40
	v_bfe_u32 v40, v38, 16, 1
	v_add3_u32 v41, v32, v41, s44
	v_and_b32_e32 v39, 0xffff0000, v39
	v_cmp_o_f32_e32 vcc, v37, v37
	v_bfe_u32 v42, v33, 16, 1
	v_add3_u32 v40, v38, v40, s44
	v_and_b32_e32 v41, 0xffff0000, v41
	v_cndmask_b32_e64 v37, v29, |v39|, vcc
	v_cmp_o_f32_e32 vcc, v32, v32
	v_add3_u32 v42, v33, v42, s44
	v_and_b32_e32 v40, 0xffff0000, v40
	v_cndmask_b32_e64 v32, v29, |v41|, vcc
	v_cmp_o_f32_e32 vcc, v38, v38
	v_and_b32_e32 v39, 0xffff0000, v42
	v_cndmask_b32_e64 v38, v29, |v40|, vcc
	v_cmp_o_f32_e32 vcc, v33, v33
	v_max3_f32 v5, v5, v37, v32
	v_cndmask_b32_e64 v32, v29, |v39|, vcc
	v_add_co_u32_e32 v20, vcc, s28, v20
	v_addc_co_u32_e32 v19, vcc, v19, v35, vcc
	v_add_co_u32_e32 v22, vcc, s28, v22
	v_addc_co_u32_e32 v21, vcc, v21, v35, vcc
	;; [unrolled: 2-line block ×5, first 2 shown]
	v_cmp_ge_i64_e32 vcc, v[30:31], v[10:11]
	v_max3_f32 v5, v5, v32, v38
	s_orn2_b64 s[40:41], vcc, exec
	s_branch .LBB73_18
.LBB73_25:
	s_or_b64 exec, exec, s[12:13]
.LBB73_26:
	s_or_b64 exec, exec, s[26:27]
	s_lshr_b32 s19, s16, 6
	v_cvt_f32_u32_e32 v10, s19
	v_lshlrev_b32_e32 v1, 2, v0
	ds_write_b32 v1, v5
	s_sub_i32 s12, 0, s19
	v_rcp_iflag_f32_e32 v5, v10
	s_add_i32 s2, s22, s19
	s_add_i32 s2, s2, -1
	s_ashr_i32 s3, s2, 31
	v_mul_f32_e32 v5, 0x4f7ffffe, v5
	v_cvt_u32_f32_e32 v5, v5
	s_abs_i32 s2, s2
	s_waitcnt lgkmcnt(0)
	s_barrier
	v_readfirstlane_b32 s13, v5
	s_mul_i32 s12, s12, s13
	s_mul_hi_u32 s12, s13, s12
	s_add_i32 s13, s13, s12
	s_mul_hi_u32 s12, s2, s13
	s_mul_i32 s13, s12, s19
	s_sub_i32 s2, s2, s13
	s_add_i32 s13, s12, 1
	s_sub_i32 s23, s2, s19
	s_cmp_ge_u32 s2, s19
	s_cselect_b32 s12, s13, s12
	s_cselect_b32 s2, s23, s2
	s_add_i32 s13, s12, 1
	s_cmp_ge_u32 s2, s19
	s_cselect_b32 s2, s13, s12
	s_xor_b32 s2, s2, s3
	s_sub_i32 s2, s2, s3
	s_ashr_i32 s3, s2, 31
	v_cmp_lt_i64_e64 s[12:13], s[2:3], 1
	s_and_b64 vcc, exec, s[12:13]
	s_cbranch_vccnz .LBB73_48
; %bb.27:
	v_and_b32_e32 v12, 63, v0
	v_add_co_u32_e32 v14, vcc, 32, v12
	v_addc_co_u32_e64 v15, s[12:13], 0, 0, vcc
	v_add_co_u32_e32 v16, vcc, 16, v12
	v_addc_co_u32_e64 v17, s[12:13], 0, 0, vcc
	;; [unrolled: 2-line block ×4, first 2 shown]
	v_add_co_u32_e32 v22, vcc, 2, v12
	v_lshrrev_b32_e32 v10, 6, v0
	v_addc_co_u32_e64 v23, s[12:13], 0, 0, vcc
	v_add_co_u32_e32 v24, vcc, 1, v12
	v_addc_co_u32_e64 v25, s[12:13], 0, 0, vcc
	v_mul_lo_u32 v5, s24, v10
	v_lshlrev_b32_e32 v5, 2, v5
	v_lshlrev_b32_e32 v26, 2, v12
	s_movk_i32 s12, 0x100
	v_mov_b32_e32 v11, 0
	v_add3_u32 v5, v5, v26, s12
	s_mul_i32 s12, s24, s19
	s_ashr_i32 s23, s22, 31
	v_mov_b32_e32 v13, v11
	s_lshl_b32 s36, s12, 2
	s_mov_b64 s[12:13], 0
	v_mov_b32_e32 v37, s19
	s_mov_b64 s[26:27], src_shared_base
	s_branch .LBB73_30
.LBB73_28:                              ;   in Loop: Header=BB73_30 Depth=1
	s_or_b64 exec, exec, s[30:31]
	v_mov_b32_e32 v27, s27
	flat_load_dword v26, v[26:27] glc
	s_waitcnt vmcnt(0)
.LBB73_29:                              ;   in Loop: Header=BB73_30 Depth=1
	s_or_b64 exec, exec, s[28:29]
	s_add_u32 s12, s12, 1
	s_addc_u32 s13, s13, 0
	s_cmp_eq_u64 s[12:13], s[2:3]
	v_add_u32_e32 v5, s36, v5
	s_cbranch_scc1 .LBB73_48
.LBB73_30:                              ; =>This Loop Header: Depth=1
                                        ;     Child Loop BB73_33 Depth 2
	v_mad_u64_u32 v[30:31], s[28:29], s12, v37, v[10:11]
	s_mul_i32 s26, s13, s19
	v_add_u32_e32 v31, s26, v31
	v_cmp_gt_i64_e32 vcc, s[22:23], v[30:31]
	s_and_saveexec_b64 s[28:29], vcc
	s_cbranch_execz .LBB73_29
; %bb.31:                               ;   in Loop: Header=BB73_30 Depth=1
	v_pk_mov_b32 v[32:33], s[24:25], s[24:25] op_sel:[0,1]
	v_mul_lo_u32 v29, v31, s24
	v_mul_lo_u32 v38, v30, s25
	v_mad_u64_u32 v[32:33], s[30:31], v30, s24, v[32:33]
	v_add3_u32 v33, v29, v33, v38
	v_mov_b32_e32 v28, s21
	v_cmp_gt_i64_e32 vcc, s[20:21], v[32:33]
	s_waitcnt lgkmcnt(0)
	v_mad_u64_u32 v[26:27], s[30:31], v30, s24, v[12:13]
	v_cndmask_b32_e32 v33, v28, v33, vcc
	v_mov_b32_e32 v28, s17
	v_add3_u32 v27, v29, v27, v38
	v_cndmask_b32_e32 v32, v28, v32, vcc
	v_add_co_u32_e32 v34, vcc, 64, v26
	v_addc_co_u32_e32 v35, vcc, 0, v27, vcc
	v_cmp_lt_i64_e32 vcc, v[34:35], v[32:33]
	v_lshlrev_b32_e32 v28, 2, v26
	s_and_saveexec_b64 s[30:31], vcc
	s_cbranch_execz .LBB73_34
; %bb.32:                               ;   in Loop: Header=BB73_30 Depth=1
	ds_read_b32 v31, v28
	s_mov_b64 s[34:35], 0
	v_mov_b32_e32 v27, v5
.LBB73_33:                              ;   Parent Loop BB73_30 Depth=1
                                        ; =>  This Inner Loop Header: Depth=2
	ds_read_b32 v39, v27
	v_add_co_u32_e32 v34, vcc, 64, v34
	v_addc_co_u32_e32 v35, vcc, 0, v35, vcc
	s_waitcnt lgkmcnt(1)
	v_max_f32_e32 v31, v31, v31
	v_cmp_ge_i64_e32 vcc, v[34:35], v[32:33]
	s_waitcnt lgkmcnt(0)
	v_max_f32_e32 v39, v39, v39
	v_add_u32_e32 v27, 0x100, v27
	s_or_b64 s[34:35], vcc, s[34:35]
	v_max_f32_e32 v31, v31, v39
	ds_write_b32 v28, v31
	s_andn2_b64 exec, exec, s[34:35]
	s_cbranch_execnz .LBB73_33
.LBB73_34:                              ;   in Loop: Header=BB73_30 Depth=1
	s_or_b64 exec, exec, s[30:31]
	v_mad_u64_u32 v[30:31], s[30:31], v30, s24, 0
	v_add3_u32 v27, v31, v38, v29
	v_sub_co_u32_e32 v30, vcc, v32, v30
	v_subb_co_u32_e32 v31, vcc, v33, v27, vcc
	v_cmp_gt_i64_e32 vcc, 64, v[30:31]
	v_cndmask_b32_e32 v31, 0, v31, vcc
	v_cndmask_b32_e32 v30, 64, v30, vcc
	v_cmp_lt_i64_e32 vcc, v[14:15], v[30:31]
	s_and_saveexec_b64 s[30:31], vcc
	s_cbranch_execnz .LBB73_46
; %bb.35:                               ;   in Loop: Header=BB73_30 Depth=1
	s_or_b64 exec, exec, s[30:31]
	v_cmp_lt_i64_e32 vcc, v[16:17], v[30:31]
	s_and_saveexec_b64 s[30:31], vcc
	s_cbranch_execnz .LBB73_47
.LBB73_36:                              ;   in Loop: Header=BB73_30 Depth=1
	s_or_b64 exec, exec, s[30:31]
	v_cmp_lt_i64_e32 vcc, v[18:19], v[30:31]
	s_and_saveexec_b64 s[30:31], vcc
	s_cbranch_execz .LBB73_38
.LBB73_37:                              ;   in Loop: Header=BB73_30 Depth=1
	v_mov_b32_e32 v29, s27
	v_add_u32_e32 v32, 32, v28
	v_mov_b32_e32 v33, s27
	flat_load_dword v27, v[28:29] glc
	s_waitcnt vmcnt(0)
	flat_load_dword v34, v[32:33] glc
	s_waitcnt vmcnt(0) lgkmcnt(0)
	v_max_f32_e32 v27, v27, v27
	v_max_f32_e32 v32, v34, v34
	;; [unrolled: 1-line block ×3, first 2 shown]
	flat_store_dword v[28:29], v27
	s_waitcnt vmcnt(0)
.LBB73_38:                              ;   in Loop: Header=BB73_30 Depth=1
	s_or_b64 exec, exec, s[30:31]
	v_cmp_ge_i64_e32 vcc, v[20:21], v[30:31]
	s_and_saveexec_b64 s[30:31], vcc
	s_xor_b64 s[30:31], exec, s[30:31]
; %bb.39:                               ;   in Loop: Header=BB73_30 Depth=1
                                        ; implicit-def: $vgpr28
; %bb.40:                               ;   in Loop: Header=BB73_30 Depth=1
	s_andn2_saveexec_b64 s[30:31], s[30:31]
	s_cbranch_execz .LBB73_42
; %bb.41:                               ;   in Loop: Header=BB73_30 Depth=1
	v_mov_b32_e32 v29, s27
	v_add_u32_e32 v32, 16, v28
	v_mov_b32_e32 v33, s27
	flat_load_dword v27, v[28:29] glc
	s_waitcnt vmcnt(0)
	flat_load_dword v34, v[32:33] glc
	s_waitcnt vmcnt(0) lgkmcnt(0)
	v_max_f32_e32 v27, v27, v27
	v_max_f32_e32 v32, v34, v34
	;; [unrolled: 1-line block ×3, first 2 shown]
	flat_store_dword v[28:29], v27
	s_waitcnt vmcnt(0)
.LBB73_42:                              ;   in Loop: Header=BB73_30 Depth=1
	s_or_b64 exec, exec, s[30:31]
	v_cmp_lt_i64_e32 vcc, v[22:23], v[30:31]
	v_lshlrev_b32_e32 v26, 2, v26
	s_and_saveexec_b64 s[30:31], vcc
	s_cbranch_execz .LBB73_44
; %bb.43:                               ;   in Loop: Header=BB73_30 Depth=1
	v_mov_b32_e32 v27, s27
	v_add_u32_e32 v28, 8, v26
	v_mov_b32_e32 v29, s27
	flat_load_dword v32, v[26:27] glc
	s_waitcnt vmcnt(0)
	flat_load_dword v33, v[28:29] glc
	s_waitcnt vmcnt(0) lgkmcnt(0)
	v_max_f32_e32 v28, v32, v32
	v_max_f32_e32 v29, v33, v33
	;; [unrolled: 1-line block ×3, first 2 shown]
	flat_store_dword v[26:27], v28
	s_waitcnt vmcnt(0)
.LBB73_44:                              ;   in Loop: Header=BB73_30 Depth=1
	s_or_b64 exec, exec, s[30:31]
	v_cmp_lt_i64_e32 vcc, v[24:25], v[30:31]
	s_and_saveexec_b64 s[30:31], vcc
	s_cbranch_execz .LBB73_28
; %bb.45:                               ;   in Loop: Header=BB73_30 Depth=1
	v_mov_b32_e32 v27, s27
	v_add_u32_e32 v28, 4, v26
	v_mov_b32_e32 v29, s27
	flat_load_dword v30, v[26:27] glc
	s_waitcnt vmcnt(0)
	flat_load_dword v31, v[28:29] glc
	s_waitcnt vmcnt(0) lgkmcnt(0)
	v_max_f32_e32 v28, v30, v30
	v_max_f32_e32 v29, v31, v31
	v_max_f32_e32 v28, v28, v29
	flat_store_dword v[26:27], v28
	s_waitcnt vmcnt(0)
	s_branch .LBB73_28
.LBB73_46:                              ;   in Loop: Header=BB73_30 Depth=1
	v_mov_b32_e32 v29, s27
	v_add_u32_e32 v32, 0x80, v28
	v_mov_b32_e32 v33, s27
	flat_load_dword v27, v[28:29] glc
	s_waitcnt vmcnt(0)
	flat_load_dword v34, v[32:33] glc
	s_waitcnt vmcnt(0) lgkmcnt(0)
	v_max_f32_e32 v27, v27, v27
	v_max_f32_e32 v32, v34, v34
	;; [unrolled: 1-line block ×3, first 2 shown]
	flat_store_dword v[28:29], v27
	s_waitcnt vmcnt(0)
	s_or_b64 exec, exec, s[30:31]
	v_cmp_lt_i64_e32 vcc, v[16:17], v[30:31]
	s_and_saveexec_b64 s[30:31], vcc
	s_cbranch_execz .LBB73_36
.LBB73_47:                              ;   in Loop: Header=BB73_30 Depth=1
	v_mov_b32_e32 v29, s27
	v_add_u32_e32 v32, 64, v28
	v_mov_b32_e32 v33, s27
	flat_load_dword v27, v[28:29] glc
	s_waitcnt vmcnt(0)
	flat_load_dword v34, v[32:33] glc
	s_waitcnt vmcnt(0) lgkmcnt(0)
	v_max_f32_e32 v27, v27, v27
	v_max_f32_e32 v32, v34, v34
	;; [unrolled: 1-line block ×3, first 2 shown]
	flat_store_dword v[28:29], v27
	s_waitcnt vmcnt(0)
	s_or_b64 exec, exec, s[30:31]
	v_cmp_lt_i64_e32 vcc, v[18:19], v[30:31]
	s_and_saveexec_b64 s[30:31], vcc
	s_cbranch_execnz .LBB73_37
	s_branch .LBB73_38
.LBB73_48:
	s_load_dwordx2 s[12:13], s[4:5], 0x40
	v_cmp_eq_u32_e32 vcc, 0, v4
	v_cmp_lt_i64_e64 s[2:3], v[6:7], v[8:9]
	s_and_b64 s[2:3], vcc, s[2:3]
	s_waitcnt lgkmcnt(0)
	s_barrier
	s_and_saveexec_b64 s[22:23], s[2:3]
	s_cbranch_execz .LBB73_55
; %bb.49:
	s_load_dwordx2 s[2:3], s[4:5], 0x20
	ds_read_b32 v1, v1
	s_waitcnt lgkmcnt(0)
	s_cmp_eq_u64 s[2:3], 0
	s_cbranch_scc1 .LBB73_51
; %bb.50:
	s_load_dword s2, s[2:3], 0x0
	v_max_f32_e32 v1, v1, v1
	s_waitcnt lgkmcnt(0)
	v_max_f32_e64 v4, s2, s2
	v_min_f32_e32 v1, v1, v4
.LBB73_51:
	s_add_u32 s3, s12, s43
	s_addc_u32 s4, s13, 0
	s_add_u32 s24, s3, -1
	s_addc_u32 s25, s4, -1
	s_or_b64 s[4:5], s[24:25], s[12:13]
	s_mov_b32 s2, 0
	s_mov_b32 s3, s5
	s_cmp_lg_u64 s[2:3], 0
	s_mov_b64 s[26:27], -1
	s_cbranch_scc0 .LBB73_196
; %bb.52:
	s_ashr_i32 s2, s13, 31
	s_add_u32 s4, s12, s2
	s_mov_b32 s3, s2
	s_addc_u32 s5, s13, s2
	s_xor_b64 s[28:29], s[4:5], s[2:3]
	v_cvt_f32_u32_e32 v4, s28
	v_cvt_f32_u32_e32 v5, s29
	s_sub_u32 s2, 0, s28
	s_subb_u32 s3, 0, s29
	v_madmk_f32 v4, v5, 0x4f800000, v4
	v_rcp_f32_e32 v4, v4
	v_mul_f32_e32 v4, 0x5f7ffffc, v4
	v_mul_f32_e32 v5, 0x2f800000, v4
	v_trunc_f32_e32 v5, v5
	v_madmk_f32 v4, v5, 0xcf800000, v4
	v_cvt_u32_f32_e32 v5, v5
	v_cvt_u32_f32_e32 v4, v4
	v_readfirstlane_b32 s4, v5
	v_readfirstlane_b32 s5, v4
	s_mul_i32 s19, s2, s4
	s_mul_hi_u32 s30, s2, s5
	s_mul_i32 s20, s3, s5
	s_add_i32 s19, s30, s19
	s_add_i32 s19, s19, s20
	s_mul_i32 s31, s2, s5
	s_mul_hi_u32 s20, s5, s19
	s_mul_i32 s30, s5, s19
	s_mul_hi_u32 s5, s5, s31
	s_add_u32 s5, s5, s30
	s_addc_u32 s20, 0, s20
	s_mul_hi_u32 s34, s4, s31
	s_mul_i32 s31, s4, s31
	s_add_u32 s5, s5, s31
	s_mul_hi_u32 s30, s4, s19
	s_addc_u32 s5, s20, s34
	s_addc_u32 s20, s30, 0
	s_mul_i32 s19, s4, s19
	s_add_u32 s5, s5, s19
	s_addc_u32 s19, 0, s20
	v_add_co_u32_e32 v4, vcc, s5, v4
	s_cmp_lg_u64 vcc, 0
	s_addc_u32 s4, s4, s19
	v_readfirstlane_b32 s19, v4
	s_mul_i32 s5, s2, s4
	s_mul_hi_u32 s20, s2, s19
	s_add_i32 s5, s20, s5
	s_mul_i32 s3, s3, s19
	s_add_i32 s5, s5, s3
	s_mul_i32 s2, s2, s19
	s_mul_hi_u32 s20, s4, s2
	s_mul_i32 s30, s4, s2
	s_mul_i32 s34, s19, s5
	s_mul_hi_u32 s2, s19, s2
	s_mul_hi_u32 s31, s19, s5
	s_add_u32 s2, s2, s34
	s_addc_u32 s19, 0, s31
	s_add_u32 s2, s2, s30
	s_mul_hi_u32 s3, s4, s5
	s_addc_u32 s2, s19, s20
	s_addc_u32 s3, s3, 0
	s_mul_i32 s5, s4, s5
	s_add_u32 s2, s2, s5
	s_addc_u32 s3, 0, s3
	v_add_co_u32_e32 v4, vcc, s2, v4
	s_cmp_lg_u64 vcc, 0
	s_addc_u32 s4, s4, s3
	s_ashr_i32 s30, s25, 31
	s_add_u32 s2, s24, s30
	s_mov_b32 s31, s30
	s_addc_u32 s3, s25, s30
	s_xor_b64 s[34:35], s[2:3], s[30:31]
	v_readfirstlane_b32 s5, v4
	s_mul_i32 s3, s34, s4
	s_mul_hi_u32 s19, s34, s5
	s_mul_hi_u32 s2, s34, s4
	s_add_u32 s3, s19, s3
	s_addc_u32 s2, 0, s2
	s_mul_hi_u32 s20, s35, s5
	s_mul_i32 s5, s35, s5
	s_add_u32 s3, s3, s5
	s_mul_hi_u32 s19, s35, s4
	s_addc_u32 s2, s2, s20
	s_addc_u32 s3, s19, 0
	s_mul_i32 s4, s35, s4
	s_add_u32 s2, s2, s4
	s_addc_u32 s3, 0, s3
	s_mul_i32 s3, s28, s3
	s_mul_hi_u32 s4, s28, s2
	s_add_i32 s3, s4, s3
	s_mul_i32 s4, s29, s2
	s_mul_i32 s2, s28, s2
	s_add_i32 s19, s3, s4
	v_mov_b32_e32 v4, s2
	s_sub_i32 s3, s35, s19
	v_sub_co_u32_e32 v4, vcc, s34, v4
	s_cmp_lg_u64 vcc, 0
	s_subb_u32 s20, s3, s29
	v_subrev_co_u32_e64 v5, s[2:3], s28, v4
	s_cmp_lg_u64 s[2:3], 0
	s_subb_u32 s31, s20, 0
	s_cmp_ge_u32 s31, s29
	s_cselect_b32 s34, -1, 0
	v_cmp_le_u32_e64 s[4:5], s28, v5
	s_cmp_eq_u32 s31, s29
	v_cndmask_b32_e64 v6, 0, -1, s[4:5]
	v_mov_b32_e32 v7, s34
	s_cselect_b64 s[4:5], -1, 0
	s_cmp_lg_u64 s[2:3], 0
	v_cndmask_b32_e64 v6, v7, v6, s[4:5]
	s_subb_u32 s4, s20, s29
	v_subrev_co_u32_e64 v7, s[2:3], s28, v5
	s_cmp_lg_u64 s[2:3], 0
	s_subb_u32 s4, s4, 0
	v_cmp_ne_u32_e64 s[2:3], 0, v6
	v_cndmask_b32_e64 v5, v5, v7, s[2:3]
	v_mov_b32_e32 v6, s31
	v_mov_b32_e32 v7, s4
	s_cmp_lg_u64 vcc, 0
	v_cndmask_b32_e64 v6, v6, v7, s[2:3]
	s_subb_u32 s2, s35, s19
	s_cmp_ge_u32 s2, s29
	s_cselect_b32 s3, -1, 0
	v_cmp_le_u32_e32 vcc, s28, v4
	s_cmp_eq_u32 s2, s29
	v_cndmask_b32_e64 v7, 0, -1, vcc
	v_mov_b32_e32 v8, s3
	s_cselect_b64 vcc, -1, 0
	v_cndmask_b32_e32 v7, v8, v7, vcc
	v_cmp_ne_u32_e32 vcc, 0, v7
	v_mov_b32_e32 v8, s2
	v_cndmask_b32_e32 v4, v4, v5, vcc
	v_cndmask_b32_e32 v6, v8, v6, vcc
	v_xor_b32_e32 v4, s30, v4
	v_xor_b32_e32 v5, s30, v6
	v_mov_b32_e32 v6, s30
	v_subrev_co_u32_e32 v4, vcc, s30, v4
	v_subb_co_u32_e32 v5, vcc, v5, v6, vcc
	s_cbranch_execnz .LBB73_54
.LBB73_53:
	v_cvt_f32_u32_e32 v4, s12
	s_sub_i32 s2, 0, s12
	v_rcp_iflag_f32_e32 v4, v4
	v_mul_f32_e32 v4, 0x4f7ffffe, v4
	v_cvt_u32_f32_e32 v4, v4
	v_mul_lo_u32 v5, s2, v4
	v_mul_hi_u32 v5, v4, v5
	v_add_u32_e32 v4, v4, v5
	v_mul_hi_u32 v4, s24, v4
	v_mul_lo_u32 v4, v4, s12
	v_sub_u32_e32 v4, s24, v4
	v_subrev_u32_e32 v5, s12, v4
	v_cmp_le_u32_e32 vcc, s12, v4
	v_cndmask_b32_e32 v4, v4, v5, vcc
	v_subrev_u32_e32 v5, s12, v4
	v_cmp_le_u32_e32 vcc, s12, v4
	v_cndmask_b32_e32 v4, v4, v5, vcc
	v_mov_b32_e32 v5, 0
.LBB73_54:
	s_mov_b32 s4, 0x43600000
	v_div_scale_f32 v6, s[2:3], s4, s4, v1
	v_rcp_f32_e32 v7, v6
	v_div_scale_f32 v8, vcc, v1, s4, v1
	v_fma_f32 v9, -v6, v7, 1.0
	v_fmac_f32_e32 v7, v9, v7
	v_mul_f32_e32 v9, v8, v7
	v_fma_f32 v10, -v6, v9, v8
	v_fmac_f32_e32 v9, v10, v7
	v_fma_f32 v6, -v6, v9, v8
	v_div_fmas_f32 v6, v6, v7, v9
	v_div_fixup_f32 v1, v6, s4, v1
	v_mov_b32_e32 v6, s25
	v_sub_co_u32_e32 v4, vcc, s24, v4
	v_subb_co_u32_e32 v5, vcc, v6, v5, vcc
	v_mul_lo_u32 v5, v5, v2
	v_mul_lo_u32 v6, v4, v3
	v_mad_u64_u32 v[2:3], s[2:3], v4, v2, 0
	s_lshl_b64 s[2:3], s[6:7], 2
	v_add3_u32 v3, v3, v6, v5
	s_add_u32 s2, s2, s10
	v_lshlrev_b64 v[2:3], 2, v[2:3]
	s_addc_u32 s3, s3, s11
	v_mov_b32_e32 v4, s3
	v_add_co_u32_e32 v2, vcc, s2, v2
	v_max_f32_e32 v1, 0x37124925, v1
	v_addc_co_u32_e32 v3, vcc, v4, v3, vcc
	global_store_dword v[2:3], v1, off
.LBB73_55:
	s_or_b64 exec, exec, s[22:23]
	s_barrier
	s_and_saveexec_b64 s[2:3], s[0:1]
	s_cbranch_execz .LBB73_195
; %bb.56:
	s_add_u32 s1, s12, s43
	s_addc_u32 s2, s13, 0
	s_add_u32 s4, s1, -1
	s_addc_u32 s5, s2, -1
	s_or_b64 s[2:3], s[4:5], s[12:13]
	s_mov_b32 s0, 0
	s_mov_b32 s1, s3
	s_cmp_lg_u64 s[0:1], 0
	s_mov_b64 s[22:23], -1
	s_cbranch_scc0 .LBB73_197
; %bb.57:
	s_ashr_i32 s0, s13, 31
	s_add_u32 s2, s12, s0
	s_mov_b32 s1, s0
	s_addc_u32 s3, s13, s0
	s_xor_b64 s[24:25], s[2:3], s[0:1]
	v_cvt_f32_u32_e32 v1, s24
	v_cvt_f32_u32_e32 v2, s25
	s_sub_u32 s0, 0, s24
	s_subb_u32 s1, 0, s25
	v_madmk_f32 v1, v2, 0x4f800000, v1
	v_rcp_f32_e32 v1, v1
	v_mul_f32_e32 v1, 0x5f7ffffc, v1
	v_mul_f32_e32 v2, 0x2f800000, v1
	v_trunc_f32_e32 v2, v2
	v_madmk_f32 v1, v2, 0xcf800000, v1
	v_cvt_u32_f32_e32 v2, v2
	v_cvt_u32_f32_e32 v1, v1
	v_readfirstlane_b32 s2, v2
	v_readfirstlane_b32 s3, v1
	s_mul_i32 s13, s0, s2
	s_mul_hi_u32 s20, s0, s3
	s_mul_i32 s19, s1, s3
	s_add_i32 s13, s20, s13
	s_add_i32 s13, s13, s19
	s_mul_i32 s26, s0, s3
	s_mul_hi_u32 s19, s3, s13
	s_mul_i32 s20, s3, s13
	s_mul_hi_u32 s3, s3, s26
	s_add_u32 s3, s3, s20
	s_addc_u32 s19, 0, s19
	s_mul_hi_u32 s27, s2, s26
	s_mul_i32 s26, s2, s26
	s_add_u32 s3, s3, s26
	s_mul_hi_u32 s20, s2, s13
	s_addc_u32 s3, s19, s27
	s_addc_u32 s19, s20, 0
	s_mul_i32 s13, s2, s13
	s_add_u32 s3, s3, s13
	s_addc_u32 s13, 0, s19
	v_add_co_u32_e32 v1, vcc, s3, v1
	s_cmp_lg_u64 vcc, 0
	s_addc_u32 s2, s2, s13
	v_readfirstlane_b32 s13, v1
	s_mul_i32 s3, s0, s2
	s_mul_hi_u32 s19, s0, s13
	s_add_i32 s3, s19, s3
	s_mul_i32 s1, s1, s13
	s_add_i32 s3, s3, s1
	s_mul_i32 s0, s0, s13
	s_mul_hi_u32 s19, s2, s0
	s_mul_i32 s20, s2, s0
	s_mul_i32 s27, s13, s3
	s_mul_hi_u32 s0, s13, s0
	s_mul_hi_u32 s26, s13, s3
	s_add_u32 s0, s0, s27
	s_addc_u32 s13, 0, s26
	s_add_u32 s0, s0, s20
	s_mul_hi_u32 s1, s2, s3
	s_addc_u32 s0, s13, s19
	s_addc_u32 s1, s1, 0
	s_mul_i32 s3, s2, s3
	s_add_u32 s0, s0, s3
	s_addc_u32 s1, 0, s1
	v_add_co_u32_e32 v1, vcc, s0, v1
	s_cmp_lg_u64 vcc, 0
	s_addc_u32 s2, s2, s1
	s_ashr_i32 s26, s5, 31
	s_add_u32 s0, s4, s26
	s_mov_b32 s27, s26
	s_addc_u32 s1, s5, s26
	s_xor_b64 s[28:29], s[0:1], s[26:27]
	v_readfirstlane_b32 s3, v1
	s_mul_i32 s1, s28, s2
	s_mul_hi_u32 s13, s28, s3
	s_mul_hi_u32 s0, s28, s2
	s_add_u32 s1, s13, s1
	s_addc_u32 s0, 0, s0
	s_mul_hi_u32 s19, s29, s3
	s_mul_i32 s3, s29, s3
	s_add_u32 s1, s1, s3
	s_mul_hi_u32 s13, s29, s2
	s_addc_u32 s0, s0, s19
	s_addc_u32 s1, s13, 0
	s_mul_i32 s2, s29, s2
	s_add_u32 s0, s0, s2
	s_addc_u32 s1, 0, s1
	s_mul_i32 s1, s24, s1
	s_mul_hi_u32 s2, s24, s0
	s_add_i32 s1, s2, s1
	s_mul_i32 s2, s25, s0
	s_mul_i32 s0, s24, s0
	s_add_i32 s13, s1, s2
	v_mov_b32_e32 v1, s0
	s_sub_i32 s1, s29, s13
	v_sub_co_u32_e32 v1, vcc, s28, v1
	s_cmp_lg_u64 vcc, 0
	s_subb_u32 s19, s1, s25
	v_subrev_co_u32_e64 v2, s[0:1], s24, v1
	s_cmp_lg_u64 s[0:1], 0
	s_subb_u32 s20, s19, 0
	s_cmp_ge_u32 s20, s25
	s_cselect_b32 s27, -1, 0
	v_cmp_le_u32_e64 s[2:3], s24, v2
	s_cmp_eq_u32 s20, s25
	v_cndmask_b32_e64 v3, 0, -1, s[2:3]
	v_mov_b32_e32 v4, s27
	s_cselect_b64 s[2:3], -1, 0
	s_cmp_lg_u64 s[0:1], 0
	v_cndmask_b32_e64 v3, v4, v3, s[2:3]
	s_subb_u32 s2, s19, s25
	v_subrev_co_u32_e64 v4, s[0:1], s24, v2
	s_cmp_lg_u64 s[0:1], 0
	s_subb_u32 s2, s2, 0
	v_cmp_ne_u32_e64 s[0:1], 0, v3
	v_cndmask_b32_e64 v2, v2, v4, s[0:1]
	v_mov_b32_e32 v3, s20
	v_mov_b32_e32 v4, s2
	s_cmp_lg_u64 vcc, 0
	v_cndmask_b32_e64 v3, v3, v4, s[0:1]
	s_subb_u32 s0, s29, s13
	s_cmp_ge_u32 s0, s25
	s_cselect_b32 s1, -1, 0
	v_cmp_le_u32_e32 vcc, s24, v1
	s_cmp_eq_u32 s0, s25
	v_cndmask_b32_e64 v4, 0, -1, vcc
	v_mov_b32_e32 v5, s1
	s_cselect_b64 vcc, -1, 0
	v_cndmask_b32_e32 v4, v5, v4, vcc
	v_cmp_ne_u32_e32 vcc, 0, v4
	v_mov_b32_e32 v5, s0
	v_cndmask_b32_e32 v1, v1, v2, vcc
	v_cndmask_b32_e32 v3, v5, v3, vcc
	v_xor_b32_e32 v1, s26, v1
	v_xor_b32_e32 v3, s26, v3
	v_mov_b32_e32 v4, s26
	v_subrev_co_u32_e32 v2, vcc, s26, v1
	v_subb_co_u32_e32 v3, vcc, v3, v4, vcc
	s_cbranch_execnz .LBB73_59
.LBB73_58:
	v_cvt_f32_u32_e32 v1, s12
	s_sub_i32 s0, 0, s12
	v_mov_b32_e32 v3, 0
	v_rcp_iflag_f32_e32 v1, v1
	v_mul_f32_e32 v1, 0x4f7ffffe, v1
	v_cvt_u32_f32_e32 v1, v1
	v_mul_lo_u32 v2, s0, v1
	v_mul_hi_u32 v2, v1, v2
	v_add_u32_e32 v1, v1, v2
	v_mul_hi_u32 v1, s4, v1
	v_mul_lo_u32 v1, v1, s12
	v_sub_u32_e32 v1, s4, v1
	v_subrev_u32_e32 v2, s12, v1
	v_cmp_le_u32_e32 vcc, s12, v1
	v_cndmask_b32_e32 v1, v1, v2, vcc
	v_subrev_u32_e32 v2, s12, v1
	v_cmp_le_u32_e32 vcc, s12, v1
	v_cndmask_b32_e32 v2, v1, v2, vcc
.LBB73_59:
	s_mul_i32 s0, s21, s6
	s_mul_hi_u32 s1, s17, s6
	s_add_i32 s1, s1, s0
	s_mul_i32 s0, s17, s6
	s_add_u32 s17, s8, s0
	s_addc_u32 s19, s9, s1
	s_lshl_b64 s[0:1], s[6:7], 2
	s_add_u32 s20, s10, s0
	s_addc_u32 s21, s11, s1
	v_mov_b32_e32 v1, s5
	v_sub_co_u32_e32 v10, vcc, s4, v2
	v_subb_co_u32_e32 v11, vcc, v1, v3, vcc
	s_mul_i32 s22, s16, 3
	s_lshl_b32 s23, s16, 1
	s_mov_b64 s[0:1], 0
	v_mov_b32_e32 v1, 0
	v_mov_b32_e32 v12, s42
	v_mov_b32_e32 v13, s15
	v_mov_b32_e32 v14, s21
	s_movk_i32 s24, 0x7fff
	v_mov_b32_e32 v15, 0x7fc00000
	s_mov_b32 s25, 0x43800000
	s_mov_b32 s26, 0x3bffffff
	;; [unrolled: 1-line block ×4, first 2 shown]
	s_movk_i32 s29, 0x80
	s_mov_b32 s30, 0x4020c0c
	s_branch .LBB73_65
.LBB73_60:                              ;   in Loop: Header=BB73_65 Depth=1
	s_or_b64 exec, exec, s[12:13]
.LBB73_61:                              ;   in Loop: Header=BB73_65 Depth=1
	s_or_b64 exec, exec, s[8:9]
	v_lshlrev_b64 v[16:17], 2, v[0:1]
	v_mov_b32_e32 v0, s19
	v_add_co_u32_e32 v16, vcc, s17, v16
	v_addc_co_u32_e32 v17, vcc, v0, v17, vcc
	v_lshlrev_b32_e32 v0, 16, v6
	v_lshlrev_b32_e32 v3, 8, v8
	v_perm_b32 v0, v4, v0, s30
	v_and_b32_e32 v3, 0xff00, v3
	v_and_b32_e32 v4, 0xff, v9
	s_add_i32 s8, s16, s16
	v_or3_b32 v0, v0, v3, v4
	s_add_i32 s8, s8, s16
	global_store_dword v[16:17], v0, off
	v_add_u32_e32 v0, s8, v2
	v_cmp_le_u32_e32 vcc, s18, v0
	s_orn2_b64 s[8:9], vcc, exec
.LBB73_62:                              ;   in Loop: Header=BB73_65 Depth=1
	s_or_b64 exec, exec, s[6:7]
	s_orn2_b64 s[6:7], s[8:9], exec
.LBB73_63:                              ;   in Loop: Header=BB73_65 Depth=1
	s_or_b64 exec, exec, s[4:5]
	s_orn2_b64 s[4:5], s[6:7], exec
.LBB73_64:                              ;   in Loop: Header=BB73_65 Depth=1
	s_or_b64 exec, exec, s[2:3]
	s_and_b64 s[2:3], exec, s[4:5]
	s_or_b64 s[0:1], s[2:3], s[0:1]
	s_andn2_b64 exec, exec, s[0:1]
	s_cbranch_execz .LBB73_195
.LBB73_65:                              ; =>This Inner Loop Header: Depth=1
	v_lshlrev_b64 v[2:3], 3, v[0:1]
	v_add_co_u32_e32 v4, vcc, s33, v2
	v_addc_co_u32_e32 v5, vcc, v12, v3, vcc
	global_load_dwordx2 v[4:5], v[4:5], off
	v_add_co_u32_e32 v2, vcc, s14, v2
	v_bfe_u32 v9, v0, 5, 25
	v_addc_co_u32_e32 v3, vcc, v13, v3, vcc
	v_mad_u64_u32 v[6:7], s[2:3], v10, v9, 0
	global_load_dwordx2 v[2:3], v[2:3], off
	v_mov_b32_e32 v8, v7
	v_mad_u64_u32 v[8:9], s[2:3], v11, v9, v[8:9]
	v_mov_b32_e32 v7, v8
	v_lshlrev_b64 v[6:7], 2, v[6:7]
	v_add_co_u32_e32 v6, vcc, s20, v6
	v_addc_co_u32_e32 v7, vcc, v14, v7, vcc
	global_load_dword v6, v[6:7], off
	s_waitcnt vmcnt(2)
	v_lshlrev_b32_e32 v7, 16, v4
	v_mul_f32_e32 v7, v36, v7
	v_bfe_u32 v9, v7, 16, 1
	v_add3_u32 v9, v7, v9, s24
	v_and_b32_e32 v9, 0xffff0000, v9
	v_cmp_o_f32_e32 vcc, v7, v7
	v_cndmask_b32_e32 v7, v15, v9, vcc
	s_waitcnt vmcnt(1)
	v_lshlrev_b32_e32 v8, 16, v2
	v_mul_f32_e32 v7, v7, v8
	v_bfe_u32 v8, v7, 16, 1
	v_add3_u32 v8, v7, v8, s24
	v_and_b32_e32 v8, 0xffff0000, v8
	v_cmp_o_f32_e32 vcc, v7, v7
	v_cndmask_b32_e32 v8, v15, v8, vcc
	v_mov_b32_e32 v7, 0x80
	s_waitcnt vmcnt(0)
	v_div_scale_f32 v9, s[2:3], v6, v6, v8
	v_rcp_f32_e32 v16, v9
	v_div_scale_f32 v17, vcc, v8, v6, v8
	v_fma_f32 v18, -v9, v16, 1.0
	v_fmac_f32_e32 v16, v18, v16
	v_mul_f32_e32 v18, v17, v16
	v_fma_f32 v19, -v9, v18, v17
	v_fmac_f32_e32 v18, v19, v16
	v_fma_f32 v9, -v9, v18, v17
	v_div_fmas_f32 v9, v9, v16, v18
	v_div_fixup_f32 v8, v9, v6, v8
	v_min_f32_e32 v8, 0x43600000, v8
	v_max_f32_e32 v9, 0xc3600000, v8
	v_and_b32_e32 v16, 0x7fffffff, v9
	v_cmp_gt_u32_e32 vcc, s25, v16
	v_mov_b32_e32 v8, 0x80
	s_and_saveexec_b64 s[2:3], vcc
	s_cbranch_execz .LBB73_71
; %bb.66:                               ;   in Loop: Header=BB73_65 Depth=1
	v_cmp_lt_u32_e32 vcc, s26, v16
	s_mov_b64 s[4:5], 0
                                        ; implicit-def: $vgpr16
	s_and_saveexec_b64 s[6:7], vcc
	s_xor_b64 s[6:7], exec, s[6:7]
	s_cbranch_execnz .LBB73_162
; %bb.67:                               ;   in Loop: Header=BB73_65 Depth=1
	s_or_saveexec_b64 s[6:7], s[6:7]
                                        ; implicit-def: $sgpr8
	s_xor_b64 exec, exec, s[6:7]
	s_cbranch_execnz .LBB73_163
.LBB73_68:                              ;   in Loop: Header=BB73_65 Depth=1
	s_or_b64 exec, exec, s[6:7]
	v_mov_b32_e32 v8, s8
	s_and_saveexec_b64 s[6:7], s[4:5]
.LBB73_69:                              ;   in Loop: Header=BB73_65 Depth=1
	v_lshrrev_b32_e32 v8, 24, v9
	v_and_or_b32 v8, v8, s29, v16
.LBB73_70:                              ;   in Loop: Header=BB73_65 Depth=1
	s_or_b64 exec, exec, s[6:7]
.LBB73_71:                              ;   in Loop: Header=BB73_65 Depth=1
	s_or_b64 exec, exec, s[2:3]
	v_and_b32_e32 v9, 0xffff0000, v4
	v_mul_f32_e32 v9, v36, v9
	v_bfe_u32 v17, v9, 16, 1
	v_add3_u32 v17, v9, v17, s24
	v_and_b32_e32 v17, 0xffff0000, v17
	v_cmp_o_f32_e32 vcc, v9, v9
	v_and_b32_e32 v16, 0xffff0000, v2
	v_cndmask_b32_e32 v9, v15, v17, vcc
	v_mul_f32_e32 v9, v9, v16
	v_bfe_u32 v16, v9, 16, 1
	v_add3_u32 v16, v9, v16, s24
	v_and_b32_e32 v16, 0xffff0000, v16
	v_cmp_o_f32_e32 vcc, v9, v9
	v_cndmask_b32_e32 v9, v15, v16, vcc
	v_div_scale_f32 v16, s[2:3], v6, v6, v9
	v_rcp_f32_e32 v17, v16
	v_fma_f32 v18, -v16, v17, 1.0
	v_fmac_f32_e32 v17, v18, v17
	v_div_scale_f32 v18, vcc, v9, v6, v9
	v_mul_f32_e32 v19, v18, v17
	v_fma_f32 v20, -v16, v19, v18
	v_fmac_f32_e32 v19, v20, v17
	v_fma_f32 v16, -v16, v19, v18
	v_div_fmas_f32 v16, v16, v17, v19
	v_div_fixup_f32 v9, v16, v6, v9
	v_min_f32_e32 v9, 0x43600000, v9
	v_max_f32_e32 v9, 0xc3600000, v9
	v_and_b32_e32 v16, 0x7fffffff, v9
	v_cmp_gt_u32_e32 vcc, s25, v16
	s_and_saveexec_b64 s[2:3], vcc
	s_cbranch_execz .LBB73_77
; %bb.72:                               ;   in Loop: Header=BB73_65 Depth=1
	v_cmp_lt_u32_e32 vcc, s26, v16
	s_mov_b64 s[4:5], 0
                                        ; implicit-def: $vgpr16
	s_and_saveexec_b64 s[6:7], vcc
	s_xor_b64 s[6:7], exec, s[6:7]
	s_cbranch_execnz .LBB73_164
; %bb.73:                               ;   in Loop: Header=BB73_65 Depth=1
	s_or_saveexec_b64 s[6:7], s[6:7]
                                        ; implicit-def: $sgpr8
	s_xor_b64 exec, exec, s[6:7]
	s_cbranch_execnz .LBB73_165
.LBB73_74:                              ;   in Loop: Header=BB73_65 Depth=1
	s_or_b64 exec, exec, s[6:7]
	v_mov_b32_e32 v7, s8
	s_and_saveexec_b64 s[6:7], s[4:5]
.LBB73_75:                              ;   in Loop: Header=BB73_65 Depth=1
	v_lshrrev_b32_e32 v7, 24, v9
	v_and_or_b32 v7, v7, s29, v16
.LBB73_76:                              ;   in Loop: Header=BB73_65 Depth=1
	s_or_b64 exec, exec, s[6:7]
.LBB73_77:                              ;   in Loop: Header=BB73_65 Depth=1
	s_or_b64 exec, exec, s[2:3]
	v_alignbit_b32 v4, v5, v4, 16
	v_and_b32_e32 v4, 0xffff0000, v4
	v_mul_f32_e32 v4, v36, v4
	v_bfe_u32 v9, v4, 16, 1
	v_add3_u32 v9, v4, v9, s24
	v_and_b32_e32 v9, 0xffff0000, v9
	v_cmp_o_f32_e32 vcc, v4, v4
	v_alignbit_b32 v2, v3, v2, 16
	v_cndmask_b32_e32 v4, v15, v9, vcc
	v_and_b32_e32 v2, 0xffff0000, v2
	v_mul_f32_e32 v2, v4, v2
	v_bfe_u32 v4, v2, 16, 1
	v_add3_u32 v4, v2, v4, s24
	v_and_b32_e32 v4, 0xffff0000, v4
	v_cmp_o_f32_e32 vcc, v2, v2
	v_cndmask_b32_e32 v2, v15, v4, vcc
	v_div_scale_f32 v4, s[2:3], v6, v6, v2
	v_rcp_f32_e32 v9, v4
	v_fma_f32 v16, -v4, v9, 1.0
	v_fmac_f32_e32 v9, v16, v9
	v_div_scale_f32 v16, vcc, v2, v6, v2
	v_mul_f32_e32 v17, v16, v9
	v_fma_f32 v18, -v4, v17, v16
	v_fmac_f32_e32 v17, v18, v9
	v_fma_f32 v4, -v4, v17, v16
	v_div_fmas_f32 v4, v4, v9, v17
	v_div_fixup_f32 v2, v4, v6, v2
	v_min_f32_e32 v2, 0x43600000, v2
	v_max_f32_e32 v9, 0xc3600000, v2
	v_and_b32_e32 v16, 0x7fffffff, v9
	v_cmp_gt_u32_e32 vcc, s25, v16
	v_mov_b32_e32 v2, 0x80
	v_mov_b32_e32 v4, 0x80
	s_and_saveexec_b64 s[2:3], vcc
	s_cbranch_execz .LBB73_83
; %bb.78:                               ;   in Loop: Header=BB73_65 Depth=1
	v_cmp_lt_u32_e32 vcc, s26, v16
	s_mov_b64 s[4:5], 0
                                        ; implicit-def: $vgpr16
	s_and_saveexec_b64 s[6:7], vcc
	s_xor_b64 s[6:7], exec, s[6:7]
	s_cbranch_execnz .LBB73_166
; %bb.79:                               ;   in Loop: Header=BB73_65 Depth=1
	s_or_saveexec_b64 s[6:7], s[6:7]
                                        ; implicit-def: $sgpr8
	s_xor_b64 exec, exec, s[6:7]
	s_cbranch_execnz .LBB73_167
.LBB73_80:                              ;   in Loop: Header=BB73_65 Depth=1
	s_or_b64 exec, exec, s[6:7]
	v_mov_b32_e32 v4, s8
	s_and_saveexec_b64 s[6:7], s[4:5]
.LBB73_81:                              ;   in Loop: Header=BB73_65 Depth=1
	v_lshrrev_b32_e32 v4, 24, v9
	v_and_or_b32 v4, v4, s29, v16
.LBB73_82:                              ;   in Loop: Header=BB73_65 Depth=1
	s_or_b64 exec, exec, s[6:7]
.LBB73_83:                              ;   in Loop: Header=BB73_65 Depth=1
	s_or_b64 exec, exec, s[2:3]
	v_and_b32_e32 v5, 0xffff0000, v5
	v_mul_f32_e32 v5, v36, v5
	v_bfe_u32 v9, v5, 16, 1
	v_add3_u32 v9, v5, v9, s24
	v_and_b32_e32 v9, 0xffff0000, v9
	v_cmp_o_f32_e32 vcc, v5, v5
	v_cndmask_b32_e32 v5, v15, v9, vcc
	v_and_b32_e32 v3, 0xffff0000, v3
	v_mul_f32_e32 v3, v5, v3
	v_bfe_u32 v5, v3, 16, 1
	v_add3_u32 v5, v3, v5, s24
	v_and_b32_e32 v5, 0xffff0000, v5
	v_cmp_o_f32_e32 vcc, v3, v3
	v_cndmask_b32_e32 v3, v15, v5, vcc
	v_div_scale_f32 v5, s[2:3], v6, v6, v3
	v_rcp_f32_e32 v9, v5
	v_fma_f32 v16, -v5, v9, 1.0
	v_fmac_f32_e32 v9, v16, v9
	v_div_scale_f32 v16, vcc, v3, v6, v3
	v_mul_f32_e32 v17, v16, v9
	v_fma_f32 v18, -v5, v17, v16
	v_fmac_f32_e32 v17, v18, v9
	v_fma_f32 v5, -v5, v17, v16
	v_div_fmas_f32 v5, v5, v9, v17
	v_div_fixup_f32 v3, v5, v6, v3
	v_min_f32_e32 v3, 0x43600000, v3
	v_max_f32_e32 v3, 0xc3600000, v3
	v_and_b32_e32 v5, 0x7fffffff, v3
	v_cmp_gt_u32_e32 vcc, s25, v5
	s_and_saveexec_b64 s[2:3], vcc
	s_cbranch_execz .LBB73_89
; %bb.84:                               ;   in Loop: Header=BB73_65 Depth=1
	v_cmp_lt_u32_e32 vcc, s26, v5
	s_mov_b64 s[4:5], 0
                                        ; implicit-def: $vgpr5
	s_and_saveexec_b64 s[6:7], vcc
	s_xor_b64 s[6:7], exec, s[6:7]
	s_cbranch_execnz .LBB73_168
; %bb.85:                               ;   in Loop: Header=BB73_65 Depth=1
	s_or_saveexec_b64 s[6:7], s[6:7]
                                        ; implicit-def: $sgpr8
	s_xor_b64 exec, exec, s[6:7]
	s_cbranch_execnz .LBB73_169
.LBB73_86:                              ;   in Loop: Header=BB73_65 Depth=1
	s_or_b64 exec, exec, s[6:7]
	v_mov_b32_e32 v2, s8
	s_and_saveexec_b64 s[6:7], s[4:5]
.LBB73_87:                              ;   in Loop: Header=BB73_65 Depth=1
	v_lshrrev_b32_e32 v2, 24, v3
	v_and_or_b32 v2, v2, s29, v5
.LBB73_88:                              ;   in Loop: Header=BB73_65 Depth=1
	s_or_b64 exec, exec, s[6:7]
.LBB73_89:                              ;   in Loop: Header=BB73_65 Depth=1
	s_or_b64 exec, exec, s[2:3]
	v_lshlrev_b64 v[16:17], 2, v[0:1]
	v_mov_b32_e32 v3, s19
	v_add_co_u32_e32 v16, vcc, s17, v16
	v_addc_co_u32_e32 v17, vcc, v3, v17, vcc
	v_lshlrev_b32_e32 v3, 16, v4
	v_perm_b32 v2, v2, v3, s30
	v_lshlrev_b32_e32 v3, 8, v7
	v_and_b32_e32 v3, 0xff00, v3
	v_and_b32_e32 v4, 0xff, v8
	v_or3_b32 v2, v2, v3, v4
	global_store_dword v[16:17], v2, off
	v_add_u32_e32 v2, s16, v0
	v_cmp_gt_u32_e32 vcc, s18, v2
	s_mov_b64 s[4:5], -1
	s_and_saveexec_b64 s[2:3], vcc
	s_cbranch_execz .LBB73_64
; %bb.90:                               ;   in Loop: Header=BB73_65 Depth=1
	v_mov_b32_e32 v3, v1
	v_lshlrev_b64 v[6:7], 3, v[2:3]
	v_mov_b32_e32 v5, s42
	v_add_co_u32_e32 v4, vcc, s33, v6
	v_addc_co_u32_e32 v5, vcc, v5, v7, vcc
	global_load_dwordx2 v[4:5], v[4:5], off
	v_mov_b32_e32 v8, s15
	v_add_co_u32_e32 v6, vcc, s14, v6
	v_bfe_u32 v17, v2, 5, 25
	v_addc_co_u32_e32 v7, vcc, v8, v7, vcc
	v_mad_u64_u32 v[8:9], s[4:5], v10, v17, 0
	global_load_dwordx2 v[6:7], v[6:7], off
	v_mov_b32_e32 v16, v9
	v_mad_u64_u32 v[16:17], s[4:5], v11, v17, v[16:17]
	v_mov_b32_e32 v9, v16
	v_lshlrev_b64 v[8:9], 2, v[8:9]
	v_mov_b32_e32 v16, s21
	v_add_co_u32_e32 v8, vcc, s20, v8
	v_addc_co_u32_e32 v9, vcc, v16, v9, vcc
	global_load_dword v8, v[8:9], off
	s_waitcnt vmcnt(2)
	v_lshlrev_b32_e32 v9, 16, v4
	v_mul_f32_e32 v9, v36, v9
	v_bfe_u32 v17, v9, 16, 1
	v_add3_u32 v17, v9, v17, s24
	v_and_b32_e32 v17, 0xffff0000, v17
	v_cmp_o_f32_e32 vcc, v9, v9
	v_cndmask_b32_e32 v9, v15, v17, vcc
	s_waitcnt vmcnt(1)
	v_lshlrev_b32_e32 v16, 16, v6
	v_mul_f32_e32 v9, v9, v16
	v_bfe_u32 v16, v9, 16, 1
	v_add3_u32 v16, v9, v16, s24
	v_and_b32_e32 v16, 0xffff0000, v16
	v_cmp_o_f32_e32 vcc, v9, v9
	v_cndmask_b32_e32 v16, v15, v16, vcc
	v_mov_b32_e32 v9, 0x80
	s_waitcnt vmcnt(0)
	v_div_scale_f32 v17, s[4:5], v8, v8, v16
	v_rcp_f32_e32 v18, v17
	v_div_scale_f32 v19, vcc, v16, v8, v16
	v_fma_f32 v20, -v17, v18, 1.0
	v_fmac_f32_e32 v18, v20, v18
	v_mul_f32_e32 v20, v19, v18
	v_fma_f32 v21, -v17, v20, v19
	v_fmac_f32_e32 v20, v21, v18
	v_fma_f32 v17, -v17, v20, v19
	v_div_fmas_f32 v17, v17, v18, v20
	v_div_fixup_f32 v16, v17, v8, v16
	v_min_f32_e32 v16, 0x43600000, v16
	v_max_f32_e32 v17, 0xc3600000, v16
	v_and_b32_e32 v18, 0x7fffffff, v17
	v_cmp_gt_u32_e32 vcc, s25, v18
	v_mov_b32_e32 v16, 0x80
	s_and_saveexec_b64 s[4:5], vcc
	s_cbranch_execz .LBB73_96
; %bb.91:                               ;   in Loop: Header=BB73_65 Depth=1
	v_cmp_lt_u32_e32 vcc, s26, v18
	s_mov_b64 s[6:7], 0
                                        ; implicit-def: $vgpr18
	s_and_saveexec_b64 s[8:9], vcc
	s_xor_b64 s[8:9], exec, s[8:9]
	s_cbranch_execnz .LBB73_170
; %bb.92:                               ;   in Loop: Header=BB73_65 Depth=1
	s_or_saveexec_b64 s[8:9], s[8:9]
                                        ; implicit-def: $sgpr10
	s_xor_b64 exec, exec, s[8:9]
	s_cbranch_execnz .LBB73_171
.LBB73_93:                              ;   in Loop: Header=BB73_65 Depth=1
	s_or_b64 exec, exec, s[8:9]
	v_mov_b32_e32 v16, s10
	s_and_saveexec_b64 s[8:9], s[6:7]
.LBB73_94:                              ;   in Loop: Header=BB73_65 Depth=1
	v_lshrrev_b32_e32 v16, 24, v17
	v_and_or_b32 v16, v16, s29, v18
.LBB73_95:                              ;   in Loop: Header=BB73_65 Depth=1
	s_or_b64 exec, exec, s[8:9]
.LBB73_96:                              ;   in Loop: Header=BB73_65 Depth=1
	s_or_b64 exec, exec, s[4:5]
	v_and_b32_e32 v17, 0xffff0000, v4
	v_mul_f32_e32 v17, v36, v17
	v_bfe_u32 v19, v17, 16, 1
	v_add3_u32 v19, v17, v19, s24
	v_and_b32_e32 v19, 0xffff0000, v19
	v_cmp_o_f32_e32 vcc, v17, v17
	v_and_b32_e32 v18, 0xffff0000, v6
	v_cndmask_b32_e32 v17, v15, v19, vcc
	v_mul_f32_e32 v17, v17, v18
	v_bfe_u32 v18, v17, 16, 1
	v_add3_u32 v18, v17, v18, s24
	v_and_b32_e32 v18, 0xffff0000, v18
	v_cmp_o_f32_e32 vcc, v17, v17
	v_cndmask_b32_e32 v17, v15, v18, vcc
	v_div_scale_f32 v18, s[4:5], v8, v8, v17
	v_rcp_f32_e32 v19, v18
	v_fma_f32 v20, -v18, v19, 1.0
	v_fmac_f32_e32 v19, v20, v19
	v_div_scale_f32 v20, vcc, v17, v8, v17
	v_mul_f32_e32 v21, v20, v19
	v_fma_f32 v22, -v18, v21, v20
	v_fmac_f32_e32 v21, v22, v19
	v_fma_f32 v18, -v18, v21, v20
	v_div_fmas_f32 v18, v18, v19, v21
	v_div_fixup_f32 v17, v18, v8, v17
	v_min_f32_e32 v17, 0x43600000, v17
	v_max_f32_e32 v17, 0xc3600000, v17
	v_and_b32_e32 v18, 0x7fffffff, v17
	v_cmp_gt_u32_e32 vcc, s25, v18
	s_and_saveexec_b64 s[4:5], vcc
	s_cbranch_execz .LBB73_102
; %bb.97:                               ;   in Loop: Header=BB73_65 Depth=1
	v_cmp_lt_u32_e32 vcc, s26, v18
	s_mov_b64 s[6:7], 0
                                        ; implicit-def: $vgpr18
	s_and_saveexec_b64 s[8:9], vcc
	s_xor_b64 s[8:9], exec, s[8:9]
	s_cbranch_execnz .LBB73_172
; %bb.98:                               ;   in Loop: Header=BB73_65 Depth=1
	s_or_saveexec_b64 s[8:9], s[8:9]
                                        ; implicit-def: $sgpr10
	s_xor_b64 exec, exec, s[8:9]
	s_cbranch_execnz .LBB73_173
.LBB73_99:                              ;   in Loop: Header=BB73_65 Depth=1
	s_or_b64 exec, exec, s[8:9]
	v_mov_b32_e32 v9, s10
	s_and_saveexec_b64 s[8:9], s[6:7]
.LBB73_100:                             ;   in Loop: Header=BB73_65 Depth=1
	v_lshrrev_b32_e32 v9, 24, v17
	v_and_or_b32 v9, v9, s29, v18
.LBB73_101:                             ;   in Loop: Header=BB73_65 Depth=1
	s_or_b64 exec, exec, s[8:9]
.LBB73_102:                             ;   in Loop: Header=BB73_65 Depth=1
	s_or_b64 exec, exec, s[4:5]
	v_alignbit_b32 v4, v5, v4, 16
	v_and_b32_e32 v4, 0xffff0000, v4
	v_mul_f32_e32 v4, v36, v4
	v_bfe_u32 v17, v4, 16, 1
	v_add3_u32 v17, v4, v17, s24
	v_and_b32_e32 v17, 0xffff0000, v17
	v_cmp_o_f32_e32 vcc, v4, v4
	v_alignbit_b32 v6, v7, v6, 16
	v_cndmask_b32_e32 v4, v15, v17, vcc
	v_and_b32_e32 v6, 0xffff0000, v6
	v_mul_f32_e32 v4, v4, v6
	v_bfe_u32 v6, v4, 16, 1
	v_add3_u32 v6, v4, v6, s24
	v_and_b32_e32 v6, 0xffff0000, v6
	v_cmp_o_f32_e32 vcc, v4, v4
	v_cndmask_b32_e32 v4, v15, v6, vcc
	v_div_scale_f32 v6, s[4:5], v8, v8, v4
	v_rcp_f32_e32 v17, v6
	v_fma_f32 v18, -v6, v17, 1.0
	v_fmac_f32_e32 v17, v18, v17
	v_div_scale_f32 v18, vcc, v4, v8, v4
	v_mul_f32_e32 v19, v18, v17
	v_fma_f32 v20, -v6, v19, v18
	v_fmac_f32_e32 v19, v20, v17
	v_fma_f32 v6, -v6, v19, v18
	v_div_fmas_f32 v6, v6, v17, v19
	v_div_fixup_f32 v4, v6, v8, v4
	v_min_f32_e32 v4, 0x43600000, v4
	v_max_f32_e32 v17, 0xc3600000, v4
	v_and_b32_e32 v18, 0x7fffffff, v17
	v_cmp_gt_u32_e32 vcc, s25, v18
	v_mov_b32_e32 v4, 0x80
	v_mov_b32_e32 v6, 0x80
	s_and_saveexec_b64 s[4:5], vcc
	s_cbranch_execz .LBB73_108
; %bb.103:                              ;   in Loop: Header=BB73_65 Depth=1
	v_cmp_lt_u32_e32 vcc, s26, v18
	s_mov_b64 s[6:7], 0
                                        ; implicit-def: $vgpr18
	s_and_saveexec_b64 s[8:9], vcc
	s_xor_b64 s[8:9], exec, s[8:9]
	s_cbranch_execnz .LBB73_174
; %bb.104:                              ;   in Loop: Header=BB73_65 Depth=1
	s_or_saveexec_b64 s[8:9], s[8:9]
                                        ; implicit-def: $sgpr10
	s_xor_b64 exec, exec, s[8:9]
	s_cbranch_execnz .LBB73_175
.LBB73_105:                             ;   in Loop: Header=BB73_65 Depth=1
	s_or_b64 exec, exec, s[8:9]
	v_mov_b32_e32 v6, s10
	s_and_saveexec_b64 s[8:9], s[6:7]
.LBB73_106:                             ;   in Loop: Header=BB73_65 Depth=1
	v_lshrrev_b32_e32 v6, 24, v17
	v_and_or_b32 v6, v6, s29, v18
.LBB73_107:                             ;   in Loop: Header=BB73_65 Depth=1
	s_or_b64 exec, exec, s[8:9]
.LBB73_108:                             ;   in Loop: Header=BB73_65 Depth=1
	s_or_b64 exec, exec, s[4:5]
	v_and_b32_e32 v5, 0xffff0000, v5
	v_mul_f32_e32 v5, v36, v5
	v_bfe_u32 v17, v5, 16, 1
	v_add3_u32 v17, v5, v17, s24
	v_and_b32_e32 v17, 0xffff0000, v17
	v_cmp_o_f32_e32 vcc, v5, v5
	v_cndmask_b32_e32 v5, v15, v17, vcc
	v_and_b32_e32 v7, 0xffff0000, v7
	v_mul_f32_e32 v5, v5, v7
	v_bfe_u32 v7, v5, 16, 1
	v_add3_u32 v7, v5, v7, s24
	v_and_b32_e32 v7, 0xffff0000, v7
	v_cmp_o_f32_e32 vcc, v5, v5
	v_cndmask_b32_e32 v5, v15, v7, vcc
	v_div_scale_f32 v7, s[4:5], v8, v8, v5
	v_rcp_f32_e32 v17, v7
	v_fma_f32 v18, -v7, v17, 1.0
	v_fmac_f32_e32 v17, v18, v17
	v_div_scale_f32 v18, vcc, v5, v8, v5
	v_mul_f32_e32 v19, v18, v17
	v_fma_f32 v20, -v7, v19, v18
	v_fmac_f32_e32 v19, v20, v17
	v_fma_f32 v7, -v7, v19, v18
	v_div_fmas_f32 v7, v7, v17, v19
	v_div_fixup_f32 v5, v7, v8, v5
	v_min_f32_e32 v5, 0x43600000, v5
	v_max_f32_e32 v5, 0xc3600000, v5
	v_and_b32_e32 v7, 0x7fffffff, v5
	v_cmp_gt_u32_e32 vcc, s25, v7
	s_and_saveexec_b64 s[4:5], vcc
	s_cbranch_execz .LBB73_114
; %bb.109:                              ;   in Loop: Header=BB73_65 Depth=1
	v_cmp_lt_u32_e32 vcc, s26, v7
	s_mov_b64 s[6:7], 0
                                        ; implicit-def: $vgpr7
	s_and_saveexec_b64 s[8:9], vcc
	s_xor_b64 s[8:9], exec, s[8:9]
	s_cbranch_execnz .LBB73_176
; %bb.110:                              ;   in Loop: Header=BB73_65 Depth=1
	s_or_saveexec_b64 s[8:9], s[8:9]
                                        ; implicit-def: $sgpr10
	s_xor_b64 exec, exec, s[8:9]
	s_cbranch_execnz .LBB73_177
.LBB73_111:                             ;   in Loop: Header=BB73_65 Depth=1
	s_or_b64 exec, exec, s[8:9]
	v_mov_b32_e32 v4, s10
	s_and_saveexec_b64 s[8:9], s[6:7]
.LBB73_112:                             ;   in Loop: Header=BB73_65 Depth=1
	v_lshrrev_b32_e32 v4, 24, v5
	v_and_or_b32 v4, v4, s29, v7
.LBB73_113:                             ;   in Loop: Header=BB73_65 Depth=1
	s_or_b64 exec, exec, s[8:9]
.LBB73_114:                             ;   in Loop: Header=BB73_65 Depth=1
	s_or_b64 exec, exec, s[4:5]
	v_lshlrev_b64 v[18:19], 2, v[2:3]
	v_mov_b32_e32 v3, s19
	v_add_co_u32_e32 v18, vcc, s17, v18
	v_addc_co_u32_e32 v19, vcc, v3, v19, vcc
	v_lshlrev_b32_e32 v3, 16, v6
	v_perm_b32 v3, v4, v3, s30
	v_lshlrev_b32_e32 v4, 8, v9
	v_and_b32_e32 v4, 0xff00, v4
	v_and_b32_e32 v5, 0xff, v16
	v_or3_b32 v3, v3, v4, v5
	v_add_u32_e32 v4, s23, v0
	v_cmp_gt_u32_e32 vcc, s18, v4
	s_mov_b64 s[6:7], -1
	global_store_dword v[18:19], v3, off
	s_and_saveexec_b64 s[4:5], vcc
	s_cbranch_execz .LBB73_63
; %bb.115:                              ;   in Loop: Header=BB73_65 Depth=1
	v_mov_b32_e32 v5, v1
	v_lshlrev_b64 v[8:9], 3, v[4:5]
	v_mov_b32_e32 v3, s42
	v_add_co_u32_e32 v6, vcc, s33, v8
	v_addc_co_u32_e32 v7, vcc, v3, v9, vcc
	global_load_dwordx2 v[6:7], v[6:7], off
	v_mov_b32_e32 v3, s15
	v_add_co_u32_e32 v8, vcc, s14, v8
	v_addc_co_u32_e32 v9, vcc, v3, v9, vcc
	v_bfe_u32 v3, v4, 5, 25
	v_mad_u64_u32 v[16:17], s[6:7], v10, v3, 0
	global_load_dwordx2 v[8:9], v[8:9], off
	v_mov_b32_e32 v18, v17
	v_mad_u64_u32 v[18:19], s[6:7], v11, v3, v[18:19]
	v_mov_b32_e32 v17, v18
	v_lshlrev_b64 v[16:17], 2, v[16:17]
	v_mov_b32_e32 v3, s21
	v_add_co_u32_e32 v16, vcc, s20, v16
	v_addc_co_u32_e32 v17, vcc, v3, v17, vcc
	global_load_dword v3, v[16:17], off
	s_waitcnt vmcnt(2)
	v_lshlrev_b32_e32 v16, 16, v6
	v_mul_f32_e32 v16, v36, v16
	v_bfe_u32 v18, v16, 16, 1
	v_add3_u32 v18, v16, v18, s24
	v_and_b32_e32 v18, 0xffff0000, v18
	v_cmp_o_f32_e32 vcc, v16, v16
	v_cndmask_b32_e32 v16, v15, v18, vcc
	s_waitcnt vmcnt(1)
	v_lshlrev_b32_e32 v17, 16, v8
	v_mul_f32_e32 v16, v16, v17
	v_bfe_u32 v17, v16, 16, 1
	v_add3_u32 v17, v16, v17, s24
	v_and_b32_e32 v17, 0xffff0000, v17
	v_cmp_o_f32_e32 vcc, v16, v16
	v_cndmask_b32_e32 v17, v15, v17, vcc
	v_mov_b32_e32 v16, 0x80
	s_waitcnt vmcnt(0)
	v_div_scale_f32 v18, s[6:7], v3, v3, v17
	v_rcp_f32_e32 v19, v18
	v_div_scale_f32 v20, vcc, v17, v3, v17
	v_fma_f32 v21, -v18, v19, 1.0
	v_fmac_f32_e32 v19, v21, v19
	v_mul_f32_e32 v21, v20, v19
	v_fma_f32 v22, -v18, v21, v20
	v_fmac_f32_e32 v21, v22, v19
	v_fma_f32 v18, -v18, v21, v20
	v_div_fmas_f32 v18, v18, v19, v21
	v_div_fixup_f32 v17, v18, v3, v17
	v_min_f32_e32 v17, 0x43600000, v17
	v_max_f32_e32 v18, 0xc3600000, v17
	v_and_b32_e32 v19, 0x7fffffff, v18
	v_cmp_gt_u32_e32 vcc, s25, v19
	v_mov_b32_e32 v17, 0x80
	s_and_saveexec_b64 s[6:7], vcc
	s_cbranch_execz .LBB73_121
; %bb.116:                              ;   in Loop: Header=BB73_65 Depth=1
	v_cmp_lt_u32_e32 vcc, s26, v19
	s_mov_b64 s[8:9], 0
                                        ; implicit-def: $vgpr19
	s_and_saveexec_b64 s[10:11], vcc
	s_xor_b64 s[10:11], exec, s[10:11]
	s_cbranch_execnz .LBB73_178
; %bb.117:                              ;   in Loop: Header=BB73_65 Depth=1
	s_or_saveexec_b64 s[10:11], s[10:11]
                                        ; implicit-def: $sgpr12
	s_xor_b64 exec, exec, s[10:11]
	s_cbranch_execnz .LBB73_179
.LBB73_118:                             ;   in Loop: Header=BB73_65 Depth=1
	s_or_b64 exec, exec, s[10:11]
	v_mov_b32_e32 v17, s12
	s_and_saveexec_b64 s[10:11], s[8:9]
.LBB73_119:                             ;   in Loop: Header=BB73_65 Depth=1
	v_lshrrev_b32_e32 v17, 24, v18
	v_and_or_b32 v17, v17, s29, v19
.LBB73_120:                             ;   in Loop: Header=BB73_65 Depth=1
	s_or_b64 exec, exec, s[10:11]
.LBB73_121:                             ;   in Loop: Header=BB73_65 Depth=1
	s_or_b64 exec, exec, s[6:7]
	v_and_b32_e32 v18, 0xffff0000, v6
	v_mul_f32_e32 v18, v36, v18
	v_bfe_u32 v20, v18, 16, 1
	v_add3_u32 v20, v18, v20, s24
	v_and_b32_e32 v20, 0xffff0000, v20
	v_cmp_o_f32_e32 vcc, v18, v18
	v_and_b32_e32 v19, 0xffff0000, v8
	v_cndmask_b32_e32 v18, v15, v20, vcc
	v_mul_f32_e32 v18, v18, v19
	v_bfe_u32 v19, v18, 16, 1
	v_add3_u32 v19, v18, v19, s24
	v_and_b32_e32 v19, 0xffff0000, v19
	v_cmp_o_f32_e32 vcc, v18, v18
	v_cndmask_b32_e32 v18, v15, v19, vcc
	v_div_scale_f32 v19, s[6:7], v3, v3, v18
	v_rcp_f32_e32 v20, v19
	v_fma_f32 v21, -v19, v20, 1.0
	v_fmac_f32_e32 v20, v21, v20
	v_div_scale_f32 v21, vcc, v18, v3, v18
	v_mul_f32_e32 v22, v21, v20
	v_fma_f32 v23, -v19, v22, v21
	v_fmac_f32_e32 v22, v23, v20
	v_fma_f32 v19, -v19, v22, v21
	v_div_fmas_f32 v19, v19, v20, v22
	v_div_fixup_f32 v18, v19, v3, v18
	v_min_f32_e32 v18, 0x43600000, v18
	v_max_f32_e32 v18, 0xc3600000, v18
	v_and_b32_e32 v19, 0x7fffffff, v18
	v_cmp_gt_u32_e32 vcc, s25, v19
	s_and_saveexec_b64 s[6:7], vcc
	s_cbranch_execz .LBB73_127
; %bb.122:                              ;   in Loop: Header=BB73_65 Depth=1
	v_cmp_lt_u32_e32 vcc, s26, v19
	s_mov_b64 s[8:9], 0
                                        ; implicit-def: $vgpr19
	s_and_saveexec_b64 s[10:11], vcc
	s_xor_b64 s[10:11], exec, s[10:11]
	s_cbranch_execnz .LBB73_180
; %bb.123:                              ;   in Loop: Header=BB73_65 Depth=1
	s_or_saveexec_b64 s[10:11], s[10:11]
                                        ; implicit-def: $sgpr12
	s_xor_b64 exec, exec, s[10:11]
	s_cbranch_execnz .LBB73_181
.LBB73_124:                             ;   in Loop: Header=BB73_65 Depth=1
	s_or_b64 exec, exec, s[10:11]
	v_mov_b32_e32 v16, s12
	s_and_saveexec_b64 s[10:11], s[8:9]
.LBB73_125:                             ;   in Loop: Header=BB73_65 Depth=1
	v_lshrrev_b32_e32 v16, 24, v18
	v_and_or_b32 v16, v16, s29, v19
.LBB73_126:                             ;   in Loop: Header=BB73_65 Depth=1
	s_or_b64 exec, exec, s[10:11]
.LBB73_127:                             ;   in Loop: Header=BB73_65 Depth=1
	s_or_b64 exec, exec, s[6:7]
	v_alignbit_b32 v6, v7, v6, 16
	v_and_b32_e32 v6, 0xffff0000, v6
	v_mul_f32_e32 v6, v36, v6
	v_bfe_u32 v18, v6, 16, 1
	v_add3_u32 v18, v6, v18, s24
	v_and_b32_e32 v18, 0xffff0000, v18
	v_cmp_o_f32_e32 vcc, v6, v6
	v_alignbit_b32 v8, v9, v8, 16
	v_cndmask_b32_e32 v6, v15, v18, vcc
	v_and_b32_e32 v8, 0xffff0000, v8
	v_mul_f32_e32 v6, v6, v8
	v_bfe_u32 v8, v6, 16, 1
	v_add3_u32 v8, v6, v8, s24
	v_and_b32_e32 v8, 0xffff0000, v8
	v_cmp_o_f32_e32 vcc, v6, v6
	v_cndmask_b32_e32 v6, v15, v8, vcc
	v_div_scale_f32 v8, s[6:7], v3, v3, v6
	v_rcp_f32_e32 v18, v8
	v_fma_f32 v19, -v8, v18, 1.0
	v_fmac_f32_e32 v18, v19, v18
	v_div_scale_f32 v19, vcc, v6, v3, v6
	v_mul_f32_e32 v20, v19, v18
	v_fma_f32 v21, -v8, v20, v19
	v_fmac_f32_e32 v20, v21, v18
	v_fma_f32 v8, -v8, v20, v19
	v_div_fmas_f32 v8, v8, v18, v20
	v_div_fixup_f32 v6, v8, v3, v6
	v_min_f32_e32 v6, 0x43600000, v6
	v_max_f32_e32 v18, 0xc3600000, v6
	v_and_b32_e32 v19, 0x7fffffff, v18
	v_cmp_gt_u32_e32 vcc, s25, v19
	v_mov_b32_e32 v6, 0x80
	v_mov_b32_e32 v8, 0x80
	s_and_saveexec_b64 s[6:7], vcc
	s_cbranch_execz .LBB73_133
; %bb.128:                              ;   in Loop: Header=BB73_65 Depth=1
	v_cmp_lt_u32_e32 vcc, s26, v19
	s_mov_b64 s[8:9], 0
                                        ; implicit-def: $vgpr19
	s_and_saveexec_b64 s[10:11], vcc
	s_xor_b64 s[10:11], exec, s[10:11]
	s_cbranch_execnz .LBB73_182
; %bb.129:                              ;   in Loop: Header=BB73_65 Depth=1
	s_or_saveexec_b64 s[10:11], s[10:11]
                                        ; implicit-def: $sgpr12
	s_xor_b64 exec, exec, s[10:11]
	s_cbranch_execnz .LBB73_183
.LBB73_130:                             ;   in Loop: Header=BB73_65 Depth=1
	s_or_b64 exec, exec, s[10:11]
	v_mov_b32_e32 v8, s12
	s_and_saveexec_b64 s[10:11], s[8:9]
.LBB73_131:                             ;   in Loop: Header=BB73_65 Depth=1
	v_lshrrev_b32_e32 v8, 24, v18
	v_and_or_b32 v8, v8, s29, v19
.LBB73_132:                             ;   in Loop: Header=BB73_65 Depth=1
	s_or_b64 exec, exec, s[10:11]
.LBB73_133:                             ;   in Loop: Header=BB73_65 Depth=1
	s_or_b64 exec, exec, s[6:7]
	v_and_b32_e32 v7, 0xffff0000, v7
	v_mul_f32_e32 v7, v36, v7
	v_bfe_u32 v18, v7, 16, 1
	v_add3_u32 v18, v7, v18, s24
	v_and_b32_e32 v18, 0xffff0000, v18
	v_cmp_o_f32_e32 vcc, v7, v7
	v_cndmask_b32_e32 v7, v15, v18, vcc
	v_and_b32_e32 v9, 0xffff0000, v9
	v_mul_f32_e32 v7, v7, v9
	v_bfe_u32 v9, v7, 16, 1
	v_add3_u32 v9, v7, v9, s24
	v_and_b32_e32 v9, 0xffff0000, v9
	v_cmp_o_f32_e32 vcc, v7, v7
	v_cndmask_b32_e32 v7, v15, v9, vcc
	v_div_scale_f32 v9, s[6:7], v3, v3, v7
	v_rcp_f32_e32 v18, v9
	v_fma_f32 v19, -v9, v18, 1.0
	v_fmac_f32_e32 v18, v19, v18
	v_div_scale_f32 v19, vcc, v7, v3, v7
	v_mul_f32_e32 v20, v19, v18
	v_fma_f32 v21, -v9, v20, v19
	v_fmac_f32_e32 v20, v21, v18
	v_fma_f32 v9, -v9, v20, v19
	v_div_fmas_f32 v9, v9, v18, v20
	v_div_fixup_f32 v3, v9, v3, v7
	v_min_f32_e32 v3, 0x43600000, v3
	v_max_f32_e32 v3, 0xc3600000, v3
	v_and_b32_e32 v7, 0x7fffffff, v3
	v_cmp_gt_u32_e32 vcc, s25, v7
	s_and_saveexec_b64 s[6:7], vcc
	s_cbranch_execz .LBB73_139
; %bb.134:                              ;   in Loop: Header=BB73_65 Depth=1
	v_cmp_lt_u32_e32 vcc, s26, v7
	s_mov_b64 s[8:9], 0
                                        ; implicit-def: $vgpr7
	s_and_saveexec_b64 s[10:11], vcc
	s_xor_b64 s[10:11], exec, s[10:11]
	s_cbranch_execnz .LBB73_184
; %bb.135:                              ;   in Loop: Header=BB73_65 Depth=1
	s_or_saveexec_b64 s[10:11], s[10:11]
                                        ; implicit-def: $sgpr12
	s_xor_b64 exec, exec, s[10:11]
	s_cbranch_execnz .LBB73_185
.LBB73_136:                             ;   in Loop: Header=BB73_65 Depth=1
	s_or_b64 exec, exec, s[10:11]
	v_mov_b32_e32 v6, s12
	s_and_saveexec_b64 s[10:11], s[8:9]
.LBB73_137:                             ;   in Loop: Header=BB73_65 Depth=1
	v_lshrrev_b32_e32 v3, 24, v3
	v_and_or_b32 v6, v3, s29, v7
.LBB73_138:                             ;   in Loop: Header=BB73_65 Depth=1
	s_or_b64 exec, exec, s[10:11]
.LBB73_139:                             ;   in Loop: Header=BB73_65 Depth=1
	s_or_b64 exec, exec, s[6:7]
	v_lshlrev_b64 v[4:5], 2, v[4:5]
	v_mov_b32_e32 v3, s19
	v_add_co_u32_e32 v4, vcc, s17, v4
	v_addc_co_u32_e32 v5, vcc, v3, v5, vcc
	v_lshlrev_b32_e32 v3, 16, v8
	v_perm_b32 v3, v6, v3, s30
	v_lshlrev_b32_e32 v6, 8, v16
	v_and_b32_e32 v6, 0xff00, v6
	v_and_b32_e32 v7, 0xff, v17
	v_add_u32_e32 v0, s22, v0
	v_or3_b32 v3, v3, v6, v7
	v_cmp_gt_u32_e32 vcc, s18, v0
	s_mov_b64 s[8:9], -1
	global_store_dword v[4:5], v3, off
	s_and_saveexec_b64 s[6:7], vcc
	s_cbranch_execz .LBB73_62
; %bb.140:                              ;   in Loop: Header=BB73_65 Depth=1
	v_lshlrev_b64 v[6:7], 3, v[0:1]
	v_mov_b32_e32 v3, s42
	v_add_co_u32_e32 v4, vcc, s33, v6
	v_addc_co_u32_e32 v5, vcc, v3, v7, vcc
	global_load_dwordx2 v[4:5], v[4:5], off
	v_mov_b32_e32 v3, s15
	v_add_co_u32_e32 v6, vcc, s14, v6
	v_addc_co_u32_e32 v7, vcc, v3, v7, vcc
	v_bfe_u32 v3, v0, 5, 25
	v_mad_u64_u32 v[8:9], s[8:9], v10, v3, 0
	global_load_dwordx2 v[6:7], v[6:7], off
	v_mov_b32_e32 v16, v9
	v_mad_u64_u32 v[16:17], s[8:9], v11, v3, v[16:17]
	v_mov_b32_e32 v9, v16
	v_lshlrev_b64 v[8:9], 2, v[8:9]
	v_mov_b32_e32 v3, s21
	v_add_co_u32_e32 v8, vcc, s20, v8
	v_addc_co_u32_e32 v9, vcc, v3, v9, vcc
	global_load_dword v3, v[8:9], off
	s_waitcnt vmcnt(2)
	v_lshlrev_b32_e32 v8, 16, v4
	v_mul_f32_e32 v8, v36, v8
	v_bfe_u32 v16, v8, 16, 1
	v_add3_u32 v16, v8, v16, s24
	v_and_b32_e32 v16, 0xffff0000, v16
	v_cmp_o_f32_e32 vcc, v8, v8
	v_cndmask_b32_e32 v8, v15, v16, vcc
	s_waitcnt vmcnt(1)
	v_lshlrev_b32_e32 v9, 16, v6
	v_mul_f32_e32 v8, v8, v9
	v_bfe_u32 v9, v8, 16, 1
	v_add3_u32 v9, v8, v9, s24
	v_and_b32_e32 v9, 0xffff0000, v9
	v_cmp_o_f32_e32 vcc, v8, v8
	v_cndmask_b32_e32 v9, v15, v9, vcc
	v_mov_b32_e32 v8, 0x80
	s_waitcnt vmcnt(0)
	v_div_scale_f32 v16, s[8:9], v3, v3, v9
	v_rcp_f32_e32 v17, v16
	v_div_scale_f32 v18, vcc, v9, v3, v9
	v_fma_f32 v19, -v16, v17, 1.0
	v_fmac_f32_e32 v17, v19, v17
	v_mul_f32_e32 v19, v18, v17
	v_fma_f32 v20, -v16, v19, v18
	v_fmac_f32_e32 v19, v20, v17
	v_fma_f32 v16, -v16, v19, v18
	v_div_fmas_f32 v16, v16, v17, v19
	v_div_fixup_f32 v9, v16, v3, v9
	v_min_f32_e32 v9, 0x43600000, v9
	v_max_f32_e32 v16, 0xc3600000, v9
	v_and_b32_e32 v17, 0x7fffffff, v16
	v_cmp_gt_u32_e32 vcc, s25, v17
	v_mov_b32_e32 v9, 0x80
	s_and_saveexec_b64 s[8:9], vcc
	s_cbranch_execz .LBB73_146
; %bb.141:                              ;   in Loop: Header=BB73_65 Depth=1
	v_cmp_lt_u32_e32 vcc, s26, v17
	s_mov_b64 s[10:11], 0
                                        ; implicit-def: $vgpr17
	s_and_saveexec_b64 s[12:13], vcc
	s_xor_b64 s[12:13], exec, s[12:13]
	s_cbranch_execnz .LBB73_186
; %bb.142:                              ;   in Loop: Header=BB73_65 Depth=1
	s_or_saveexec_b64 s[12:13], s[12:13]
                                        ; implicit-def: $sgpr31
	s_xor_b64 exec, exec, s[12:13]
	s_cbranch_execnz .LBB73_187
.LBB73_143:                             ;   in Loop: Header=BB73_65 Depth=1
	s_or_b64 exec, exec, s[12:13]
	v_mov_b32_e32 v9, s31
	s_and_saveexec_b64 s[12:13], s[10:11]
.LBB73_144:                             ;   in Loop: Header=BB73_65 Depth=1
	v_lshrrev_b32_e32 v9, 24, v16
	v_and_or_b32 v9, v9, s29, v17
.LBB73_145:                             ;   in Loop: Header=BB73_65 Depth=1
	s_or_b64 exec, exec, s[12:13]
.LBB73_146:                             ;   in Loop: Header=BB73_65 Depth=1
	s_or_b64 exec, exec, s[8:9]
	v_and_b32_e32 v16, 0xffff0000, v4
	v_mul_f32_e32 v16, v36, v16
	v_bfe_u32 v18, v16, 16, 1
	v_add3_u32 v18, v16, v18, s24
	v_and_b32_e32 v18, 0xffff0000, v18
	v_cmp_o_f32_e32 vcc, v16, v16
	v_and_b32_e32 v17, 0xffff0000, v6
	v_cndmask_b32_e32 v16, v15, v18, vcc
	v_mul_f32_e32 v16, v16, v17
	v_bfe_u32 v17, v16, 16, 1
	v_add3_u32 v17, v16, v17, s24
	v_and_b32_e32 v17, 0xffff0000, v17
	v_cmp_o_f32_e32 vcc, v16, v16
	v_cndmask_b32_e32 v16, v15, v17, vcc
	v_div_scale_f32 v17, s[8:9], v3, v3, v16
	v_rcp_f32_e32 v18, v17
	v_fma_f32 v19, -v17, v18, 1.0
	v_fmac_f32_e32 v18, v19, v18
	v_div_scale_f32 v19, vcc, v16, v3, v16
	v_mul_f32_e32 v20, v19, v18
	v_fma_f32 v21, -v17, v20, v19
	v_fmac_f32_e32 v20, v21, v18
	v_fma_f32 v17, -v17, v20, v19
	v_div_fmas_f32 v17, v17, v18, v20
	v_div_fixup_f32 v16, v17, v3, v16
	v_min_f32_e32 v16, 0x43600000, v16
	v_max_f32_e32 v16, 0xc3600000, v16
	v_and_b32_e32 v17, 0x7fffffff, v16
	v_cmp_gt_u32_e32 vcc, s25, v17
	s_and_saveexec_b64 s[8:9], vcc
	s_cbranch_execz .LBB73_152
; %bb.147:                              ;   in Loop: Header=BB73_65 Depth=1
	v_cmp_lt_u32_e32 vcc, s26, v17
	s_mov_b64 s[10:11], 0
                                        ; implicit-def: $vgpr17
	s_and_saveexec_b64 s[12:13], vcc
	s_xor_b64 s[12:13], exec, s[12:13]
	s_cbranch_execnz .LBB73_188
; %bb.148:                              ;   in Loop: Header=BB73_65 Depth=1
	s_or_saveexec_b64 s[12:13], s[12:13]
                                        ; implicit-def: $sgpr31
	s_xor_b64 exec, exec, s[12:13]
	s_cbranch_execnz .LBB73_189
.LBB73_149:                             ;   in Loop: Header=BB73_65 Depth=1
	s_or_b64 exec, exec, s[12:13]
	v_mov_b32_e32 v8, s31
	s_and_saveexec_b64 s[12:13], s[10:11]
.LBB73_150:                             ;   in Loop: Header=BB73_65 Depth=1
	v_lshrrev_b32_e32 v8, 24, v16
	v_and_or_b32 v8, v8, s29, v17
.LBB73_151:                             ;   in Loop: Header=BB73_65 Depth=1
	s_or_b64 exec, exec, s[12:13]
.LBB73_152:                             ;   in Loop: Header=BB73_65 Depth=1
	s_or_b64 exec, exec, s[8:9]
	v_alignbit_b32 v4, v5, v4, 16
	v_and_b32_e32 v4, 0xffff0000, v4
	v_mul_f32_e32 v4, v36, v4
	v_bfe_u32 v16, v4, 16, 1
	v_add3_u32 v16, v4, v16, s24
	v_and_b32_e32 v16, 0xffff0000, v16
	v_cmp_o_f32_e32 vcc, v4, v4
	v_alignbit_b32 v6, v7, v6, 16
	v_cndmask_b32_e32 v4, v15, v16, vcc
	v_and_b32_e32 v6, 0xffff0000, v6
	v_mul_f32_e32 v4, v4, v6
	v_bfe_u32 v6, v4, 16, 1
	v_add3_u32 v6, v4, v6, s24
	v_and_b32_e32 v6, 0xffff0000, v6
	v_cmp_o_f32_e32 vcc, v4, v4
	v_cndmask_b32_e32 v4, v15, v6, vcc
	v_div_scale_f32 v6, s[8:9], v3, v3, v4
	v_rcp_f32_e32 v16, v6
	v_fma_f32 v17, -v6, v16, 1.0
	v_fmac_f32_e32 v16, v17, v16
	v_div_scale_f32 v17, vcc, v4, v3, v4
	v_mul_f32_e32 v18, v17, v16
	v_fma_f32 v19, -v6, v18, v17
	v_fmac_f32_e32 v18, v19, v16
	v_fma_f32 v6, -v6, v18, v17
	v_div_fmas_f32 v6, v6, v16, v18
	v_div_fixup_f32 v4, v6, v3, v4
	v_min_f32_e32 v4, 0x43600000, v4
	v_max_f32_e32 v16, 0xc3600000, v4
	v_and_b32_e32 v17, 0x7fffffff, v16
	v_cmp_gt_u32_e32 vcc, s25, v17
	v_mov_b32_e32 v4, 0x80
	v_mov_b32_e32 v6, 0x80
	s_and_saveexec_b64 s[8:9], vcc
	s_cbranch_execz .LBB73_158
; %bb.153:                              ;   in Loop: Header=BB73_65 Depth=1
	v_cmp_lt_u32_e32 vcc, s26, v17
	s_mov_b64 s[10:11], 0
                                        ; implicit-def: $vgpr17
	s_and_saveexec_b64 s[12:13], vcc
	s_xor_b64 s[12:13], exec, s[12:13]
	s_cbranch_execnz .LBB73_190
; %bb.154:                              ;   in Loop: Header=BB73_65 Depth=1
	s_or_saveexec_b64 s[12:13], s[12:13]
                                        ; implicit-def: $sgpr31
	s_xor_b64 exec, exec, s[12:13]
	s_cbranch_execnz .LBB73_191
.LBB73_155:                             ;   in Loop: Header=BB73_65 Depth=1
	s_or_b64 exec, exec, s[12:13]
	v_mov_b32_e32 v6, s31
	s_and_saveexec_b64 s[12:13], s[10:11]
.LBB73_156:                             ;   in Loop: Header=BB73_65 Depth=1
	v_lshrrev_b32_e32 v6, 24, v16
	v_and_or_b32 v6, v6, s29, v17
.LBB73_157:                             ;   in Loop: Header=BB73_65 Depth=1
	s_or_b64 exec, exec, s[12:13]
.LBB73_158:                             ;   in Loop: Header=BB73_65 Depth=1
	s_or_b64 exec, exec, s[8:9]
	v_and_b32_e32 v5, 0xffff0000, v5
	v_mul_f32_e32 v5, v36, v5
	v_bfe_u32 v16, v5, 16, 1
	v_add3_u32 v16, v5, v16, s24
	v_and_b32_e32 v16, 0xffff0000, v16
	v_cmp_o_f32_e32 vcc, v5, v5
	v_cndmask_b32_e32 v5, v15, v16, vcc
	v_and_b32_e32 v7, 0xffff0000, v7
	v_mul_f32_e32 v5, v5, v7
	v_bfe_u32 v7, v5, 16, 1
	v_add3_u32 v7, v5, v7, s24
	v_and_b32_e32 v7, 0xffff0000, v7
	v_cmp_o_f32_e32 vcc, v5, v5
	v_cndmask_b32_e32 v5, v15, v7, vcc
	v_div_scale_f32 v7, s[8:9], v3, v3, v5
	v_rcp_f32_e32 v16, v7
	v_fma_f32 v17, -v7, v16, 1.0
	v_fmac_f32_e32 v16, v17, v16
	v_div_scale_f32 v17, vcc, v5, v3, v5
	v_mul_f32_e32 v18, v17, v16
	v_fma_f32 v19, -v7, v18, v17
	v_fmac_f32_e32 v18, v19, v16
	v_fma_f32 v7, -v7, v18, v17
	v_div_fmas_f32 v7, v7, v16, v18
	v_div_fixup_f32 v3, v7, v3, v5
	v_min_f32_e32 v3, 0x43600000, v3
	v_max_f32_e32 v3, 0xc3600000, v3
	v_and_b32_e32 v5, 0x7fffffff, v3
	v_cmp_gt_u32_e32 vcc, s25, v5
	s_and_saveexec_b64 s[8:9], vcc
	s_cbranch_execz .LBB73_61
; %bb.159:                              ;   in Loop: Header=BB73_65 Depth=1
	v_cmp_lt_u32_e32 vcc, s26, v5
	s_mov_b64 s[10:11], 0
                                        ; implicit-def: $vgpr5
	s_and_saveexec_b64 s[12:13], vcc
	s_xor_b64 s[12:13], exec, s[12:13]
	s_cbranch_execnz .LBB73_192
; %bb.160:                              ;   in Loop: Header=BB73_65 Depth=1
	s_or_saveexec_b64 s[12:13], s[12:13]
                                        ; implicit-def: $sgpr31
	s_xor_b64 exec, exec, s[12:13]
	s_cbranch_execnz .LBB73_193
.LBB73_161:                             ;   in Loop: Header=BB73_65 Depth=1
	s_or_b64 exec, exec, s[12:13]
	v_mov_b32_e32 v4, s31
	s_and_saveexec_b64 s[12:13], s[10:11]
	s_cbranch_execz .LBB73_60
	s_branch .LBB73_194
.LBB73_162:                             ;   in Loop: Header=BB73_65 Depth=1
	v_bfe_u32 v8, v9, 20, 1
	v_add3_u32 v8, v9, v8, s27
	s_mov_b64 s[4:5], exec
	v_lshrrev_b32_e32 v16, 20, v8
	s_or_saveexec_b64 s[6:7], s[6:7]
                                        ; implicit-def: $sgpr8
	s_xor_b64 exec, exec, s[6:7]
	s_cbranch_execz .LBB73_68
.LBB73_163:                             ;   in Loop: Header=BB73_65 Depth=1
	v_add_f32_e64 v8, |v9|, s28
	v_and_b32_e32 v16, 0xff, v8
	v_cmp_ne_u32_e32 vcc, 0, v16
	s_andn2_b64 s[4:5], s[4:5], exec
	s_and_b64 s[10:11], vcc, exec
	s_mov_b32 s8, 0
	s_or_b64 s[4:5], s[4:5], s[10:11]
	s_or_b64 exec, exec, s[6:7]
	v_mov_b32_e32 v8, s8
	s_and_saveexec_b64 s[6:7], s[4:5]
	s_cbranch_execnz .LBB73_69
	s_branch .LBB73_70
.LBB73_164:                             ;   in Loop: Header=BB73_65 Depth=1
	v_bfe_u32 v7, v9, 20, 1
	v_add3_u32 v7, v9, v7, s27
	s_mov_b64 s[4:5], exec
	v_lshrrev_b32_e32 v16, 20, v7
	s_or_saveexec_b64 s[6:7], s[6:7]
                                        ; implicit-def: $sgpr8
	s_xor_b64 exec, exec, s[6:7]
	s_cbranch_execz .LBB73_74
.LBB73_165:                             ;   in Loop: Header=BB73_65 Depth=1
	v_add_f32_e64 v7, |v9|, s28
	v_and_b32_e32 v16, 0xff, v7
	v_cmp_ne_u32_e32 vcc, 0, v16
	s_andn2_b64 s[4:5], s[4:5], exec
	s_and_b64 s[10:11], vcc, exec
	s_mov_b32 s8, 0
	s_or_b64 s[4:5], s[4:5], s[10:11]
	s_or_b64 exec, exec, s[6:7]
	v_mov_b32_e32 v7, s8
	s_and_saveexec_b64 s[6:7], s[4:5]
	s_cbranch_execnz .LBB73_75
	s_branch .LBB73_76
.LBB73_166:                             ;   in Loop: Header=BB73_65 Depth=1
	v_bfe_u32 v4, v9, 20, 1
	v_add3_u32 v4, v9, v4, s27
	s_mov_b64 s[4:5], exec
	v_lshrrev_b32_e32 v16, 20, v4
	s_or_saveexec_b64 s[6:7], s[6:7]
                                        ; implicit-def: $sgpr8
	s_xor_b64 exec, exec, s[6:7]
	s_cbranch_execz .LBB73_80
.LBB73_167:                             ;   in Loop: Header=BB73_65 Depth=1
	v_add_f32_e64 v4, |v9|, s28
	v_and_b32_e32 v16, 0xff, v4
	v_cmp_ne_u32_e32 vcc, 0, v16
	s_andn2_b64 s[4:5], s[4:5], exec
	s_and_b64 s[10:11], vcc, exec
	s_mov_b32 s8, 0
	s_or_b64 s[4:5], s[4:5], s[10:11]
	s_or_b64 exec, exec, s[6:7]
	v_mov_b32_e32 v4, s8
	s_and_saveexec_b64 s[6:7], s[4:5]
	s_cbranch_execnz .LBB73_81
	s_branch .LBB73_82
.LBB73_168:                             ;   in Loop: Header=BB73_65 Depth=1
	v_bfe_u32 v2, v3, 20, 1
	v_add3_u32 v2, v3, v2, s27
	s_mov_b64 s[4:5], exec
	v_lshrrev_b32_e32 v5, 20, v2
	s_or_saveexec_b64 s[6:7], s[6:7]
                                        ; implicit-def: $sgpr8
	s_xor_b64 exec, exec, s[6:7]
	s_cbranch_execz .LBB73_86
.LBB73_169:                             ;   in Loop: Header=BB73_65 Depth=1
	v_add_f32_e64 v2, |v3|, s28
	v_and_b32_e32 v5, 0xff, v2
	v_cmp_ne_u32_e32 vcc, 0, v5
	s_andn2_b64 s[4:5], s[4:5], exec
	s_and_b64 s[10:11], vcc, exec
	s_mov_b32 s8, 0
	s_or_b64 s[4:5], s[4:5], s[10:11]
	s_or_b64 exec, exec, s[6:7]
	v_mov_b32_e32 v2, s8
	s_and_saveexec_b64 s[6:7], s[4:5]
	s_cbranch_execnz .LBB73_87
	s_branch .LBB73_88
.LBB73_170:                             ;   in Loop: Header=BB73_65 Depth=1
	v_bfe_u32 v16, v17, 20, 1
	v_add3_u32 v16, v17, v16, s27
	s_mov_b64 s[6:7], exec
	v_lshrrev_b32_e32 v18, 20, v16
	s_or_saveexec_b64 s[8:9], s[8:9]
                                        ; implicit-def: $sgpr10
	s_xor_b64 exec, exec, s[8:9]
	s_cbranch_execz .LBB73_93
.LBB73_171:                             ;   in Loop: Header=BB73_65 Depth=1
	v_add_f32_e64 v16, |v17|, s28
	v_and_b32_e32 v18, 0xff, v16
	v_cmp_ne_u32_e32 vcc, 0, v18
	s_andn2_b64 s[6:7], s[6:7], exec
	s_and_b64 s[12:13], vcc, exec
	s_mov_b32 s10, 0
	s_or_b64 s[6:7], s[6:7], s[12:13]
	s_or_b64 exec, exec, s[8:9]
	v_mov_b32_e32 v16, s10
	s_and_saveexec_b64 s[8:9], s[6:7]
	s_cbranch_execnz .LBB73_94
	s_branch .LBB73_95
.LBB73_172:                             ;   in Loop: Header=BB73_65 Depth=1
	v_bfe_u32 v9, v17, 20, 1
	v_add3_u32 v9, v17, v9, s27
	s_mov_b64 s[6:7], exec
	v_lshrrev_b32_e32 v18, 20, v9
	s_or_saveexec_b64 s[8:9], s[8:9]
                                        ; implicit-def: $sgpr10
	s_xor_b64 exec, exec, s[8:9]
	s_cbranch_execz .LBB73_99
.LBB73_173:                             ;   in Loop: Header=BB73_65 Depth=1
	v_add_f32_e64 v9, |v17|, s28
	v_and_b32_e32 v18, 0xff, v9
	v_cmp_ne_u32_e32 vcc, 0, v18
	s_andn2_b64 s[6:7], s[6:7], exec
	s_and_b64 s[12:13], vcc, exec
	s_mov_b32 s10, 0
	s_or_b64 s[6:7], s[6:7], s[12:13]
	s_or_b64 exec, exec, s[8:9]
	v_mov_b32_e32 v9, s10
	s_and_saveexec_b64 s[8:9], s[6:7]
	s_cbranch_execnz .LBB73_100
	s_branch .LBB73_101
.LBB73_174:                             ;   in Loop: Header=BB73_65 Depth=1
	v_bfe_u32 v6, v17, 20, 1
	v_add3_u32 v6, v17, v6, s27
	s_mov_b64 s[6:7], exec
	v_lshrrev_b32_e32 v18, 20, v6
	s_or_saveexec_b64 s[8:9], s[8:9]
                                        ; implicit-def: $sgpr10
	s_xor_b64 exec, exec, s[8:9]
	s_cbranch_execz .LBB73_105
.LBB73_175:                             ;   in Loop: Header=BB73_65 Depth=1
	v_add_f32_e64 v6, |v17|, s28
	v_and_b32_e32 v18, 0xff, v6
	v_cmp_ne_u32_e32 vcc, 0, v18
	s_andn2_b64 s[6:7], s[6:7], exec
	s_and_b64 s[12:13], vcc, exec
	s_mov_b32 s10, 0
	s_or_b64 s[6:7], s[6:7], s[12:13]
	s_or_b64 exec, exec, s[8:9]
	v_mov_b32_e32 v6, s10
	s_and_saveexec_b64 s[8:9], s[6:7]
	s_cbranch_execnz .LBB73_106
	s_branch .LBB73_107
.LBB73_176:                             ;   in Loop: Header=BB73_65 Depth=1
	v_bfe_u32 v4, v5, 20, 1
	v_add3_u32 v4, v5, v4, s27
	s_mov_b64 s[6:7], exec
	v_lshrrev_b32_e32 v7, 20, v4
	s_or_saveexec_b64 s[8:9], s[8:9]
                                        ; implicit-def: $sgpr10
	s_xor_b64 exec, exec, s[8:9]
	s_cbranch_execz .LBB73_111
.LBB73_177:                             ;   in Loop: Header=BB73_65 Depth=1
	v_add_f32_e64 v4, |v5|, s28
	v_and_b32_e32 v7, 0xff, v4
	v_cmp_ne_u32_e32 vcc, 0, v7
	s_andn2_b64 s[6:7], s[6:7], exec
	s_and_b64 s[12:13], vcc, exec
	s_mov_b32 s10, 0
	s_or_b64 s[6:7], s[6:7], s[12:13]
	s_or_b64 exec, exec, s[8:9]
	v_mov_b32_e32 v4, s10
	s_and_saveexec_b64 s[8:9], s[6:7]
	s_cbranch_execnz .LBB73_112
	s_branch .LBB73_113
.LBB73_178:                             ;   in Loop: Header=BB73_65 Depth=1
	v_bfe_u32 v17, v18, 20, 1
	v_add3_u32 v17, v18, v17, s27
	s_mov_b64 s[8:9], exec
	v_lshrrev_b32_e32 v19, 20, v17
	s_or_saveexec_b64 s[10:11], s[10:11]
                                        ; implicit-def: $sgpr12
	s_xor_b64 exec, exec, s[10:11]
	s_cbranch_execz .LBB73_118
.LBB73_179:                             ;   in Loop: Header=BB73_65 Depth=1
	v_add_f32_e64 v17, |v18|, s28
	v_and_b32_e32 v19, 0xff, v17
	v_cmp_ne_u32_e32 vcc, 0, v19
	s_andn2_b64 s[8:9], s[8:9], exec
	s_and_b64 s[34:35], vcc, exec
	s_mov_b32 s12, 0
	s_or_b64 s[8:9], s[8:9], s[34:35]
	s_or_b64 exec, exec, s[10:11]
	v_mov_b32_e32 v17, s12
	s_and_saveexec_b64 s[10:11], s[8:9]
	s_cbranch_execnz .LBB73_119
	s_branch .LBB73_120
.LBB73_180:                             ;   in Loop: Header=BB73_65 Depth=1
	v_bfe_u32 v16, v18, 20, 1
	v_add3_u32 v16, v18, v16, s27
	s_mov_b64 s[8:9], exec
	v_lshrrev_b32_e32 v19, 20, v16
	s_or_saveexec_b64 s[10:11], s[10:11]
                                        ; implicit-def: $sgpr12
	s_xor_b64 exec, exec, s[10:11]
	s_cbranch_execz .LBB73_124
.LBB73_181:                             ;   in Loop: Header=BB73_65 Depth=1
	v_add_f32_e64 v16, |v18|, s28
	v_and_b32_e32 v19, 0xff, v16
	v_cmp_ne_u32_e32 vcc, 0, v19
	s_andn2_b64 s[8:9], s[8:9], exec
	s_and_b64 s[34:35], vcc, exec
	s_mov_b32 s12, 0
	s_or_b64 s[8:9], s[8:9], s[34:35]
	s_or_b64 exec, exec, s[10:11]
	v_mov_b32_e32 v16, s12
	s_and_saveexec_b64 s[10:11], s[8:9]
	s_cbranch_execnz .LBB73_125
	s_branch .LBB73_126
.LBB73_182:                             ;   in Loop: Header=BB73_65 Depth=1
	v_bfe_u32 v8, v18, 20, 1
	v_add3_u32 v8, v18, v8, s27
	s_mov_b64 s[8:9], exec
	v_lshrrev_b32_e32 v19, 20, v8
	s_or_saveexec_b64 s[10:11], s[10:11]
                                        ; implicit-def: $sgpr12
	s_xor_b64 exec, exec, s[10:11]
	s_cbranch_execz .LBB73_130
.LBB73_183:                             ;   in Loop: Header=BB73_65 Depth=1
	v_add_f32_e64 v8, |v18|, s28
	v_and_b32_e32 v19, 0xff, v8
	v_cmp_ne_u32_e32 vcc, 0, v19
	s_andn2_b64 s[8:9], s[8:9], exec
	s_and_b64 s[34:35], vcc, exec
	s_mov_b32 s12, 0
	s_or_b64 s[8:9], s[8:9], s[34:35]
	s_or_b64 exec, exec, s[10:11]
	v_mov_b32_e32 v8, s12
	s_and_saveexec_b64 s[10:11], s[8:9]
	s_cbranch_execnz .LBB73_131
	s_branch .LBB73_132
.LBB73_184:                             ;   in Loop: Header=BB73_65 Depth=1
	v_bfe_u32 v6, v3, 20, 1
	v_add3_u32 v6, v3, v6, s27
	s_mov_b64 s[8:9], exec
	v_lshrrev_b32_e32 v7, 20, v6
	s_or_saveexec_b64 s[10:11], s[10:11]
                                        ; implicit-def: $sgpr12
	s_xor_b64 exec, exec, s[10:11]
	s_cbranch_execz .LBB73_136
.LBB73_185:                             ;   in Loop: Header=BB73_65 Depth=1
	v_add_f32_e64 v6, |v3|, s28
	v_and_b32_e32 v7, 0xff, v6
	v_cmp_ne_u32_e32 vcc, 0, v7
	s_andn2_b64 s[8:9], s[8:9], exec
	s_and_b64 s[34:35], vcc, exec
	s_mov_b32 s12, 0
	s_or_b64 s[8:9], s[8:9], s[34:35]
	s_or_b64 exec, exec, s[10:11]
	v_mov_b32_e32 v6, s12
	s_and_saveexec_b64 s[10:11], s[8:9]
	s_cbranch_execnz .LBB73_137
	s_branch .LBB73_138
.LBB73_186:                             ;   in Loop: Header=BB73_65 Depth=1
	v_bfe_u32 v9, v16, 20, 1
	v_add3_u32 v9, v16, v9, s27
	s_mov_b64 s[10:11], exec
	v_lshrrev_b32_e32 v17, 20, v9
	s_or_saveexec_b64 s[12:13], s[12:13]
                                        ; implicit-def: $sgpr31
	s_xor_b64 exec, exec, s[12:13]
	s_cbranch_execz .LBB73_143
.LBB73_187:                             ;   in Loop: Header=BB73_65 Depth=1
	v_add_f32_e64 v9, |v16|, s28
	v_and_b32_e32 v17, 0xff, v9
	v_cmp_ne_u32_e32 vcc, 0, v17
	s_andn2_b64 s[10:11], s[10:11], exec
	s_and_b64 s[34:35], vcc, exec
	s_mov_b32 s31, 0
	s_or_b64 s[10:11], s[10:11], s[34:35]
	s_or_b64 exec, exec, s[12:13]
	v_mov_b32_e32 v9, s31
	s_and_saveexec_b64 s[12:13], s[10:11]
	s_cbranch_execnz .LBB73_144
	s_branch .LBB73_145
.LBB73_188:                             ;   in Loop: Header=BB73_65 Depth=1
	v_bfe_u32 v8, v16, 20, 1
	v_add3_u32 v8, v16, v8, s27
	s_mov_b64 s[10:11], exec
	v_lshrrev_b32_e32 v17, 20, v8
	s_or_saveexec_b64 s[12:13], s[12:13]
                                        ; implicit-def: $sgpr31
	s_xor_b64 exec, exec, s[12:13]
	s_cbranch_execz .LBB73_149
.LBB73_189:                             ;   in Loop: Header=BB73_65 Depth=1
	v_add_f32_e64 v8, |v16|, s28
	v_and_b32_e32 v17, 0xff, v8
	v_cmp_ne_u32_e32 vcc, 0, v17
	s_andn2_b64 s[10:11], s[10:11], exec
	s_and_b64 s[34:35], vcc, exec
	s_mov_b32 s31, 0
	s_or_b64 s[10:11], s[10:11], s[34:35]
	s_or_b64 exec, exec, s[12:13]
	v_mov_b32_e32 v8, s31
	s_and_saveexec_b64 s[12:13], s[10:11]
	s_cbranch_execnz .LBB73_150
	s_branch .LBB73_151
.LBB73_190:                             ;   in Loop: Header=BB73_65 Depth=1
	v_bfe_u32 v6, v16, 20, 1
	v_add3_u32 v6, v16, v6, s27
	s_mov_b64 s[10:11], exec
	v_lshrrev_b32_e32 v17, 20, v6
	s_or_saveexec_b64 s[12:13], s[12:13]
                                        ; implicit-def: $sgpr31
	s_xor_b64 exec, exec, s[12:13]
	s_cbranch_execz .LBB73_155
.LBB73_191:                             ;   in Loop: Header=BB73_65 Depth=1
	v_add_f32_e64 v6, |v16|, s28
	v_and_b32_e32 v17, 0xff, v6
	v_cmp_ne_u32_e32 vcc, 0, v17
	s_andn2_b64 s[10:11], s[10:11], exec
	s_and_b64 s[34:35], vcc, exec
	s_mov_b32 s31, 0
	s_or_b64 s[10:11], s[10:11], s[34:35]
	s_or_b64 exec, exec, s[12:13]
	v_mov_b32_e32 v6, s31
	s_and_saveexec_b64 s[12:13], s[10:11]
	s_cbranch_execnz .LBB73_156
	s_branch .LBB73_157
.LBB73_192:                             ;   in Loop: Header=BB73_65 Depth=1
	v_bfe_u32 v4, v3, 20, 1
	v_add3_u32 v4, v3, v4, s27
	s_mov_b64 s[10:11], exec
	v_lshrrev_b32_e32 v5, 20, v4
	s_or_saveexec_b64 s[12:13], s[12:13]
                                        ; implicit-def: $sgpr31
	s_xor_b64 exec, exec, s[12:13]
	s_cbranch_execz .LBB73_161
.LBB73_193:                             ;   in Loop: Header=BB73_65 Depth=1
	v_add_f32_e64 v4, |v3|, s28
	v_and_b32_e32 v5, 0xff, v4
	v_cmp_ne_u32_e32 vcc, 0, v5
	s_andn2_b64 s[10:11], s[10:11], exec
	s_and_b64 s[34:35], vcc, exec
	s_mov_b32 s31, 0
	s_or_b64 s[10:11], s[10:11], s[34:35]
	s_or_b64 exec, exec, s[12:13]
	v_mov_b32_e32 v4, s31
	s_and_saveexec_b64 s[12:13], s[10:11]
	s_cbranch_execz .LBB73_60
.LBB73_194:                             ;   in Loop: Header=BB73_65 Depth=1
	v_lshrrev_b32_e32 v3, 24, v3
	v_and_or_b32 v4, v3, s29, v5
	s_branch .LBB73_60
.LBB73_195:
	s_endpgm
.LBB73_196:
                                        ; implicit-def: $vgpr4_vgpr5
	s_andn2_b64 vcc, exec, s[26:27]
	s_cbranch_vccz .LBB73_53
	s_branch .LBB73_54
.LBB73_197:
                                        ; implicit-def: $vgpr2_vgpr3
	s_andn2_b64 vcc, exec, s[22:23]
	s_cbranch_vccz .LBB73_58
	s_branch .LBB73_59
	.section	.rodata,"a",@progbits
	.p2align	6, 0x0
	.amdhsa_kernel _ZN4vllm31rms_norm_per_block_quant_kernelIN3c108BFloat16ENS1_15Float8_e4m3fnuzELb0ELb1ELi128EEEvPT0_PfPKT_S9_PKffiiPS7_l
		.amdhsa_group_segment_fixed_size 4164
		.amdhsa_private_segment_fixed_size 0
		.amdhsa_kernarg_size 328
		.amdhsa_user_sgpr_count 6
		.amdhsa_user_sgpr_private_segment_buffer 1
		.amdhsa_user_sgpr_dispatch_ptr 0
		.amdhsa_user_sgpr_queue_ptr 0
		.amdhsa_user_sgpr_kernarg_segment_ptr 1
		.amdhsa_user_sgpr_dispatch_id 0
		.amdhsa_user_sgpr_flat_scratch_init 0
		.amdhsa_user_sgpr_kernarg_preload_length 0
		.amdhsa_user_sgpr_kernarg_preload_offset 0
		.amdhsa_user_sgpr_private_segment_size 0
		.amdhsa_uses_dynamic_stack 0
		.amdhsa_system_sgpr_private_segment_wavefront_offset 0
		.amdhsa_system_sgpr_workgroup_id_x 1
		.amdhsa_system_sgpr_workgroup_id_y 0
		.amdhsa_system_sgpr_workgroup_id_z 0
		.amdhsa_system_sgpr_workgroup_info 0
		.amdhsa_system_vgpr_workitem_id 0
		.amdhsa_next_free_vgpr 48
		.amdhsa_next_free_sgpr 45
		.amdhsa_accum_offset 48
		.amdhsa_reserve_vcc 1
		.amdhsa_reserve_flat_scratch 0
		.amdhsa_float_round_mode_32 0
		.amdhsa_float_round_mode_16_64 0
		.amdhsa_float_denorm_mode_32 3
		.amdhsa_float_denorm_mode_16_64 3
		.amdhsa_dx10_clamp 1
		.amdhsa_ieee_mode 1
		.amdhsa_fp16_overflow 0
		.amdhsa_tg_split 0
		.amdhsa_exception_fp_ieee_invalid_op 0
		.amdhsa_exception_fp_denorm_src 0
		.amdhsa_exception_fp_ieee_div_zero 0
		.amdhsa_exception_fp_ieee_overflow 0
		.amdhsa_exception_fp_ieee_underflow 0
		.amdhsa_exception_fp_ieee_inexact 0
		.amdhsa_exception_int_div_zero 0
	.end_amdhsa_kernel
	.section	.text._ZN4vllm31rms_norm_per_block_quant_kernelIN3c108BFloat16ENS1_15Float8_e4m3fnuzELb0ELb1ELi128EEEvPT0_PfPKT_S9_PKffiiPS7_l,"axG",@progbits,_ZN4vllm31rms_norm_per_block_quant_kernelIN3c108BFloat16ENS1_15Float8_e4m3fnuzELb0ELb1ELi128EEEvPT0_PfPKT_S9_PKffiiPS7_l,comdat
.Lfunc_end73:
	.size	_ZN4vllm31rms_norm_per_block_quant_kernelIN3c108BFloat16ENS1_15Float8_e4m3fnuzELb0ELb1ELi128EEEvPT0_PfPKT_S9_PKffiiPS7_l, .Lfunc_end73-_ZN4vllm31rms_norm_per_block_quant_kernelIN3c108BFloat16ENS1_15Float8_e4m3fnuzELb0ELb1ELi128EEEvPT0_PfPKT_S9_PKffiiPS7_l
                                        ; -- End function
	.section	.AMDGPU.csdata,"",@progbits
; Kernel info:
; codeLenInByte = 13884
; NumSgprs: 49
; NumVgprs: 48
; NumAgprs: 0
; TotalNumVgprs: 48
; ScratchSize: 0
; MemoryBound: 0
; FloatMode: 240
; IeeeMode: 1
; LDSByteSize: 4164 bytes/workgroup (compile time only)
; SGPRBlocks: 6
; VGPRBlocks: 5
; NumSGPRsForWavesPerEU: 49
; NumVGPRsForWavesPerEU: 48
; AccumOffset: 48
; Occupancy: 8
; WaveLimiterHint : 0
; COMPUTE_PGM_RSRC2:SCRATCH_EN: 0
; COMPUTE_PGM_RSRC2:USER_SGPR: 6
; COMPUTE_PGM_RSRC2:TRAP_HANDLER: 0
; COMPUTE_PGM_RSRC2:TGID_X_EN: 1
; COMPUTE_PGM_RSRC2:TGID_Y_EN: 0
; COMPUTE_PGM_RSRC2:TGID_Z_EN: 0
; COMPUTE_PGM_RSRC2:TIDIG_COMP_CNT: 0
; COMPUTE_PGM_RSRC3_GFX90A:ACCUM_OFFSET: 11
; COMPUTE_PGM_RSRC3_GFX90A:TG_SPLIT: 0
	.section	.text._ZN4vllm31rms_norm_per_block_quant_kernelIN3c108BFloat16EaLb0ELb1ELi128EEEvPT0_PfPKT_S8_PKffiiPS6_l,"axG",@progbits,_ZN4vllm31rms_norm_per_block_quant_kernelIN3c108BFloat16EaLb0ELb1ELi128EEEvPT0_PfPKT_S8_PKffiiPS6_l,comdat
	.protected	_ZN4vllm31rms_norm_per_block_quant_kernelIN3c108BFloat16EaLb0ELb1ELi128EEEvPT0_PfPKT_S8_PKffiiPS6_l ; -- Begin function _ZN4vllm31rms_norm_per_block_quant_kernelIN3c108BFloat16EaLb0ELb1ELi128EEEvPT0_PfPKT_S8_PKffiiPS6_l
	.globl	_ZN4vllm31rms_norm_per_block_quant_kernelIN3c108BFloat16EaLb0ELb1ELi128EEEvPT0_PfPKT_S8_PKffiiPS6_l
	.p2align	8
	.type	_ZN4vllm31rms_norm_per_block_quant_kernelIN3c108BFloat16EaLb0ELb1ELi128EEEvPT0_PfPKT_S8_PKffiiPS6_l,@function
_ZN4vllm31rms_norm_per_block_quant_kernelIN3c108BFloat16EaLb0ELb1ELi128EEEvPT0_PfPKT_S8_PKffiiPS6_l: ; @_ZN4vllm31rms_norm_per_block_quant_kernelIN3c108BFloat16EaLb0ELb1ELi128EEEvPT0_PfPKT_S8_PKffiiPS6_l
; %bb.0:
	s_load_dwordx4 s[16:19], s[4:5], 0x28
	s_load_dwordx8 s[8:15], s[4:5], 0x0
	s_load_dword s43, s[4:5], 0x48
	s_mov_b32 s7, 0
	v_mov_b32_e32 v1, 0
	s_waitcnt lgkmcnt(0)
	s_ashr_i32 s0, s18, 31
	s_mul_hi_u32 s1, s18, s6
	s_mul_i32 s0, s0, s6
	s_add_i32 s1, s1, s0
	s_mul_i32 s0, s18, s6
	s_lshl_b64 s[28:29], s[0:1], 1
	s_add_u32 s33, s12, s28
	s_addc_u32 s42, s13, s29
	s_ashr_i32 s18, s17, 2
	s_add_u32 s24, s4, 0x48
	s_mov_b32 s20, s17
	v_cmp_gt_u32_e64 s[0:1], s18, v0
	s_addc_u32 s25, s5, 0
	s_and_saveexec_b64 s[2:3], s[0:1]
	s_cbranch_execz .LBB74_10
; %bb.1:
	s_cmp_lt_u32 s6, s43
	s_cselect_b32 s19, 12, 18
	s_add_u32 s22, s24, s19
	s_addc_u32 s23, s25, 0
	v_mov_b32_e32 v3, 0
	global_load_ushort v8, v3, s[22:23]
	s_mov_b64 s[22:23], 0
	v_mov_b32_e32 v9, s42
	v_mov_b32_e32 v2, v0
                                        ; implicit-def: $sgpr26_sgpr27
	s_waitcnt vmcnt(0)
	v_add_u32_e32 v1, v8, v8
	v_mul_lo_u32 v10, v8, 3
	v_lshlrev_b32_e32 v11, 1, v8
	v_add_u32_e32 v12, v1, v8
	v_mov_b32_e32 v1, v3
	s_branch .LBB74_5
.LBB74_2:                               ;   in Loop: Header=BB74_5 Depth=1
	s_or_b64 exec, exec, s[36:37]
	s_orn2_b64 s[36:37], s[38:39], exec
.LBB74_3:                               ;   in Loop: Header=BB74_5 Depth=1
	s_or_b64 exec, exec, s[34:35]
	s_andn2_b64 s[26:27], s[26:27], exec
	s_and_b64 s[34:35], s[36:37], exec
	s_or_b64 s[26:27], s[26:27], s[34:35]
.LBB74_4:                               ;   in Loop: Header=BB74_5 Depth=1
	s_or_b64 exec, exec, s[30:31]
	s_and_b64 s[30:31], exec, s[26:27]
	s_or_b64 s[22:23], s[30:31], s[22:23]
	s_andn2_b64 exec, exec, s[22:23]
	s_cbranch_execz .LBB74_9
.LBB74_5:                               ; =>This Inner Loop Header: Depth=1
	v_lshlrev_b64 v[4:5], 3, v[2:3]
	v_add_co_u32_e32 v4, vcc, s33, v4
	v_addc_co_u32_e32 v5, vcc, v9, v5, vcc
	global_load_dwordx2 v[6:7], v[4:5], off
	v_add_u32_e32 v4, v2, v8
	v_cmp_gt_u32_e32 vcc, s18, v4
	s_or_b64 s[26:27], s[26:27], exec
	s_waitcnt vmcnt(0)
	v_lshlrev_b32_e32 v13, 16, v6
	v_and_b32_e32 v5, 0xffff0000, v6
	v_alignbit_b32 v6, v7, v6, 16
	v_fmac_f32_e32 v1, v13, v13
	v_and_b32_e32 v6, 0xffff0000, v6
	v_fmac_f32_e32 v1, v5, v5
	v_and_b32_e32 v7, 0xffff0000, v7
	v_fmac_f32_e32 v1, v6, v6
	v_fmac_f32_e32 v1, v7, v7
	s_and_saveexec_b64 s[30:31], vcc
	s_cbranch_execz .LBB74_4
; %bb.6:                                ;   in Loop: Header=BB74_5 Depth=1
	v_mov_b32_e32 v5, v3
	v_lshlrev_b64 v[6:7], 3, v[4:5]
	v_add_co_u32_e32 v6, vcc, s33, v6
	v_addc_co_u32_e32 v7, vcc, v9, v7, vcc
	global_load_dwordx2 v[14:15], v[6:7], off
	v_add_u32_e32 v6, v11, v2
	v_cmp_gt_u32_e32 vcc, s18, v6
	s_mov_b64 s[36:37], -1
	s_waitcnt vmcnt(0)
	v_lshlrev_b32_e32 v7, 16, v14
	v_and_b32_e32 v5, 0xffff0000, v14
	v_alignbit_b32 v13, v15, v14, 16
	v_fmac_f32_e32 v1, v7, v7
	v_and_b32_e32 v13, 0xffff0000, v13
	v_fmac_f32_e32 v1, v5, v5
	v_and_b32_e32 v14, 0xffff0000, v15
	v_fmac_f32_e32 v1, v13, v13
	v_fmac_f32_e32 v1, v14, v14
	s_and_saveexec_b64 s[34:35], vcc
	s_cbranch_execz .LBB74_3
; %bb.7:                                ;   in Loop: Header=BB74_5 Depth=1
	v_mov_b32_e32 v7, v3
	v_lshlrev_b64 v[6:7], 3, v[6:7]
	v_add_co_u32_e32 v6, vcc, s33, v6
	v_addc_co_u32_e32 v7, vcc, v9, v7, vcc
	global_load_dwordx2 v[6:7], v[6:7], off
	v_add_u32_e32 v2, v10, v2
	v_cmp_gt_u32_e32 vcc, s18, v2
	s_mov_b64 s[38:39], -1
	s_waitcnt vmcnt(0)
	v_lshlrev_b32_e32 v13, 16, v6
	v_and_b32_e32 v5, 0xffff0000, v6
	v_alignbit_b32 v6, v7, v6, 16
	v_fmac_f32_e32 v1, v13, v13
	v_and_b32_e32 v6, 0xffff0000, v6
	v_fmac_f32_e32 v1, v5, v5
	v_and_b32_e32 v7, 0xffff0000, v7
	v_fmac_f32_e32 v1, v6, v6
	v_fmac_f32_e32 v1, v7, v7
	s_and_saveexec_b64 s[36:37], vcc
	s_xor_b64 s[36:37], exec, s[36:37]
	s_cbranch_execz .LBB74_2
; %bb.8:                                ;   in Loop: Header=BB74_5 Depth=1
	v_lshlrev_b64 v[6:7], 3, v[2:3]
	v_add_co_u32_e32 v6, vcc, s33, v6
	v_addc_co_u32_e32 v7, vcc, v9, v7, vcc
	global_load_dwordx2 v[6:7], v[6:7], off
	v_add_u32_e32 v2, v12, v4
	v_cmp_le_u32_e32 vcc, s18, v2
	s_orn2_b64 s[38:39], vcc, exec
	s_waitcnt vmcnt(0)
	v_lshlrev_b32_e32 v5, 16, v6
	v_and_b32_e32 v4, 0xffff0000, v6
	v_alignbit_b32 v6, v7, v6, 16
	v_fmac_f32_e32 v1, v5, v5
	v_and_b32_e32 v6, 0xffff0000, v6
	v_fmac_f32_e32 v1, v4, v4
	v_and_b32_e32 v7, 0xffff0000, v7
	v_fmac_f32_e32 v1, v6, v6
	v_fmac_f32_e32 v1, v7, v7
	s_branch .LBB74_2
.LBB74_9:
	s_or_b64 exec, exec, s[22:23]
.LBB74_10:
	s_or_b64 exec, exec, s[2:3]
	v_mbcnt_lo_u32_b32 v2, -1, 0
	v_mbcnt_hi_u32_b32 v2, -1, v2
	v_and_b32_e32 v3, 63, v2
	v_cmp_ne_u32_e32 vcc, 63, v3
	s_load_dword s2, s[24:25], 0xc
	v_addc_co_u32_e32 v4, vcc, 0, v2, vcc
	v_lshlrev_b32_e32 v4, 2, v4
	ds_bpermute_b32 v4, v4, v1
	s_waitcnt lgkmcnt(0)
	s_and_b32 s19, s2, 0xffff
	v_and_b32_e32 v5, 0x3c0, v0
	v_sub_u32_e64 v5, s19, v5 clamp
	v_add_u32_e32 v6, 1, v2
	v_add_f32_e32 v4, v1, v4
	v_cmp_lt_u32_e32 vcc, v6, v5
	v_cndmask_b32_e32 v1, v1, v4, vcc
	v_cmp_gt_u32_e32 vcc, 62, v3
	v_cndmask_b32_e64 v4, 0, 1, vcc
	v_lshlrev_b32_e32 v4, 1, v4
	v_add_lshl_u32 v4, v4, v2, 2
	ds_bpermute_b32 v4, v4, v1
	v_add_u32_e32 v6, 2, v2
	v_cmp_lt_u32_e32 vcc, v6, v5
	v_add_u32_e32 v6, 4, v2
	s_waitcnt lgkmcnt(0)
	v_add_f32_e32 v4, v1, v4
	v_cndmask_b32_e32 v1, v1, v4, vcc
	v_cmp_gt_u32_e32 vcc, 60, v3
	v_cndmask_b32_e64 v4, 0, 1, vcc
	v_lshlrev_b32_e32 v4, 2, v4
	v_add_lshl_u32 v4, v4, v2, 2
	ds_bpermute_b32 v4, v4, v1
	v_cmp_lt_u32_e32 vcc, v6, v5
	v_add_u32_e32 v6, 8, v2
	s_waitcnt lgkmcnt(0)
	v_add_f32_e32 v4, v1, v4
	v_cndmask_b32_e32 v1, v1, v4, vcc
	v_cmp_gt_u32_e32 vcc, 56, v3
	v_cndmask_b32_e64 v4, 0, 1, vcc
	v_lshlrev_b32_e32 v4, 3, v4
	v_add_lshl_u32 v4, v4, v2, 2
	ds_bpermute_b32 v4, v4, v1
	;; [unrolled: 10-line block ×3, first 2 shown]
	v_cmp_lt_u32_e32 vcc, v6, v5
	s_waitcnt lgkmcnt(0)
	v_add_f32_e32 v4, v1, v4
	v_cndmask_b32_e32 v1, v1, v4, vcc
	v_cmp_gt_u32_e32 vcc, 32, v3
	v_cndmask_b32_e64 v3, 0, 1, vcc
	v_lshlrev_b32_e32 v3, 5, v3
	v_add_lshl_u32 v3, v3, v2, 2
	ds_bpermute_b32 v3, v3, v1
	v_add_u32_e32 v4, 32, v2
	v_cmp_lt_u32_e32 vcc, v4, v5
	s_waitcnt lgkmcnt(0)
	v_add_f32_e32 v3, v1, v3
	v_cndmask_b32_e32 v1, v1, v3, vcc
	v_cmp_eq_u32_e32 vcc, 0, v2
	s_and_saveexec_b64 s[2:3], vcc
	s_cbranch_execz .LBB74_12
; %bb.11:
	v_lshrrev_b32_e32 v3, 4, v0
	v_and_b32_e32 v3, 60, v3
	ds_write_b32 v3, v1 offset:4096
.LBB74_12:
	s_or_b64 exec, exec, s[2:3]
	v_cmp_gt_u32_e32 vcc, 16, v0
	s_waitcnt lgkmcnt(0)
	s_barrier
	s_and_saveexec_b64 s[22:23], vcc
	s_cbranch_execz .LBB74_14
; %bb.13:
	v_lshlrev_b32_e32 v1, 2, v2
	ds_read_b32 v1, v1 offset:4096
	v_and_b32_e32 v3, 15, v2
	v_cmp_ne_u32_e32 vcc, 15, v3
	v_addc_co_u32_e32 v4, vcc, 0, v2, vcc
	v_lshlrev_b32_e32 v4, 2, v4
	s_waitcnt lgkmcnt(0)
	ds_bpermute_b32 v4, v4, v1
	s_add_i32 s19, s19, 63
	s_lshr_b32 s19, s19, 6
	v_add_u32_e32 v5, 1, v3
	v_cmp_gt_u32_e64 s[2:3], 14, v3
	v_cmp_gt_u32_e32 vcc, s19, v5
	v_cndmask_b32_e64 v5, 0, 1, s[2:3]
	s_waitcnt lgkmcnt(0)
	v_add_f32_e32 v4, v1, v4
	v_lshlrev_b32_e32 v5, 1, v5
	v_cndmask_b32_e32 v4, v1, v4, vcc
	v_add_lshl_u32 v5, v5, v2, 2
	ds_bpermute_b32 v5, v5, v4
	v_add_u32_e32 v6, 2, v3
	v_cmp_gt_u32_e64 s[2:3], s19, v6
	v_add_u32_e32 v6, 4, v3
	s_waitcnt lgkmcnt(0)
	v_add_f32_e32 v5, v4, v5
	v_cndmask_b32_e64 v4, v4, v5, s[2:3]
	v_cmp_gt_u32_e64 s[2:3], 12, v3
	v_cndmask_b32_e64 v5, 0, 1, s[2:3]
	v_lshlrev_b32_e32 v5, 2, v5
	v_add_lshl_u32 v5, v5, v2, 2
	ds_bpermute_b32 v5, v5, v4
	v_cmp_gt_u32_e64 s[2:3], s19, v6
	s_waitcnt lgkmcnt(0)
	v_add_f32_e32 v5, v4, v5
	v_cndmask_b32_e64 v4, v4, v5, s[2:3]
	v_cmp_gt_u32_e64 s[2:3], 8, v3
	v_cndmask_b32_e64 v5, 0, 1, s[2:3]
	v_lshlrev_b32_e32 v5, 3, v5
	v_add_lshl_u32 v2, v5, v2, 2
	ds_bpermute_b32 v2, v2, v4
	v_add_u32_e32 v3, 8, v3
	v_cmp_gt_u32_e64 s[2:3], s19, v3
	s_waitcnt lgkmcnt(0)
	v_add_f32_e32 v2, v4, v2
	v_cndmask_b32_e64 v2, v4, v2, s[2:3]
	v_cndmask_b32_e32 v1, v1, v2, vcc
.LBB74_14:
	s_or_b64 exec, exec, s[22:23]
	v_cmp_eq_u32_e32 vcc, 0, v0
	s_and_saveexec_b64 s[2:3], vcc
	s_cbranch_execz .LBB74_16
; %bb.15:
	v_cvt_f32_i32_e32 v2, s17
	s_mov_b32 s19, 0x800000
	v_div_scale_f32 v3, s[22:23], v2, v2, v1
	v_rcp_f32_e32 v4, v3
	v_div_scale_f32 v5, vcc, v1, v2, v1
	v_fma_f32 v6, -v3, v4, 1.0
	v_fmac_f32_e32 v4, v6, v4
	v_mul_f32_e32 v6, v5, v4
	v_fma_f32 v7, -v3, v6, v5
	v_fmac_f32_e32 v6, v7, v4
	v_fma_f32 v3, -v3, v6, v5
	v_div_fmas_f32 v3, v3, v4, v6
	v_div_fixup_f32 v1, v3, v2, v1
	v_add_f32_e32 v1, s16, v1
	v_mul_f32_e32 v2, 0x4b800000, v1
	v_cmp_gt_f32_e32 vcc, s19, v1
	v_cndmask_b32_e32 v1, v1, v2, vcc
	v_rsq_f32_e32 v1, v1
	v_mul_f32_e32 v2, 0x45800000, v1
	v_cndmask_b32_e32 v1, v1, v2, vcc
	v_mov_b32_e32 v2, 0
	ds_write_b32 v2, v1 offset:4160
.LBB74_16:
	s_or_b64 exec, exec, s[2:3]
	s_ashr_i32 s21, s17, 31
	s_lshr_b32 s2, s21, 25
	s_add_i32 s16, s17, s2
	s_ashr_i32 s22, s16, 7
	s_cmp_lt_u32 s6, s43
	s_cselect_b32 s2, 12, 18
	s_add_u32 s2, s24, s2
	v_mov_b32_e32 v5, 0
	s_addc_u32 s3, s25, 0
	s_waitcnt lgkmcnt(0)
	s_barrier
	global_load_ushort v1, v5, s[2:3]
	ds_read_b32 v36, v5 offset:4160
	s_abs_i32 s2, s22
	v_cvt_f32_u32_e32 v2, s2
	s_ashr_i32 s3, s16, 31
	s_sub_i32 s16, 0, s2
	v_mov_b32_e32 v10, s18
	v_rcp_iflag_f32_e32 v2, v2
	v_mul_f32_e32 v2, 0x4f7ffffe, v2
	v_cvt_u32_f32_e32 v2, v2
	v_readfirstlane_b32 s19, v2
	s_mul_i32 s16, s16, s19
	s_mul_hi_u32 s16, s19, s16
	s_add_i32 s19, s19, s16
	s_waitcnt vmcnt(0)
	v_readfirstlane_b32 s16, v1
	s_mul_hi_u32 s19, s16, s19
	s_mul_i32 s23, s19, s2
	s_sub_i32 s23, s16, s23
	s_add_i32 s24, s19, 1
	s_sub_i32 s25, s23, s2
	s_cmp_ge_u32 s23, s2
	s_cselect_b32 s19, s24, s19
	s_cselect_b32 s23, s25, s23
	s_add_i32 s24, s19, 1
	s_cmp_ge_u32 s23, s2
	s_cselect_b32 s2, s24, s19
	s_xor_b32 s2, s2, s3
	s_sub_i32 s24, s2, s3
	s_abs_i32 s2, s24
	v_cvt_f32_u32_e32 v1, s2
	s_sub_i32 s3, 0, s2
	s_ashr_i32 s25, s24, 31
	s_ashr_i32 s19, s18, 31
	v_rcp_iflag_f32_e32 v1, v1
	v_mov_b32_e32 v11, s19
	v_mul_f32_e32 v1, 0x4f7ffffe, v1
	v_cvt_u32_f32_e32 v1, v1
	v_mul_lo_u32 v2, s3, v1
	v_mul_hi_u32 v2, v1, v2
	v_add_u32_e32 v1, v1, v2
	v_mul_hi_u32 v1, v0, v1
	v_mul_lo_u32 v2, v1, s2
	v_sub_u32_e32 v2, v0, v2
	v_add_u32_e32 v3, 1, v1
	v_cmp_le_u32_e32 vcc, s2, v2
	v_cndmask_b32_e32 v1, v1, v3, vcc
	v_subrev_u32_e32 v3, s2, v2
	v_cndmask_b32_e32 v2, v2, v3, vcc
	v_add_u32_e32 v3, 1, v1
	v_cmp_le_u32_e32 vcc, s2, v2
	v_cndmask_b32_e32 v1, v1, v3, vcc
	v_xor_b32_e32 v1, s25, v1
	v_subrev_u32_e32 v2, s25, v1
	v_mul_lo_u32 v1, v2, s24
	v_ashrrev_i32_e32 v3, 31, v2
	v_sub_u32_e32 v4, v0, v1
	v_lshlrev_b64 v[8:9], 5, v[2:3]
	v_add_co_u32_e32 v6, vcc, v8, v4
	v_addc_co_u32_e32 v7, vcc, 0, v9, vcc
	v_add_co_u32_e32 v8, vcc, 32, v8
	v_addc_co_u32_e32 v9, vcc, 0, v9, vcc
	v_cmp_gt_i64_e32 vcc, s[18:19], v[8:9]
	v_cndmask_b32_e32 v8, v10, v8, vcc
	v_cndmask_b32_e32 v9, v11, v9, vcc
	v_ashrrev_i32_e32 v11, 31, v8
	v_mov_b32_e32 v10, v8
	v_cmp_lt_i64_e32 vcc, v[6:7], v[10:11]
	s_and_saveexec_b64 s[26:27], vcc
	s_cbranch_execz .LBB74_26
; %bb.17:
	v_lshlrev_b64 v[28:29], 8, v[2:3]
	s_mul_i32 s23, s24, 24
	v_lshlrev_b64 v[12:13], 3, v[4:5]
	v_mov_b32_e32 v1, s29
	v_add_co_u32_e32 v5, vcc, s28, v28
	s_mul_hi_i32 s19, s24, 24
	s_add_u32 s2, s12, s23
	v_addc_co_u32_e32 v19, vcc, v1, v29, vcc
	s_addc_u32 s3, s13, s19
	v_mov_b32_e32 v1, s3
	v_add_co_u32_e32 v14, vcc, s2, v5
	s_lshl_b64 s[28:29], s[24:25], 5
	s_lshl_b64 s[2:3], s[24:25], 4
	s_add_u32 s30, s12, s2
	v_addc_co_u32_e32 v1, vcc, v1, v19, vcc
	s_addc_u32 s31, s13, s3
	v_mov_b32_e32 v15, s31
	v_add_co_u32_e32 v16, vcc, s30, v5
	s_lshl_b64 s[30:31], s[24:25], 3
	s_add_u32 s34, s12, s30
	v_addc_co_u32_e32 v15, vcc, v15, v19, vcc
	s_addc_u32 s35, s13, s31
	v_mov_b32_e32 v17, s35
	v_add_co_u32_e32 v18, vcc, s34, v5
	v_addc_co_u32_e32 v17, vcc, v17, v19, vcc
	v_mov_b32_e32 v21, s13
	v_add_co_u32_e32 v20, vcc, s12, v5
	s_add_u32 s12, s14, s23
	v_addc_co_u32_e32 v19, vcc, v21, v19, vcc
	s_addc_u32 s13, s15, s19
	v_mov_b32_e32 v5, s13
	v_add_co_u32_e32 v22, vcc, s12, v28
	s_add_u32 s2, s14, s2
	v_addc_co_u32_e32 v21, vcc, v5, v29, vcc
	s_addc_u32 s3, s15, s3
	;; [unrolled: 5-line block ×3, first 2 shown]
	v_mov_b32_e32 v5, s3
	v_add_co_u32_e32 v26, vcc, s2, v28
	v_addc_co_u32_e32 v25, vcc, v5, v29, vcc
	v_mov_b32_e32 v5, s15
	v_add_co_u32_e32 v28, vcc, s14, v28
	v_addc_co_u32_e32 v27, vcc, v5, v29, vcc
	s_mul_hi_i32 s19, s24, 3
	s_mul_i32 s23, s24, 3
	s_lshl_b64 s[30:31], s[24:25], 1
	s_mov_b64 s[12:13], 0
	v_mov_b32_e32 v5, 0
	s_movk_i32 s44, 0x7fff
	v_mov_b32_e32 v29, 0x7fc00000
	v_mov_b32_e32 v34, s25
	v_pk_mov_b32 v[30:31], v[6:7], v[6:7] op_sel:[0,1]
                                        ; implicit-def: $sgpr34_sgpr35
	s_branch .LBB74_21
.LBB74_18:                              ;   in Loop: Header=BB74_21 Depth=1
	s_or_b64 exec, exec, s[2:3]
	s_orn2_b64 s[2:3], s[40:41], exec
.LBB74_19:                              ;   in Loop: Header=BB74_21 Depth=1
	s_or_b64 exec, exec, s[38:39]
	s_andn2_b64 s[34:35], s[34:35], exec
	s_and_b64 s[2:3], s[2:3], exec
	s_or_b64 s[34:35], s[34:35], s[2:3]
.LBB74_20:                              ;   in Loop: Header=BB74_21 Depth=1
	s_or_b64 exec, exec, s[36:37]
	s_and_b64 s[2:3], exec, s[34:35]
	s_or_b64 s[12:13], s[2:3], s[12:13]
	s_andn2_b64 exec, exec, s[12:13]
	s_cbranch_execz .LBB74_25
.LBB74_21:                              ; =>This Inner Loop Header: Depth=1
	v_add_co_u32_e32 v32, vcc, v20, v12
	v_addc_co_u32_e32 v33, vcc, v19, v13, vcc
	global_load_dwordx2 v[38:39], v[32:33], off
	v_add_co_u32_e32 v32, vcc, v28, v12
	v_addc_co_u32_e32 v33, vcc, v27, v13, vcc
	global_load_dwordx2 v[40:41], v[32:33], off
	v_add_co_u32_e32 v32, vcc, s24, v30
	v_addc_co_u32_e32 v33, vcc, v31, v34, vcc
	v_cmp_lt_i64_e32 vcc, v[32:33], v[10:11]
	s_or_b64 s[34:35], s[34:35], exec
	s_waitcnt vmcnt(1)
	v_lshlrev_b32_e32 v42, 16, v38
	v_and_b32_e32 v35, 0xffff0000, v38
	s_waitcnt lgkmcnt(0)
	v_mul_f32_e32 v42, v36, v42
	v_alignbit_b32 v38, v39, v38, 16
	v_and_b32_e32 v39, 0xffff0000, v39
	v_mul_f32_e32 v35, v36, v35
	v_bfe_u32 v44, v42, 16, 1
	v_mul_f32_e32 v39, v36, v39
	v_bfe_u32 v45, v35, 16, 1
	v_add3_u32 v44, v42, v44, s44
	v_and_b32_e32 v38, 0xffff0000, v38
	v_bfe_u32 v46, v39, 16, 1
	v_add3_u32 v45, v35, v45, s44
	v_and_b32_e32 v44, 0xffff0000, v44
	v_cmp_o_f32_e64 s[2:3], v42, v42
	v_mul_f32_e32 v38, v36, v38
	v_add3_u32 v46, v39, v46, s44
	v_and_b32_e32 v45, 0xffff0000, v45
	v_cndmask_b32_e64 v42, v29, v44, s[2:3]
	v_cmp_o_f32_e64 s[2:3], v35, v35
	s_waitcnt vmcnt(0)
	v_lshlrev_b32_e32 v43, 16, v40
	v_bfe_u32 v47, v38, 16, 1
	v_and_b32_e32 v46, 0xffff0000, v46
	v_cndmask_b32_e64 v35, v29, v45, s[2:3]
	v_cmp_o_f32_e64 s[2:3], v39, v39
	v_and_b32_e32 v37, 0xffff0000, v40
	v_alignbit_b32 v40, v41, v40, 16
	v_and_b32_e32 v41, 0xffff0000, v41
	v_add3_u32 v47, v38, v47, s44
	v_cndmask_b32_e64 v39, v29, v46, s[2:3]
	v_mul_f32_e32 v42, v42, v43
	v_and_b32_e32 v44, 0xffff0000, v47
	v_mul_f32_e32 v35, v35, v37
	v_cmp_o_f32_e64 s[2:3], v38, v38
	v_mul_f32_e32 v38, v39, v41
	v_bfe_u32 v39, v42, 16, 1
	v_and_b32_e32 v40, 0xffff0000, v40
	v_cndmask_b32_e64 v37, v29, v44, s[2:3]
	v_bfe_u32 v41, v35, 16, 1
	v_add3_u32 v39, v42, v39, s44
	v_mul_f32_e32 v37, v37, v40
	v_bfe_u32 v40, v38, 16, 1
	v_add3_u32 v41, v35, v41, s44
	v_and_b32_e32 v39, 0xffff0000, v39
	v_cmp_o_f32_e64 s[2:3], v42, v42
	v_bfe_u32 v43, v37, 16, 1
	v_add3_u32 v40, v38, v40, s44
	v_and_b32_e32 v41, 0xffff0000, v41
	v_cndmask_b32_e64 v39, v29, |v39|, s[2:3]
	v_cmp_o_f32_e64 s[2:3], v35, v35
	v_add3_u32 v43, v37, v43, s44
	v_and_b32_e32 v40, 0xffff0000, v40
	v_cndmask_b32_e64 v35, v29, |v41|, s[2:3]
	v_cmp_o_f32_e64 s[2:3], v38, v38
	v_and_b32_e32 v41, 0xffff0000, v43
	v_cndmask_b32_e64 v38, v29, |v40|, s[2:3]
	v_cmp_o_f32_e64 s[2:3], v37, v37
	v_max3_f32 v5, v5, v39, v35
	v_cndmask_b32_e64 v35, v29, |v41|, s[2:3]
	v_max3_f32 v5, v5, v35, v38
	s_and_saveexec_b64 s[36:37], vcc
	s_cbranch_execz .LBB74_20
; %bb.22:                               ;   in Loop: Header=BB74_21 Depth=1
	v_add_co_u32_e32 v38, vcc, v18, v12
	v_addc_co_u32_e32 v39, vcc, v17, v13, vcc
	global_load_dwordx2 v[38:39], v[38:39], off
	v_add_co_u32_e32 v40, vcc, v26, v12
	v_addc_co_u32_e32 v41, vcc, v25, v13, vcc
	global_load_dwordx2 v[40:41], v[40:41], off
	v_mov_b32_e32 v35, s31
	v_add_co_u32_e32 v42, vcc, s30, v30
	v_addc_co_u32_e32 v43, vcc, v35, v31, vcc
	v_cmp_lt_i64_e32 vcc, v[42:43], v[10:11]
	s_waitcnt vmcnt(1)
	v_lshlrev_b32_e32 v42, 16, v38
	v_and_b32_e32 v35, 0xffff0000, v38
	v_mul_f32_e32 v42, v36, v42
	v_alignbit_b32 v38, v39, v38, 16
	v_and_b32_e32 v39, 0xffff0000, v39
	v_mul_f32_e32 v35, v36, v35
	v_bfe_u32 v44, v42, 16, 1
	v_mul_f32_e32 v39, v36, v39
	v_bfe_u32 v45, v35, 16, 1
	v_add3_u32 v44, v42, v44, s44
	v_and_b32_e32 v38, 0xffff0000, v38
	v_bfe_u32 v46, v39, 16, 1
	v_add3_u32 v45, v35, v45, s44
	v_and_b32_e32 v44, 0xffff0000, v44
	v_cmp_o_f32_e64 s[2:3], v42, v42
	v_mul_f32_e32 v38, v36, v38
	v_add3_u32 v46, v39, v46, s44
	v_and_b32_e32 v45, 0xffff0000, v45
	v_cndmask_b32_e64 v42, v29, v44, s[2:3]
	v_cmp_o_f32_e64 s[2:3], v35, v35
	s_waitcnt vmcnt(0)
	v_lshlrev_b32_e32 v43, 16, v40
	v_bfe_u32 v47, v38, 16, 1
	v_and_b32_e32 v46, 0xffff0000, v46
	v_cndmask_b32_e64 v35, v29, v45, s[2:3]
	v_cmp_o_f32_e64 s[2:3], v39, v39
	v_and_b32_e32 v37, 0xffff0000, v40
	v_alignbit_b32 v40, v41, v40, 16
	v_and_b32_e32 v41, 0xffff0000, v41
	v_add3_u32 v47, v38, v47, s44
	v_cndmask_b32_e64 v39, v29, v46, s[2:3]
	v_mul_f32_e32 v42, v42, v43
	v_and_b32_e32 v44, 0xffff0000, v47
	v_mul_f32_e32 v35, v35, v37
	v_cmp_o_f32_e64 s[2:3], v38, v38
	v_mul_f32_e32 v38, v39, v41
	v_bfe_u32 v39, v42, 16, 1
	v_and_b32_e32 v40, 0xffff0000, v40
	v_cndmask_b32_e64 v37, v29, v44, s[2:3]
	v_bfe_u32 v41, v35, 16, 1
	v_add3_u32 v39, v42, v39, s44
	v_mul_f32_e32 v37, v37, v40
	v_bfe_u32 v40, v38, 16, 1
	v_add3_u32 v41, v35, v41, s44
	v_and_b32_e32 v39, 0xffff0000, v39
	v_cmp_o_f32_e64 s[2:3], v42, v42
	v_bfe_u32 v43, v37, 16, 1
	v_add3_u32 v40, v38, v40, s44
	v_and_b32_e32 v41, 0xffff0000, v41
	v_cndmask_b32_e64 v39, v29, |v39|, s[2:3]
	v_cmp_o_f32_e64 s[2:3], v35, v35
	v_add3_u32 v43, v37, v43, s44
	v_and_b32_e32 v40, 0xffff0000, v40
	v_cndmask_b32_e64 v35, v29, |v41|, s[2:3]
	v_cmp_o_f32_e64 s[2:3], v38, v38
	v_and_b32_e32 v41, 0xffff0000, v43
	v_cndmask_b32_e64 v38, v29, |v40|, s[2:3]
	v_cmp_o_f32_e64 s[2:3], v37, v37
	v_max3_f32 v5, v5, v39, v35
	v_cndmask_b32_e64 v35, v29, |v41|, s[2:3]
	v_max3_f32 v5, v5, v35, v38
	s_mov_b64 s[2:3], -1
	s_and_saveexec_b64 s[38:39], vcc
	s_cbranch_execz .LBB74_19
; %bb.23:                               ;   in Loop: Header=BB74_21 Depth=1
	v_add_co_u32_e32 v38, vcc, v16, v12
	v_addc_co_u32_e32 v39, vcc, v15, v13, vcc
	global_load_dwordx2 v[38:39], v[38:39], off
	v_add_co_u32_e32 v40, vcc, v24, v12
	v_addc_co_u32_e32 v41, vcc, v23, v13, vcc
	global_load_dwordx2 v[40:41], v[40:41], off
	v_mov_b32_e32 v35, s19
	v_add_co_u32_e32 v30, vcc, s23, v30
	v_addc_co_u32_e32 v31, vcc, v35, v31, vcc
	v_cmp_lt_i64_e32 vcc, v[30:31], v[10:11]
	s_mov_b64 s[40:41], -1
	s_waitcnt vmcnt(1)
	v_lshlrev_b32_e32 v35, 16, v38
	v_and_b32_e32 v30, 0xffff0000, v38
	v_mul_f32_e32 v35, v36, v35
	v_alignbit_b32 v37, v39, v38, 16
	v_and_b32_e32 v38, 0xffff0000, v39
	v_mul_f32_e32 v30, v36, v30
	v_bfe_u32 v42, v35, 16, 1
	v_mul_f32_e32 v38, v36, v38
	v_bfe_u32 v43, v30, 16, 1
	v_add3_u32 v42, v35, v42, s44
	v_and_b32_e32 v37, 0xffff0000, v37
	v_bfe_u32 v44, v38, 16, 1
	v_add3_u32 v43, v30, v43, s44
	v_and_b32_e32 v42, 0xffff0000, v42
	v_cmp_o_f32_e64 s[2:3], v35, v35
	v_mul_f32_e32 v37, v36, v37
	v_add3_u32 v44, v38, v44, s44
	v_and_b32_e32 v43, 0xffff0000, v43
	v_cndmask_b32_e64 v35, v29, v42, s[2:3]
	v_cmp_o_f32_e64 s[2:3], v30, v30
	s_waitcnt vmcnt(0)
	v_lshlrev_b32_e32 v39, 16, v40
	v_bfe_u32 v45, v37, 16, 1
	v_and_b32_e32 v44, 0xffff0000, v44
	v_cndmask_b32_e64 v30, v29, v43, s[2:3]
	v_cmp_o_f32_e64 s[2:3], v38, v38
	v_and_b32_e32 v31, 0xffff0000, v40
	v_alignbit_b32 v40, v41, v40, 16
	v_and_b32_e32 v41, 0xffff0000, v41
	v_add3_u32 v45, v37, v45, s44
	v_cndmask_b32_e64 v38, v29, v44, s[2:3]
	v_mul_f32_e32 v35, v35, v39
	v_and_b32_e32 v42, 0xffff0000, v45
	v_mul_f32_e32 v30, v30, v31
	v_cmp_o_f32_e64 s[2:3], v37, v37
	v_mul_f32_e32 v37, v38, v41
	v_bfe_u32 v38, v35, 16, 1
	v_and_b32_e32 v40, 0xffff0000, v40
	v_cndmask_b32_e64 v31, v29, v42, s[2:3]
	v_bfe_u32 v39, v30, 16, 1
	v_add3_u32 v38, v35, v38, s44
	v_mul_f32_e32 v31, v31, v40
	v_bfe_u32 v40, v37, 16, 1
	v_add3_u32 v39, v30, v39, s44
	v_and_b32_e32 v38, 0xffff0000, v38
	v_cmp_o_f32_e64 s[2:3], v35, v35
	v_bfe_u32 v41, v31, 16, 1
	v_add3_u32 v40, v37, v40, s44
	v_and_b32_e32 v39, 0xffff0000, v39
	v_cndmask_b32_e64 v35, v29, |v38|, s[2:3]
	v_cmp_o_f32_e64 s[2:3], v30, v30
	v_add3_u32 v41, v31, v41, s44
	v_and_b32_e32 v40, 0xffff0000, v40
	v_cndmask_b32_e64 v30, v29, |v39|, s[2:3]
	v_cmp_o_f32_e64 s[2:3], v37, v37
	v_and_b32_e32 v38, 0xffff0000, v41
	v_cndmask_b32_e64 v37, v29, |v40|, s[2:3]
	v_cmp_o_f32_e64 s[2:3], v31, v31
	v_max3_f32 v5, v5, v35, v30
	v_cndmask_b32_e64 v30, v29, |v38|, s[2:3]
	v_max3_f32 v5, v5, v30, v37
                                        ; implicit-def: $vgpr30_vgpr31
	s_and_saveexec_b64 s[2:3], vcc
	s_xor_b64 s[2:3], exec, s[2:3]
	s_cbranch_execz .LBB74_18
; %bb.24:                               ;   in Loop: Header=BB74_21 Depth=1
	v_add_co_u32_e32 v30, vcc, v14, v12
	v_addc_co_u32_e32 v31, vcc, v1, v13, vcc
	global_load_dwordx2 v[38:39], v[30:31], off
	v_add_co_u32_e32 v30, vcc, v22, v12
	v_addc_co_u32_e32 v31, vcc, v21, v13, vcc
	global_load_dwordx2 v[40:41], v[30:31], off
	v_mov_b32_e32 v35, s29
	v_add_co_u32_e32 v14, vcc, s28, v14
	v_addc_co_u32_e32 v1, vcc, v1, v35, vcc
	v_add_co_u32_e32 v16, vcc, s28, v16
	s_add_u32 s40, s24, s24
	v_addc_co_u32_e32 v15, vcc, v15, v35, vcc
	s_addc_u32 s41, s25, s25
	v_add_co_u32_e32 v18, vcc, s28, v18
	v_addc_co_u32_e32 v17, vcc, v17, v35, vcc
	s_add_u32 s40, s40, s24
	s_addc_u32 s41, s41, s25
	v_add_co_u32_e32 v30, vcc, s40, v32
	v_mov_b32_e32 v31, s41
	v_addc_co_u32_e32 v31, vcc, v31, v33, vcc
	s_waitcnt vmcnt(1)
	v_lshlrev_b32_e32 v37, 16, v38
	v_and_b32_e32 v32, 0xffff0000, v38
	v_mul_f32_e32 v37, v36, v37
	v_alignbit_b32 v38, v39, v38, 16
	v_and_b32_e32 v39, 0xffff0000, v39
	v_mul_f32_e32 v32, v36, v32
	v_bfe_u32 v43, v37, 16, 1
	v_mul_f32_e32 v39, v36, v39
	v_bfe_u32 v44, v32, 16, 1
	v_add3_u32 v43, v37, v43, s44
	v_and_b32_e32 v38, 0xffff0000, v38
	v_bfe_u32 v45, v39, 16, 1
	v_add3_u32 v44, v32, v44, s44
	v_and_b32_e32 v43, 0xffff0000, v43
	v_cmp_o_f32_e32 vcc, v37, v37
	v_mul_f32_e32 v38, v36, v38
	v_add3_u32 v45, v39, v45, s44
	v_and_b32_e32 v44, 0xffff0000, v44
	v_cndmask_b32_e32 v37, v29, v43, vcc
	v_cmp_o_f32_e32 vcc, v32, v32
	s_waitcnt vmcnt(0)
	v_lshlrev_b32_e32 v42, 16, v40
	v_bfe_u32 v46, v38, 16, 1
	v_and_b32_e32 v45, 0xffff0000, v45
	v_cndmask_b32_e32 v32, v29, v44, vcc
	v_cmp_o_f32_e32 vcc, v39, v39
	v_and_b32_e32 v33, 0xffff0000, v40
	v_alignbit_b32 v40, v41, v40, 16
	v_and_b32_e32 v41, 0xffff0000, v41
	v_add3_u32 v46, v38, v46, s44
	v_cndmask_b32_e32 v39, v29, v45, vcc
	v_mul_f32_e32 v37, v37, v42
	v_and_b32_e32 v43, 0xffff0000, v46
	v_mul_f32_e32 v32, v32, v33
	v_cmp_o_f32_e32 vcc, v38, v38
	v_mul_f32_e32 v38, v39, v41
	v_bfe_u32 v39, v37, 16, 1
	v_and_b32_e32 v40, 0xffff0000, v40
	v_cndmask_b32_e32 v33, v29, v43, vcc
	v_bfe_u32 v41, v32, 16, 1
	v_add3_u32 v39, v37, v39, s44
	v_mul_f32_e32 v33, v33, v40
	v_bfe_u32 v40, v38, 16, 1
	v_add3_u32 v41, v32, v41, s44
	v_and_b32_e32 v39, 0xffff0000, v39
	v_cmp_o_f32_e32 vcc, v37, v37
	v_bfe_u32 v42, v33, 16, 1
	v_add3_u32 v40, v38, v40, s44
	v_and_b32_e32 v41, 0xffff0000, v41
	v_cndmask_b32_e64 v37, v29, |v39|, vcc
	v_cmp_o_f32_e32 vcc, v32, v32
	v_add3_u32 v42, v33, v42, s44
	v_and_b32_e32 v40, 0xffff0000, v40
	v_cndmask_b32_e64 v32, v29, |v41|, vcc
	v_cmp_o_f32_e32 vcc, v38, v38
	v_and_b32_e32 v39, 0xffff0000, v42
	v_cndmask_b32_e64 v38, v29, |v40|, vcc
	v_cmp_o_f32_e32 vcc, v33, v33
	v_max3_f32 v5, v5, v37, v32
	v_cndmask_b32_e64 v32, v29, |v39|, vcc
	v_add_co_u32_e32 v20, vcc, s28, v20
	v_addc_co_u32_e32 v19, vcc, v19, v35, vcc
	v_add_co_u32_e32 v22, vcc, s28, v22
	v_addc_co_u32_e32 v21, vcc, v21, v35, vcc
	;; [unrolled: 2-line block ×5, first 2 shown]
	v_cmp_ge_i64_e32 vcc, v[30:31], v[10:11]
	v_max3_f32 v5, v5, v32, v38
	s_orn2_b64 s[40:41], vcc, exec
	s_branch .LBB74_18
.LBB74_25:
	s_or_b64 exec, exec, s[12:13]
.LBB74_26:
	s_or_b64 exec, exec, s[26:27]
	s_lshr_b32 s19, s16, 6
	v_cvt_f32_u32_e32 v10, s19
	v_lshlrev_b32_e32 v1, 2, v0
	ds_write_b32 v1, v5
	s_sub_i32 s12, 0, s19
	v_rcp_iflag_f32_e32 v5, v10
	s_add_i32 s2, s22, s19
	s_add_i32 s2, s2, -1
	s_ashr_i32 s3, s2, 31
	v_mul_f32_e32 v5, 0x4f7ffffe, v5
	v_cvt_u32_f32_e32 v5, v5
	s_abs_i32 s2, s2
	s_waitcnt lgkmcnt(0)
	s_barrier
	v_readfirstlane_b32 s13, v5
	s_mul_i32 s12, s12, s13
	s_mul_hi_u32 s12, s13, s12
	s_add_i32 s13, s13, s12
	s_mul_hi_u32 s12, s2, s13
	s_mul_i32 s13, s12, s19
	s_sub_i32 s2, s2, s13
	s_add_i32 s13, s12, 1
	s_sub_i32 s23, s2, s19
	s_cmp_ge_u32 s2, s19
	s_cselect_b32 s12, s13, s12
	s_cselect_b32 s2, s23, s2
	s_add_i32 s13, s12, 1
	s_cmp_ge_u32 s2, s19
	s_cselect_b32 s2, s13, s12
	s_xor_b32 s2, s2, s3
	s_sub_i32 s2, s2, s3
	s_ashr_i32 s3, s2, 31
	v_cmp_lt_i64_e64 s[12:13], s[2:3], 1
	s_and_b64 vcc, exec, s[12:13]
	s_cbranch_vccnz .LBB74_48
; %bb.27:
	v_and_b32_e32 v12, 63, v0
	v_add_co_u32_e32 v14, vcc, 32, v12
	v_addc_co_u32_e64 v15, s[12:13], 0, 0, vcc
	v_add_co_u32_e32 v16, vcc, 16, v12
	v_addc_co_u32_e64 v17, s[12:13], 0, 0, vcc
	;; [unrolled: 2-line block ×4, first 2 shown]
	v_add_co_u32_e32 v22, vcc, 2, v12
	v_lshrrev_b32_e32 v10, 6, v0
	v_addc_co_u32_e64 v23, s[12:13], 0, 0, vcc
	v_add_co_u32_e32 v24, vcc, 1, v12
	v_addc_co_u32_e64 v25, s[12:13], 0, 0, vcc
	v_mul_lo_u32 v5, s24, v10
	v_lshlrev_b32_e32 v5, 2, v5
	v_lshlrev_b32_e32 v26, 2, v12
	s_movk_i32 s12, 0x100
	v_mov_b32_e32 v11, 0
	v_add3_u32 v5, v5, v26, s12
	s_mul_i32 s12, s24, s19
	s_ashr_i32 s23, s22, 31
	v_mov_b32_e32 v13, v11
	s_lshl_b32 s36, s12, 2
	s_mov_b64 s[12:13], 0
	v_mov_b32_e32 v37, s19
	s_mov_b64 s[26:27], src_shared_base
	s_branch .LBB74_30
.LBB74_28:                              ;   in Loop: Header=BB74_30 Depth=1
	s_or_b64 exec, exec, s[30:31]
	v_mov_b32_e32 v27, s27
	flat_load_dword v26, v[26:27] glc
	s_waitcnt vmcnt(0)
.LBB74_29:                              ;   in Loop: Header=BB74_30 Depth=1
	s_or_b64 exec, exec, s[28:29]
	s_add_u32 s12, s12, 1
	s_addc_u32 s13, s13, 0
	s_cmp_eq_u64 s[12:13], s[2:3]
	v_add_u32_e32 v5, s36, v5
	s_cbranch_scc1 .LBB74_48
.LBB74_30:                              ; =>This Loop Header: Depth=1
                                        ;     Child Loop BB74_33 Depth 2
	v_mad_u64_u32 v[30:31], s[28:29], s12, v37, v[10:11]
	s_mul_i32 s26, s13, s19
	v_add_u32_e32 v31, s26, v31
	v_cmp_gt_i64_e32 vcc, s[22:23], v[30:31]
	s_and_saveexec_b64 s[28:29], vcc
	s_cbranch_execz .LBB74_29
; %bb.31:                               ;   in Loop: Header=BB74_30 Depth=1
	v_pk_mov_b32 v[32:33], s[24:25], s[24:25] op_sel:[0,1]
	v_mul_lo_u32 v29, v31, s24
	v_mul_lo_u32 v38, v30, s25
	v_mad_u64_u32 v[32:33], s[30:31], v30, s24, v[32:33]
	v_add3_u32 v33, v29, v33, v38
	v_mov_b32_e32 v28, s21
	v_cmp_gt_i64_e32 vcc, s[20:21], v[32:33]
	s_waitcnt lgkmcnt(0)
	v_mad_u64_u32 v[26:27], s[30:31], v30, s24, v[12:13]
	v_cndmask_b32_e32 v33, v28, v33, vcc
	v_mov_b32_e32 v28, s17
	v_add3_u32 v27, v29, v27, v38
	v_cndmask_b32_e32 v32, v28, v32, vcc
	v_add_co_u32_e32 v34, vcc, 64, v26
	v_addc_co_u32_e32 v35, vcc, 0, v27, vcc
	v_cmp_lt_i64_e32 vcc, v[34:35], v[32:33]
	v_lshlrev_b32_e32 v28, 2, v26
	s_and_saveexec_b64 s[30:31], vcc
	s_cbranch_execz .LBB74_34
; %bb.32:                               ;   in Loop: Header=BB74_30 Depth=1
	ds_read_b32 v31, v28
	s_mov_b64 s[34:35], 0
	v_mov_b32_e32 v27, v5
.LBB74_33:                              ;   Parent Loop BB74_30 Depth=1
                                        ; =>  This Inner Loop Header: Depth=2
	ds_read_b32 v39, v27
	v_add_co_u32_e32 v34, vcc, 64, v34
	v_addc_co_u32_e32 v35, vcc, 0, v35, vcc
	s_waitcnt lgkmcnt(1)
	v_max_f32_e32 v31, v31, v31
	v_cmp_ge_i64_e32 vcc, v[34:35], v[32:33]
	s_waitcnt lgkmcnt(0)
	v_max_f32_e32 v39, v39, v39
	v_add_u32_e32 v27, 0x100, v27
	s_or_b64 s[34:35], vcc, s[34:35]
	v_max_f32_e32 v31, v31, v39
	ds_write_b32 v28, v31
	s_andn2_b64 exec, exec, s[34:35]
	s_cbranch_execnz .LBB74_33
.LBB74_34:                              ;   in Loop: Header=BB74_30 Depth=1
	s_or_b64 exec, exec, s[30:31]
	v_mad_u64_u32 v[30:31], s[30:31], v30, s24, 0
	v_add3_u32 v27, v31, v38, v29
	v_sub_co_u32_e32 v30, vcc, v32, v30
	v_subb_co_u32_e32 v31, vcc, v33, v27, vcc
	v_cmp_gt_i64_e32 vcc, 64, v[30:31]
	v_cndmask_b32_e32 v31, 0, v31, vcc
	v_cndmask_b32_e32 v30, 64, v30, vcc
	v_cmp_lt_i64_e32 vcc, v[14:15], v[30:31]
	s_and_saveexec_b64 s[30:31], vcc
	s_cbranch_execnz .LBB74_46
; %bb.35:                               ;   in Loop: Header=BB74_30 Depth=1
	s_or_b64 exec, exec, s[30:31]
	v_cmp_lt_i64_e32 vcc, v[16:17], v[30:31]
	s_and_saveexec_b64 s[30:31], vcc
	s_cbranch_execnz .LBB74_47
.LBB74_36:                              ;   in Loop: Header=BB74_30 Depth=1
	s_or_b64 exec, exec, s[30:31]
	v_cmp_lt_i64_e32 vcc, v[18:19], v[30:31]
	s_and_saveexec_b64 s[30:31], vcc
	s_cbranch_execz .LBB74_38
.LBB74_37:                              ;   in Loop: Header=BB74_30 Depth=1
	v_mov_b32_e32 v29, s27
	v_add_u32_e32 v32, 32, v28
	v_mov_b32_e32 v33, s27
	flat_load_dword v27, v[28:29] glc
	s_waitcnt vmcnt(0)
	flat_load_dword v34, v[32:33] glc
	s_waitcnt vmcnt(0) lgkmcnt(0)
	v_max_f32_e32 v27, v27, v27
	v_max_f32_e32 v32, v34, v34
	;; [unrolled: 1-line block ×3, first 2 shown]
	flat_store_dword v[28:29], v27
	s_waitcnt vmcnt(0)
.LBB74_38:                              ;   in Loop: Header=BB74_30 Depth=1
	s_or_b64 exec, exec, s[30:31]
	v_cmp_ge_i64_e32 vcc, v[20:21], v[30:31]
	s_and_saveexec_b64 s[30:31], vcc
	s_xor_b64 s[30:31], exec, s[30:31]
; %bb.39:                               ;   in Loop: Header=BB74_30 Depth=1
                                        ; implicit-def: $vgpr28
; %bb.40:                               ;   in Loop: Header=BB74_30 Depth=1
	s_andn2_saveexec_b64 s[30:31], s[30:31]
	s_cbranch_execz .LBB74_42
; %bb.41:                               ;   in Loop: Header=BB74_30 Depth=1
	v_mov_b32_e32 v29, s27
	v_add_u32_e32 v32, 16, v28
	v_mov_b32_e32 v33, s27
	flat_load_dword v27, v[28:29] glc
	s_waitcnt vmcnt(0)
	flat_load_dword v34, v[32:33] glc
	s_waitcnt vmcnt(0) lgkmcnt(0)
	v_max_f32_e32 v27, v27, v27
	v_max_f32_e32 v32, v34, v34
	;; [unrolled: 1-line block ×3, first 2 shown]
	flat_store_dword v[28:29], v27
	s_waitcnt vmcnt(0)
.LBB74_42:                              ;   in Loop: Header=BB74_30 Depth=1
	s_or_b64 exec, exec, s[30:31]
	v_cmp_lt_i64_e32 vcc, v[22:23], v[30:31]
	v_lshlrev_b32_e32 v26, 2, v26
	s_and_saveexec_b64 s[30:31], vcc
	s_cbranch_execz .LBB74_44
; %bb.43:                               ;   in Loop: Header=BB74_30 Depth=1
	v_mov_b32_e32 v27, s27
	v_add_u32_e32 v28, 8, v26
	v_mov_b32_e32 v29, s27
	flat_load_dword v32, v[26:27] glc
	s_waitcnt vmcnt(0)
	flat_load_dword v33, v[28:29] glc
	s_waitcnt vmcnt(0) lgkmcnt(0)
	v_max_f32_e32 v28, v32, v32
	v_max_f32_e32 v29, v33, v33
	;; [unrolled: 1-line block ×3, first 2 shown]
	flat_store_dword v[26:27], v28
	s_waitcnt vmcnt(0)
.LBB74_44:                              ;   in Loop: Header=BB74_30 Depth=1
	s_or_b64 exec, exec, s[30:31]
	v_cmp_lt_i64_e32 vcc, v[24:25], v[30:31]
	s_and_saveexec_b64 s[30:31], vcc
	s_cbranch_execz .LBB74_28
; %bb.45:                               ;   in Loop: Header=BB74_30 Depth=1
	v_mov_b32_e32 v27, s27
	v_add_u32_e32 v28, 4, v26
	v_mov_b32_e32 v29, s27
	flat_load_dword v30, v[26:27] glc
	s_waitcnt vmcnt(0)
	flat_load_dword v31, v[28:29] glc
	s_waitcnt vmcnt(0) lgkmcnt(0)
	v_max_f32_e32 v28, v30, v30
	v_max_f32_e32 v29, v31, v31
	;; [unrolled: 1-line block ×3, first 2 shown]
	flat_store_dword v[26:27], v28
	s_waitcnt vmcnt(0)
	s_branch .LBB74_28
.LBB74_46:                              ;   in Loop: Header=BB74_30 Depth=1
	v_mov_b32_e32 v29, s27
	v_add_u32_e32 v32, 0x80, v28
	v_mov_b32_e32 v33, s27
	flat_load_dword v27, v[28:29] glc
	s_waitcnt vmcnt(0)
	flat_load_dword v34, v[32:33] glc
	s_waitcnt vmcnt(0) lgkmcnt(0)
	v_max_f32_e32 v27, v27, v27
	v_max_f32_e32 v32, v34, v34
	;; [unrolled: 1-line block ×3, first 2 shown]
	flat_store_dword v[28:29], v27
	s_waitcnt vmcnt(0)
	s_or_b64 exec, exec, s[30:31]
	v_cmp_lt_i64_e32 vcc, v[16:17], v[30:31]
	s_and_saveexec_b64 s[30:31], vcc
	s_cbranch_execz .LBB74_36
.LBB74_47:                              ;   in Loop: Header=BB74_30 Depth=1
	v_mov_b32_e32 v29, s27
	v_add_u32_e32 v32, 64, v28
	v_mov_b32_e32 v33, s27
	flat_load_dword v27, v[28:29] glc
	s_waitcnt vmcnt(0)
	flat_load_dword v34, v[32:33] glc
	s_waitcnt vmcnt(0) lgkmcnt(0)
	v_max_f32_e32 v27, v27, v27
	v_max_f32_e32 v32, v34, v34
	;; [unrolled: 1-line block ×3, first 2 shown]
	flat_store_dword v[28:29], v27
	s_waitcnt vmcnt(0)
	s_or_b64 exec, exec, s[30:31]
	v_cmp_lt_i64_e32 vcc, v[18:19], v[30:31]
	s_and_saveexec_b64 s[30:31], vcc
	s_cbranch_execnz .LBB74_37
	s_branch .LBB74_38
.LBB74_48:
	s_load_dwordx2 s[12:13], s[4:5], 0x40
	v_cmp_eq_u32_e32 vcc, 0, v4
	v_cmp_lt_i64_e64 s[2:3], v[6:7], v[8:9]
	s_and_b64 s[2:3], vcc, s[2:3]
	s_waitcnt lgkmcnt(0)
	s_barrier
	s_and_saveexec_b64 s[22:23], s[2:3]
	s_cbranch_execz .LBB74_55
; %bb.49:
	s_load_dwordx2 s[2:3], s[4:5], 0x20
	ds_read_b32 v1, v1
	s_waitcnt lgkmcnt(0)
	s_cmp_eq_u64 s[2:3], 0
	s_cbranch_scc1 .LBB74_51
; %bb.50:
	s_load_dword s2, s[2:3], 0x0
	v_max_f32_e32 v1, v1, v1
	s_waitcnt lgkmcnt(0)
	v_max_f32_e64 v4, s2, s2
	v_min_f32_e32 v1, v1, v4
.LBB74_51:
	s_add_u32 s3, s12, s43
	s_addc_u32 s4, s13, 0
	s_add_u32 s24, s3, -1
	s_addc_u32 s25, s4, -1
	s_or_b64 s[4:5], s[24:25], s[12:13]
	s_mov_b32 s2, 0
	s_mov_b32 s3, s5
	s_cmp_lg_u64 s[2:3], 0
	s_mov_b64 s[26:27], -1
	s_cbranch_scc0 .LBB74_68
; %bb.52:
	s_ashr_i32 s2, s13, 31
	s_add_u32 s4, s12, s2
	s_mov_b32 s3, s2
	s_addc_u32 s5, s13, s2
	s_xor_b64 s[28:29], s[4:5], s[2:3]
	v_cvt_f32_u32_e32 v4, s28
	v_cvt_f32_u32_e32 v5, s29
	s_sub_u32 s2, 0, s28
	s_subb_u32 s3, 0, s29
	v_madmk_f32 v4, v5, 0x4f800000, v4
	v_rcp_f32_e32 v4, v4
	v_mul_f32_e32 v4, 0x5f7ffffc, v4
	v_mul_f32_e32 v5, 0x2f800000, v4
	v_trunc_f32_e32 v5, v5
	v_madmk_f32 v4, v5, 0xcf800000, v4
	v_cvt_u32_f32_e32 v5, v5
	v_cvt_u32_f32_e32 v4, v4
	v_readfirstlane_b32 s4, v5
	v_readfirstlane_b32 s5, v4
	s_mul_i32 s19, s2, s4
	s_mul_hi_u32 s30, s2, s5
	s_mul_i32 s20, s3, s5
	s_add_i32 s19, s30, s19
	s_add_i32 s19, s19, s20
	s_mul_i32 s31, s2, s5
	s_mul_hi_u32 s20, s5, s19
	s_mul_i32 s30, s5, s19
	s_mul_hi_u32 s5, s5, s31
	s_add_u32 s5, s5, s30
	s_addc_u32 s20, 0, s20
	s_mul_hi_u32 s34, s4, s31
	s_mul_i32 s31, s4, s31
	s_add_u32 s5, s5, s31
	s_mul_hi_u32 s30, s4, s19
	s_addc_u32 s5, s20, s34
	s_addc_u32 s20, s30, 0
	s_mul_i32 s19, s4, s19
	s_add_u32 s5, s5, s19
	s_addc_u32 s19, 0, s20
	v_add_co_u32_e32 v4, vcc, s5, v4
	s_cmp_lg_u64 vcc, 0
	s_addc_u32 s4, s4, s19
	v_readfirstlane_b32 s19, v4
	s_mul_i32 s5, s2, s4
	s_mul_hi_u32 s20, s2, s19
	s_add_i32 s5, s20, s5
	s_mul_i32 s3, s3, s19
	s_add_i32 s5, s5, s3
	s_mul_i32 s2, s2, s19
	s_mul_hi_u32 s20, s4, s2
	s_mul_i32 s30, s4, s2
	s_mul_i32 s34, s19, s5
	s_mul_hi_u32 s2, s19, s2
	s_mul_hi_u32 s31, s19, s5
	s_add_u32 s2, s2, s34
	s_addc_u32 s19, 0, s31
	s_add_u32 s2, s2, s30
	s_mul_hi_u32 s3, s4, s5
	s_addc_u32 s2, s19, s20
	s_addc_u32 s3, s3, 0
	s_mul_i32 s5, s4, s5
	s_add_u32 s2, s2, s5
	s_addc_u32 s3, 0, s3
	v_add_co_u32_e32 v4, vcc, s2, v4
	s_cmp_lg_u64 vcc, 0
	s_addc_u32 s4, s4, s3
	s_ashr_i32 s30, s25, 31
	s_add_u32 s2, s24, s30
	s_mov_b32 s31, s30
	s_addc_u32 s3, s25, s30
	s_xor_b64 s[34:35], s[2:3], s[30:31]
	v_readfirstlane_b32 s5, v4
	s_mul_i32 s3, s34, s4
	s_mul_hi_u32 s19, s34, s5
	s_mul_hi_u32 s2, s34, s4
	s_add_u32 s3, s19, s3
	s_addc_u32 s2, 0, s2
	s_mul_hi_u32 s20, s35, s5
	s_mul_i32 s5, s35, s5
	s_add_u32 s3, s3, s5
	s_mul_hi_u32 s19, s35, s4
	s_addc_u32 s2, s2, s20
	s_addc_u32 s3, s19, 0
	s_mul_i32 s4, s35, s4
	s_add_u32 s2, s2, s4
	s_addc_u32 s3, 0, s3
	s_mul_i32 s3, s28, s3
	s_mul_hi_u32 s4, s28, s2
	s_add_i32 s3, s4, s3
	s_mul_i32 s4, s29, s2
	s_mul_i32 s2, s28, s2
	s_add_i32 s19, s3, s4
	v_mov_b32_e32 v4, s2
	s_sub_i32 s3, s35, s19
	v_sub_co_u32_e32 v4, vcc, s34, v4
	s_cmp_lg_u64 vcc, 0
	s_subb_u32 s20, s3, s29
	v_subrev_co_u32_e64 v5, s[2:3], s28, v4
	s_cmp_lg_u64 s[2:3], 0
	s_subb_u32 s31, s20, 0
	s_cmp_ge_u32 s31, s29
	s_cselect_b32 s34, -1, 0
	v_cmp_le_u32_e64 s[4:5], s28, v5
	s_cmp_eq_u32 s31, s29
	v_cndmask_b32_e64 v6, 0, -1, s[4:5]
	v_mov_b32_e32 v7, s34
	s_cselect_b64 s[4:5], -1, 0
	s_cmp_lg_u64 s[2:3], 0
	v_cndmask_b32_e64 v6, v7, v6, s[4:5]
	s_subb_u32 s4, s20, s29
	v_subrev_co_u32_e64 v7, s[2:3], s28, v5
	s_cmp_lg_u64 s[2:3], 0
	s_subb_u32 s4, s4, 0
	v_cmp_ne_u32_e64 s[2:3], 0, v6
	v_cndmask_b32_e64 v5, v5, v7, s[2:3]
	v_mov_b32_e32 v6, s31
	v_mov_b32_e32 v7, s4
	s_cmp_lg_u64 vcc, 0
	v_cndmask_b32_e64 v6, v6, v7, s[2:3]
	s_subb_u32 s2, s35, s19
	s_cmp_ge_u32 s2, s29
	s_cselect_b32 s3, -1, 0
	v_cmp_le_u32_e32 vcc, s28, v4
	s_cmp_eq_u32 s2, s29
	v_cndmask_b32_e64 v7, 0, -1, vcc
	v_mov_b32_e32 v8, s3
	s_cselect_b64 vcc, -1, 0
	v_cndmask_b32_e32 v7, v8, v7, vcc
	v_cmp_ne_u32_e32 vcc, 0, v7
	v_mov_b32_e32 v8, s2
	v_cndmask_b32_e32 v4, v4, v5, vcc
	v_cndmask_b32_e32 v6, v8, v6, vcc
	v_xor_b32_e32 v4, s30, v4
	v_xor_b32_e32 v5, s30, v6
	v_mov_b32_e32 v6, s30
	v_subrev_co_u32_e32 v4, vcc, s30, v4
	v_subb_co_u32_e32 v5, vcc, v5, v6, vcc
	s_cbranch_execnz .LBB74_54
.LBB74_53:
	v_cvt_f32_u32_e32 v4, s12
	s_sub_i32 s2, 0, s12
	v_rcp_iflag_f32_e32 v4, v4
	v_mul_f32_e32 v4, 0x4f7ffffe, v4
	v_cvt_u32_f32_e32 v4, v4
	v_mul_lo_u32 v5, s2, v4
	v_mul_hi_u32 v5, v4, v5
	v_add_u32_e32 v4, v4, v5
	v_mul_hi_u32 v4, s24, v4
	v_mul_lo_u32 v4, v4, s12
	v_sub_u32_e32 v4, s24, v4
	v_subrev_u32_e32 v5, s12, v4
	v_cmp_le_u32_e32 vcc, s12, v4
	v_cndmask_b32_e32 v4, v4, v5, vcc
	v_subrev_u32_e32 v5, s12, v4
	v_cmp_le_u32_e32 vcc, s12, v4
	v_cndmask_b32_e32 v4, v4, v5, vcc
	v_mov_b32_e32 v5, 0
.LBB74_54:
	s_mov_b32 s4, 0x42fe0000
	v_div_scale_f32 v6, s[2:3], s4, s4, v1
	v_rcp_f32_e32 v7, v6
	v_div_scale_f32 v8, vcc, v1, s4, v1
	v_fma_f32 v9, -v6, v7, 1.0
	v_fmac_f32_e32 v7, v9, v7
	v_mul_f32_e32 v9, v8, v7
	v_fma_f32 v10, -v6, v9, v8
	v_fmac_f32_e32 v9, v10, v7
	v_fma_f32 v6, -v6, v9, v8
	v_div_fmas_f32 v6, v6, v7, v9
	v_div_fixup_f32 v1, v6, s4, v1
	v_mov_b32_e32 v6, s25
	v_sub_co_u32_e32 v4, vcc, s24, v4
	v_subb_co_u32_e32 v5, vcc, v6, v5, vcc
	v_mul_lo_u32 v5, v5, v2
	v_mul_lo_u32 v6, v4, v3
	v_mad_u64_u32 v[2:3], s[2:3], v4, v2, 0
	s_lshl_b64 s[2:3], s[6:7], 2
	v_add3_u32 v3, v3, v6, v5
	s_add_u32 s2, s2, s10
	v_lshlrev_b64 v[2:3], 2, v[2:3]
	s_addc_u32 s3, s3, s11
	v_mov_b32_e32 v4, s3
	v_add_co_u32_e32 v2, vcc, s2, v2
	v_max_f32_e32 v1, 0x34000000, v1
	v_addc_co_u32_e32 v3, vcc, v4, v3, vcc
	global_store_dword v[2:3], v1, off
.LBB74_55:
	s_or_b64 exec, exec, s[22:23]
	s_barrier
	s_and_saveexec_b64 s[2:3], s[0:1]
	s_cbranch_execz .LBB74_67
; %bb.56:
	s_add_u32 s1, s12, s43
	s_addc_u32 s2, s13, 0
	s_add_u32 s4, s1, -1
	s_addc_u32 s5, s2, -1
	s_or_b64 s[2:3], s[4:5], s[12:13]
	s_mov_b32 s0, 0
	s_mov_b32 s1, s3
	s_cmp_lg_u64 s[0:1], 0
	s_mov_b64 s[22:23], -1
	s_cbranch_scc0 .LBB74_69
; %bb.57:
	s_ashr_i32 s0, s13, 31
	s_add_u32 s2, s12, s0
	s_mov_b32 s1, s0
	s_addc_u32 s3, s13, s0
	s_xor_b64 s[24:25], s[2:3], s[0:1]
	v_cvt_f32_u32_e32 v1, s24
	v_cvt_f32_u32_e32 v2, s25
	s_sub_u32 s0, 0, s24
	s_subb_u32 s1, 0, s25
	v_madmk_f32 v1, v2, 0x4f800000, v1
	v_rcp_f32_e32 v1, v1
	v_mul_f32_e32 v1, 0x5f7ffffc, v1
	v_mul_f32_e32 v2, 0x2f800000, v1
	v_trunc_f32_e32 v2, v2
	v_madmk_f32 v1, v2, 0xcf800000, v1
	v_cvt_u32_f32_e32 v2, v2
	v_cvt_u32_f32_e32 v1, v1
	v_readfirstlane_b32 s2, v2
	v_readfirstlane_b32 s3, v1
	s_mul_i32 s13, s0, s2
	s_mul_hi_u32 s20, s0, s3
	s_mul_i32 s19, s1, s3
	s_add_i32 s13, s20, s13
	s_add_i32 s13, s13, s19
	s_mul_i32 s26, s0, s3
	s_mul_hi_u32 s19, s3, s13
	s_mul_i32 s20, s3, s13
	s_mul_hi_u32 s3, s3, s26
	s_add_u32 s3, s3, s20
	s_addc_u32 s19, 0, s19
	s_mul_hi_u32 s27, s2, s26
	s_mul_i32 s26, s2, s26
	s_add_u32 s3, s3, s26
	s_mul_hi_u32 s20, s2, s13
	s_addc_u32 s3, s19, s27
	s_addc_u32 s19, s20, 0
	s_mul_i32 s13, s2, s13
	s_add_u32 s3, s3, s13
	s_addc_u32 s13, 0, s19
	v_add_co_u32_e32 v1, vcc, s3, v1
	s_cmp_lg_u64 vcc, 0
	s_addc_u32 s2, s2, s13
	v_readfirstlane_b32 s13, v1
	s_mul_i32 s3, s0, s2
	s_mul_hi_u32 s19, s0, s13
	s_add_i32 s3, s19, s3
	s_mul_i32 s1, s1, s13
	s_add_i32 s3, s3, s1
	s_mul_i32 s0, s0, s13
	s_mul_hi_u32 s19, s2, s0
	s_mul_i32 s20, s2, s0
	s_mul_i32 s27, s13, s3
	s_mul_hi_u32 s0, s13, s0
	s_mul_hi_u32 s26, s13, s3
	s_add_u32 s0, s0, s27
	s_addc_u32 s13, 0, s26
	s_add_u32 s0, s0, s20
	s_mul_hi_u32 s1, s2, s3
	s_addc_u32 s0, s13, s19
	s_addc_u32 s1, s1, 0
	s_mul_i32 s3, s2, s3
	s_add_u32 s0, s0, s3
	s_addc_u32 s1, 0, s1
	v_add_co_u32_e32 v1, vcc, s0, v1
	s_cmp_lg_u64 vcc, 0
	s_addc_u32 s2, s2, s1
	s_ashr_i32 s26, s5, 31
	s_add_u32 s0, s4, s26
	s_mov_b32 s27, s26
	s_addc_u32 s1, s5, s26
	s_xor_b64 s[28:29], s[0:1], s[26:27]
	v_readfirstlane_b32 s3, v1
	s_mul_i32 s1, s28, s2
	s_mul_hi_u32 s13, s28, s3
	s_mul_hi_u32 s0, s28, s2
	s_add_u32 s1, s13, s1
	s_addc_u32 s0, 0, s0
	s_mul_hi_u32 s19, s29, s3
	s_mul_i32 s3, s29, s3
	s_add_u32 s1, s1, s3
	s_mul_hi_u32 s13, s29, s2
	s_addc_u32 s0, s0, s19
	s_addc_u32 s1, s13, 0
	s_mul_i32 s2, s29, s2
	s_add_u32 s0, s0, s2
	s_addc_u32 s1, 0, s1
	s_mul_i32 s1, s24, s1
	s_mul_hi_u32 s2, s24, s0
	s_add_i32 s1, s2, s1
	s_mul_i32 s2, s25, s0
	s_mul_i32 s0, s24, s0
	s_add_i32 s13, s1, s2
	v_mov_b32_e32 v1, s0
	s_sub_i32 s1, s29, s13
	v_sub_co_u32_e32 v1, vcc, s28, v1
	s_cmp_lg_u64 vcc, 0
	s_subb_u32 s19, s1, s25
	v_subrev_co_u32_e64 v2, s[0:1], s24, v1
	s_cmp_lg_u64 s[0:1], 0
	s_subb_u32 s20, s19, 0
	s_cmp_ge_u32 s20, s25
	s_cselect_b32 s27, -1, 0
	v_cmp_le_u32_e64 s[2:3], s24, v2
	s_cmp_eq_u32 s20, s25
	v_cndmask_b32_e64 v3, 0, -1, s[2:3]
	v_mov_b32_e32 v4, s27
	s_cselect_b64 s[2:3], -1, 0
	s_cmp_lg_u64 s[0:1], 0
	v_cndmask_b32_e64 v3, v4, v3, s[2:3]
	s_subb_u32 s2, s19, s25
	v_subrev_co_u32_e64 v4, s[0:1], s24, v2
	s_cmp_lg_u64 s[0:1], 0
	s_subb_u32 s2, s2, 0
	v_cmp_ne_u32_e64 s[0:1], 0, v3
	v_cndmask_b32_e64 v2, v2, v4, s[0:1]
	v_mov_b32_e32 v3, s20
	v_mov_b32_e32 v4, s2
	s_cmp_lg_u64 vcc, 0
	v_cndmask_b32_e64 v3, v3, v4, s[0:1]
	s_subb_u32 s0, s29, s13
	s_cmp_ge_u32 s0, s25
	s_cselect_b32 s1, -1, 0
	v_cmp_le_u32_e32 vcc, s24, v1
	s_cmp_eq_u32 s0, s25
	v_cndmask_b32_e64 v4, 0, -1, vcc
	v_mov_b32_e32 v5, s1
	s_cselect_b64 vcc, -1, 0
	v_cndmask_b32_e32 v4, v5, v4, vcc
	v_cmp_ne_u32_e32 vcc, 0, v4
	v_mov_b32_e32 v5, s0
	v_cndmask_b32_e32 v1, v1, v2, vcc
	v_cndmask_b32_e32 v3, v5, v3, vcc
	v_xor_b32_e32 v1, s26, v1
	v_xor_b32_e32 v3, s26, v3
	v_mov_b32_e32 v4, s26
	v_subrev_co_u32_e32 v2, vcc, s26, v1
	v_subb_co_u32_e32 v3, vcc, v3, v4, vcc
	s_cbranch_execnz .LBB74_59
.LBB74_58:
	v_cvt_f32_u32_e32 v1, s12
	s_sub_i32 s0, 0, s12
	v_mov_b32_e32 v3, 0
	v_rcp_iflag_f32_e32 v1, v1
	v_mul_f32_e32 v1, 0x4f7ffffe, v1
	v_cvt_u32_f32_e32 v1, v1
	v_mul_lo_u32 v2, s0, v1
	v_mul_hi_u32 v2, v1, v2
	v_add_u32_e32 v1, v1, v2
	v_mul_hi_u32 v1, s4, v1
	v_mul_lo_u32 v1, v1, s12
	v_sub_u32_e32 v1, s4, v1
	v_subrev_u32_e32 v2, s12, v1
	v_cmp_le_u32_e32 vcc, s12, v1
	v_cndmask_b32_e32 v1, v1, v2, vcc
	v_subrev_u32_e32 v2, s12, v1
	v_cmp_le_u32_e32 vcc, s12, v1
	v_cndmask_b32_e32 v2, v1, v2, vcc
.LBB74_59:
	s_mul_i32 s0, s21, s6
	s_mul_hi_u32 s1, s17, s6
	s_add_i32 s1, s1, s0
	s_mul_i32 s0, s17, s6
	s_add_u32 s12, s8, s0
	s_addc_u32 s13, s9, s1
	s_lshl_b64 s[0:1], s[6:7], 2
	s_add_u32 s17, s10, s0
	s_addc_u32 s19, s11, s1
	v_mov_b32_e32 v1, s5
	v_sub_co_u32_e32 v8, vcc, s4, v2
	v_subb_co_u32_e32 v9, vcc, v1, v3, vcc
	s_mul_i32 s20, s16, 3
	s_lshl_b32 s21, s16, 1
	s_mov_b64 s[2:3], 0
	v_mov_b32_e32 v1, 0
	v_mov_b32_e32 v10, s42
	;; [unrolled: 1-line block ×4, first 2 shown]
	s_movk_i32 s22, 0x7fff
	v_mov_b32_e32 v13, 0x7fc00000
	s_mov_b32 s23, 0x42fe0000
	v_mov_b32_e32 v14, 0x42fe0000
	s_mov_b32 s24, 0xc3000000
	v_mov_b32_e32 v15, 0xc3000000
	v_mov_b32_e32 v16, s13
	;; [unrolled: 1-line block ×3, first 2 shown]
                                        ; implicit-def: $sgpr4_sgpr5
	s_branch .LBB74_63
.LBB74_60:                              ;   in Loop: Header=BB74_63 Depth=1
	s_or_b64 exec, exec, s[10:11]
	s_orn2_b64 s[0:1], s[0:1], exec
.LBB74_61:                              ;   in Loop: Header=BB74_63 Depth=1
	s_or_b64 exec, exec, s[8:9]
	s_andn2_b64 s[4:5], s[4:5], exec
	s_and_b64 s[0:1], s[0:1], exec
	s_or_b64 s[4:5], s[4:5], s[0:1]
.LBB74_62:                              ;   in Loop: Header=BB74_63 Depth=1
	s_or_b64 exec, exec, s[6:7]
	s_and_b64 s[0:1], exec, s[4:5]
	s_or_b64 s[2:3], s[0:1], s[2:3]
	s_andn2_b64 exec, exec, s[2:3]
	s_cbranch_execz .LBB74_67
.LBB74_63:                              ; =>This Inner Loop Header: Depth=1
	v_bfe_u32 v19, v0, 5, 25
	v_lshlrev_b64 v[2:3], 3, v[0:1]
	v_mad_u64_u32 v[6:7], s[0:1], v8, v19, 0
	v_add_co_u32_e32 v4, vcc, s33, v2
	v_mov_b32_e32 v18, v7
	v_addc_co_u32_e32 v5, vcc, v10, v3, vcc
	v_mad_u64_u32 v[18:19], s[0:1], v9, v19, v[18:19]
	v_add_co_u32_e32 v2, vcc, s14, v2
	v_mov_b32_e32 v7, v18
	global_load_dwordx2 v[4:5], v[4:5], off
	v_addc_co_u32_e32 v3, vcc, v11, v3, vcc
	v_lshlrev_b64 v[6:7], 2, v[6:7]
	global_load_dwordx2 v[2:3], v[2:3], off
	v_add_co_u32_e32 v6, vcc, s17, v6
	v_addc_co_u32_e32 v7, vcc, v12, v7, vcc
	global_load_dword v18, v[6:7], off
	v_lshlrev_b64 v[6:7], 2, v[0:1]
	v_add_co_u32_e32 v6, vcc, s12, v6
	v_addc_co_u32_e32 v7, vcc, v16, v7, vcc
	s_or_b64 s[4:5], s[4:5], exec
	s_waitcnt vmcnt(2)
	v_lshlrev_b32_e32 v20, 16, v4
	v_and_b32_e32 v19, 0xffff0000, v4
	v_alignbit_b32 v21, v5, v4, 16
	v_and_b32_e32 v22, 0xffff0000, v5
	s_waitcnt vmcnt(1)
	v_alignbit_b32 v24, v3, v2, 16
	v_and_b32_e32 v4, 0xffff0000, v3
	v_mul_f32_e32 v3, v36, v20
	v_lshlrev_b32_e32 v23, 16, v2
	v_and_b32_e32 v5, 0xffff0000, v2
	v_and_b32_e32 v2, 0xffff0000, v21
	v_mul_f32_e32 v19, v36, v19
	v_mul_f32_e32 v21, v36, v22
	v_bfe_u32 v22, v3, 16, 1
	v_and_b32_e32 v20, 0xffff0000, v24
	v_bfe_u32 v24, v19, 16, 1
	v_add3_u32 v22, v3, v22, s22
	s_waitcnt vmcnt(0)
	v_div_scale_f32 v27, s[0:1], v18, v18, 1.0
	v_mul_f32_e32 v25, v36, v2
	v_bfe_u32 v2, v21, 16, 1
	v_add3_u32 v24, v19, v24, s22
	v_and_b32_e32 v22, 0xffff0000, v22
	v_cmp_o_f32_e64 s[0:1], v3, v3
	v_bfe_u32 v26, v25, 16, 1
	v_add3_u32 v2, v21, v2, s22
	v_and_b32_e32 v24, 0xffff0000, v24
	v_cndmask_b32_e64 v22, v13, v22, s[0:1]
	v_cmp_o_f32_e64 s[0:1], v19, v19
	v_add3_u32 v26, v25, v26, s22
	v_and_b32_e32 v2, 0xffff0000, v2
	v_cndmask_b32_e64 v3, v13, v24, s[0:1]
	v_cmp_o_f32_e64 s[0:1], v21, v21
	v_and_b32_e32 v26, 0xffff0000, v26
	v_cndmask_b32_e64 v2, v13, v2, s[0:1]
	v_rcp_f32_e32 v19, v27
	v_cmp_o_f32_e64 s[0:1], v25, v25
	v_mul_f32_e32 v21, v22, v23
	v_cndmask_b32_e64 v22, v13, v26, s[0:1]
	v_pk_mul_f32 v[2:3], v[2:3], v[4:5]
	v_bfe_u32 v4, v21, 16, 1
	v_mul_f32_e32 v5, v22, v20
	v_add3_u32 v4, v21, v4, s22
	v_bfe_u32 v22, v5, 16, 1
	v_and_b32_e32 v4, 0xffff0000, v4
	v_add3_u32 v22, v5, v22, s22
	v_fma_f32 v23, -v27, v19, 1.0
	v_cmp_o_f32_e64 s[0:1], v21, v21
	v_div_scale_f32 v28, vcc, 1.0, v18, 1.0
	v_cndmask_b32_e64 v21, v13, v4, s[0:1]
	v_and_b32_e32 v4, 0xffff0000, v22
	v_fmac_f32_e32 v19, v23, v19
	v_cmp_o_f32_e64 s[0:1], v5, v5
	v_cndmask_b32_e64 v5, v13, v4, s[0:1]
	v_mul_f32_e32 v4, v28, v19
	v_fma_f32 v22, -v27, v4, v28
	v_fmac_f32_e32 v4, v22, v19
	v_fma_f32 v22, -v27, v4, v28
	v_div_fmas_f32 v4, v22, v19, v4
	v_div_fixup_f32 v4, v4, v18, 1.0
	v_mul_f32_e32 v18, v4, v21
	v_mul_f32_e32 v5, v4, v5
	v_rndne_f32_e32 v18, v18
	v_rndne_f32_e32 v5, v5
	v_cmp_nlt_f32_e32 vcc, s23, v18
	v_cndmask_b32_e32 v19, v14, v18, vcc
	v_cmp_nlt_f32_e32 vcc, s23, v5
	v_cndmask_b32_e32 v21, v14, v5, vcc
	v_cmp_ngt_f32_e32 vcc, s24, v18
	v_cndmask_b32_e32 v18, v15, v19, vcc
	v_cmp_ngt_f32_e32 vcc, s24, v5
	v_cndmask_b32_e32 v5, v15, v21, vcc
	v_bfe_u32 v19, v3, 16, 1
	v_bfe_u32 v20, v2, 16, 1
	v_cvt_i32_f32_e32 v5, v5
	v_add3_u32 v19, v3, v19, s22
	v_add3_u32 v20, v2, v20, s22
	v_and_b32_e32 v19, 0xffff0000, v19
	v_cmp_o_f32_e32 vcc, v3, v3
	v_and_b32_e32 v20, 0xffff0000, v20
	v_cndmask_b32_e32 v3, v13, v19, vcc
	v_cmp_o_f32_e32 vcc, v2, v2
	v_cndmask_b32_e32 v2, v13, v20, vcc
	v_pk_mul_f32 v[2:3], v[4:5], v[2:3] op_sel_hi:[0,1]
	v_rndne_f32_e32 v2, v2
	v_rndne_f32_e32 v3, v3
	v_cmp_nlt_f32_e32 vcc, s23, v2
	v_cndmask_b32_e32 v4, v14, v2, vcc
	v_cmp_nlt_f32_e32 vcc, s23, v3
	v_cndmask_b32_e32 v19, v14, v3, vcc
	v_cmp_ngt_f32_e32 vcc, s24, v3
	v_cndmask_b32_e32 v3, v15, v19, vcc
	v_cmp_ngt_f32_e32 vcc, s24, v2
	v_cndmask_b32_e32 v2, v15, v4, vcc
	v_cvt_i32_f32_e32 v18, v18
	v_cvt_i32_f32_e32 v3, v3
	;; [unrolled: 1-line block ×3, first 2 shown]
	v_and_b32_e32 v4, 0xff, v5
	v_lshlrev_b32_e32 v4, 16, v4
	v_lshlrev_b32_sdwa v3, v17, v3 dst_sel:DWORD dst_unused:UNUSED_PAD src0_sel:DWORD src1_sel:BYTE_0
	v_lshl_or_b32 v2, v2, 24, v4
	v_and_b32_e32 v4, 0xff, v18
	v_or3_b32 v2, v2, v3, v4
	global_store_dword v[6:7], v2, off
	v_add_u32_e32 v2, s16, v0
	v_cmp_gt_u32_e32 vcc, s18, v2
	s_and_saveexec_b64 s[6:7], vcc
	s_cbranch_execz .LBB74_62
; %bb.64:                               ;   in Loop: Header=BB74_63 Depth=1
	v_mov_b32_e32 v3, v1
	v_bfe_u32 v21, v2, 5, 25
	v_lshlrev_b64 v[4:5], 3, v[2:3]
	v_mad_u64_u32 v[18:19], s[0:1], v8, v21, 0
	v_add_co_u32_e32 v6, vcc, s33, v4
	v_mov_b32_e32 v20, v19
	v_addc_co_u32_e32 v7, vcc, v10, v5, vcc
	v_mad_u64_u32 v[20:21], s[0:1], v9, v21, v[20:21]
	v_add_co_u32_e32 v4, vcc, s14, v4
	v_mov_b32_e32 v19, v20
	global_load_dwordx2 v[6:7], v[6:7], off
	v_addc_co_u32_e32 v5, vcc, v11, v5, vcc
	v_lshlrev_b64 v[18:19], 2, v[18:19]
	global_load_dwordx2 v[4:5], v[4:5], off
	v_add_co_u32_e32 v18, vcc, s17, v18
	v_addc_co_u32_e32 v19, vcc, v12, v19, vcc
	global_load_dword v20, v[18:19], off
	v_lshlrev_b64 v[18:19], 2, v[2:3]
	v_add_co_u32_e32 v18, vcc, s12, v18
	v_addc_co_u32_e32 v19, vcc, v16, v19, vcc
	s_waitcnt vmcnt(2)
	v_lshlrev_b32_e32 v21, 16, v6
	v_and_b32_e32 v3, 0xffff0000, v6
	v_alignbit_b32 v22, v7, v6, 16
	v_and_b32_e32 v23, 0xffff0000, v7
	s_waitcnt vmcnt(1)
	v_alignbit_b32 v25, v5, v4, 16
	v_and_b32_e32 v6, 0xffff0000, v5
	v_mul_f32_e32 v5, v36, v21
	v_lshlrev_b32_e32 v24, 16, v4
	v_and_b32_e32 v7, 0xffff0000, v4
	v_and_b32_e32 v4, 0xffff0000, v22
	v_mul_f32_e32 v3, v36, v3
	v_mul_f32_e32 v22, v36, v23
	v_bfe_u32 v23, v5, 16, 1
	v_and_b32_e32 v21, 0xffff0000, v25
	v_bfe_u32 v25, v3, 16, 1
	v_add3_u32 v23, v5, v23, s22
	s_waitcnt vmcnt(0)
	v_div_scale_f32 v28, s[0:1], v20, v20, 1.0
	v_mul_f32_e32 v26, v36, v4
	v_bfe_u32 v4, v22, 16, 1
	v_add3_u32 v25, v3, v25, s22
	v_and_b32_e32 v23, 0xffff0000, v23
	v_cmp_o_f32_e64 s[0:1], v5, v5
	v_bfe_u32 v27, v26, 16, 1
	v_add3_u32 v4, v22, v4, s22
	v_and_b32_e32 v25, 0xffff0000, v25
	v_cndmask_b32_e64 v23, v13, v23, s[0:1]
	v_cmp_o_f32_e64 s[0:1], v3, v3
	v_add3_u32 v27, v26, v27, s22
	v_and_b32_e32 v4, 0xffff0000, v4
	v_rcp_f32_e32 v30, v28
	v_cndmask_b32_e64 v5, v13, v25, s[0:1]
	v_cmp_o_f32_e64 s[0:1], v22, v22
	v_and_b32_e32 v27, 0xffff0000, v27
	v_cndmask_b32_e64 v4, v13, v4, s[0:1]
	v_cmp_o_f32_e64 s[0:1], v26, v26
	v_mul_f32_e32 v3, v23, v24
	v_cndmask_b32_e64 v22, v13, v27, s[0:1]
	v_pk_mul_f32 v[4:5], v[4:5], v[6:7]
	v_bfe_u32 v6, v3, 16, 1
	v_mul_f32_e32 v7, v22, v21
	v_add3_u32 v6, v3, v6, s22
	v_bfe_u32 v21, v7, 16, 1
	v_fma_f32 v22, -v28, v30, 1.0
	v_div_scale_f32 v29, vcc, 1.0, v20, 1.0
	v_and_b32_e32 v6, 0xffff0000, v6
	v_add3_u32 v21, v7, v21, s22
	v_fmac_f32_e32 v30, v22, v30
	v_cmp_o_f32_e64 s[0:1], v3, v3
	v_cndmask_b32_e64 v3, v13, v6, s[0:1]
	v_and_b32_e32 v6, 0xffff0000, v21
	v_mul_f32_e32 v21, v29, v30
	v_cmp_o_f32_e64 s[0:1], v7, v7
	v_cndmask_b32_e64 v7, v13, v6, s[0:1]
	v_fma_f32 v6, -v28, v21, v29
	v_fmac_f32_e32 v21, v6, v30
	v_fma_f32 v6, -v28, v21, v29
	v_div_fmas_f32 v6, v6, v30, v21
	v_div_fixup_f32 v6, v6, v20, 1.0
	v_mul_f32_e32 v3, v6, v3
	v_mul_f32_e32 v7, v6, v7
	v_rndne_f32_e32 v3, v3
	v_rndne_f32_e32 v7, v7
	v_cmp_nlt_f32_e32 vcc, s23, v3
	v_cndmask_b32_e32 v20, v14, v3, vcc
	v_cmp_nlt_f32_e32 vcc, s23, v7
	v_cndmask_b32_e32 v21, v14, v7, vcc
	v_cmp_ngt_f32_e32 vcc, s24, v3
	v_cndmask_b32_e32 v3, v15, v20, vcc
	v_cmp_ngt_f32_e32 vcc, s24, v7
	v_cndmask_b32_e32 v7, v15, v21, vcc
	v_bfe_u32 v21, v5, 16, 1
	v_cvt_i32_f32_e32 v7, v7
	v_bfe_u32 v20, v4, 16, 1
	v_add3_u32 v21, v5, v21, s22
	v_add3_u32 v20, v4, v20, s22
	v_and_b32_e32 v21, 0xffff0000, v21
	v_cmp_o_f32_e32 vcc, v5, v5
	v_and_b32_e32 v20, 0xffff0000, v20
	v_cndmask_b32_e32 v5, v13, v21, vcc
	v_cmp_o_f32_e32 vcc, v4, v4
	v_cndmask_b32_e32 v4, v13, v20, vcc
	v_pk_mul_f32 v[4:5], v[6:7], v[4:5] op_sel_hi:[0,1]
	v_rndne_f32_e32 v4, v4
	v_rndne_f32_e32 v5, v5
	v_cmp_nlt_f32_e32 vcc, s23, v4
	v_cndmask_b32_e32 v6, v14, v4, vcc
	v_cmp_nlt_f32_e32 vcc, s23, v5
	v_cndmask_b32_e32 v20, v14, v5, vcc
	v_cmp_ngt_f32_e32 vcc, s24, v5
	v_cndmask_b32_e32 v5, v15, v20, vcc
	v_cmp_ngt_f32_e32 vcc, s24, v4
	v_cndmask_b32_e32 v4, v15, v6, vcc
	v_cvt_i32_f32_e32 v3, v3
	v_cvt_i32_f32_e32 v5, v5
	;; [unrolled: 1-line block ×3, first 2 shown]
	v_and_b32_e32 v6, 0xff, v7
	v_lshlrev_b32_e32 v6, 16, v6
	v_lshlrev_b32_sdwa v5, v17, v5 dst_sel:DWORD dst_unused:UNUSED_PAD src0_sel:DWORD src1_sel:BYTE_0
	v_lshl_or_b32 v4, v4, 24, v6
	v_and_b32_e32 v3, 0xff, v3
	v_add_u32_e32 v6, s21, v0
	v_or3_b32 v3, v4, v5, v3
	v_cmp_gt_u32_e32 vcc, s18, v6
	s_mov_b64 s[0:1], -1
	global_store_dword v[18:19], v3, off
	s_and_saveexec_b64 s[8:9], vcc
	s_cbranch_execz .LBB74_61
; %bb.65:                               ;   in Loop: Header=BB74_63 Depth=1
	v_mov_b32_e32 v7, v1
	v_lshlrev_b64 v[4:5], 3, v[6:7]
	v_mov_b32_e32 v3, s42
	v_add_co_u32_e32 v18, vcc, s33, v4
	v_addc_co_u32_e32 v19, vcc, v3, v5, vcc
	v_mov_b32_e32 v3, s15
	v_add_co_u32_e32 v4, vcc, s14, v4
	v_addc_co_u32_e32 v5, vcc, v3, v5, vcc
	v_bfe_u32 v3, v6, 5, 25
	v_mad_u64_u32 v[20:21], s[0:1], v8, v3, 0
	v_mov_b32_e32 v22, v21
	v_mad_u64_u32 v[22:23], s[0:1], v9, v3, v[22:23]
	v_mov_b32_e32 v21, v22
	global_load_dwordx2 v[18:19], v[18:19], off
	v_lshlrev_b64 v[20:21], 2, v[20:21]
	v_mov_b32_e32 v3, s19
	v_add_co_u32_e32 v20, vcc, s17, v20
	v_addc_co_u32_e32 v21, vcc, v3, v21, vcc
	global_load_dword v3, v[20:21], off
	v_lshlrev_b64 v[6:7], 2, v[6:7]
	global_load_dwordx2 v[4:5], v[4:5], off
	v_mov_b32_e32 v20, s13
	v_add_co_u32_e32 v6, vcc, s12, v6
	v_addc_co_u32_e32 v7, vcc, v20, v7, vcc
	v_add_u32_e32 v0, s20, v0
	s_waitcnt vmcnt(2)
	v_lshlrev_b32_e32 v21, 16, v18
	v_and_b32_e32 v20, 0xffff0000, v18
	v_alignbit_b32 v18, v19, v18, 16
	v_and_b32_e32 v19, 0xffff0000, v19
	v_mul_f32_e32 v21, v36, v21
	v_and_b32_e32 v18, 0xffff0000, v18
	v_mul_f32_e32 v20, v36, v20
	v_mul_f32_e32 v24, v36, v19
	v_bfe_u32 v19, v21, 16, 1
	v_bfe_u32 v25, v20, 16, 1
	v_mul_f32_e32 v18, v36, v18
	v_add3_u32 v19, v21, v19, s22
	s_waitcnt vmcnt(1)
	v_div_scale_f32 v28, s[0:1], v3, v3, 1.0
	v_add3_u32 v25, v20, v25, s22
	v_bfe_u32 v27, v18, 16, 1
	v_and_b32_e32 v19, 0xffff0000, v19
	v_cmp_o_f32_e64 s[0:1], v21, v21
	v_and_b32_e32 v25, 0xffff0000, v25
	v_add3_u32 v27, v18, v27, s22
	v_rcp_f32_e32 v30, v28
	v_cndmask_b32_e64 v21, v13, v19, s[0:1]
	v_cmp_o_f32_e64 s[0:1], v20, v20
	s_waitcnt vmcnt(0)
	v_lshlrev_b32_e32 v22, 16, v4
	v_alignbit_b32 v23, v5, v4, 16
	v_and_b32_e32 v27, 0xffff0000, v27
	v_cndmask_b32_e64 v19, v13, v25, s[0:1]
	v_cmp_o_f32_e64 s[0:1], v18, v18
	v_and_b32_e32 v23, 0xffff0000, v23
	v_mul_f32_e32 v20, v21, v22
	v_cndmask_b32_e64 v18, v13, v27, s[0:1]
	v_bfe_u32 v21, v20, 16, 1
	v_mul_f32_e32 v18, v18, v23
	v_add3_u32 v21, v20, v21, s22
	v_bfe_u32 v22, v18, 16, 1
	v_fma_f32 v23, -v28, v30, 1.0
	v_div_scale_f32 v29, vcc, 1.0, v3, 1.0
	v_and_b32_e32 v21, 0xffff0000, v21
	v_add3_u32 v22, v18, v22, s22
	v_fmac_f32_e32 v30, v23, v30
	v_cmp_o_f32_e64 s[0:1], v20, v20
	v_cndmask_b32_e64 v21, v13, v21, s[0:1]
	v_and_b32_e32 v20, 0xffff0000, v22
	v_mul_f32_e32 v22, v29, v30
	v_cmp_o_f32_e64 s[0:1], v18, v18
	v_cndmask_b32_e64 v18, v13, v20, s[0:1]
	v_fma_f32 v20, -v28, v22, v29
	v_fmac_f32_e32 v22, v20, v30
	v_fma_f32 v20, -v28, v22, v29
	v_div_fmas_f32 v20, v20, v30, v22
	v_div_fixup_f32 v20, v20, v3, 1.0
	v_mul_f32_e32 v3, v20, v21
	v_mul_f32_e32 v18, v20, v18
	v_rndne_f32_e32 v3, v3
	v_rndne_f32_e32 v18, v18
	v_cmp_nlt_f32_e32 vcc, s23, v3
	v_cndmask_b32_e32 v21, v14, v3, vcc
	v_cmp_nlt_f32_e32 vcc, s23, v18
	v_bfe_u32 v26, v24, 16, 1
	v_cndmask_b32_e32 v22, v14, v18, vcc
	v_cmp_ngt_f32_e32 vcc, s24, v3
	v_add3_u32 v26, v24, v26, s22
	v_cndmask_b32_e32 v3, v15, v21, vcc
	v_cmp_ngt_f32_e32 vcc, s24, v18
	v_and_b32_e32 v26, 0xffff0000, v26
	v_cndmask_b32_e32 v18, v15, v22, vcc
	v_cmp_o_f32_e32 vcc, v24, v24
	v_cvt_i32_f32_e32 v21, v18
	v_cndmask_b32_e32 v18, v13, v26, vcc
	v_and_b32_e32 v23, 0xffff0000, v4
	v_and_b32_e32 v22, 0xffff0000, v5
	v_pk_mul_f32 v[4:5], v[18:19], v[22:23]
	v_bfe_u32 v19, v5, 16, 1
	v_bfe_u32 v18, v4, 16, 1
	v_add3_u32 v19, v5, v19, s22
	v_add3_u32 v18, v4, v18, s22
	v_and_b32_e32 v19, 0xffff0000, v19
	v_cmp_o_f32_e32 vcc, v5, v5
	v_and_b32_e32 v18, 0xffff0000, v18
	v_cndmask_b32_e32 v5, v13, v19, vcc
	v_cmp_o_f32_e32 vcc, v4, v4
	v_cndmask_b32_e32 v4, v13, v18, vcc
	v_pk_mul_f32 v[4:5], v[20:21], v[4:5] op_sel_hi:[0,1]
	v_rndne_f32_e32 v4, v4
	v_rndne_f32_e32 v5, v5
	v_cmp_nlt_f32_e32 vcc, s23, v4
	v_cndmask_b32_e32 v18, v14, v4, vcc
	v_cmp_nlt_f32_e32 vcc, s23, v5
	v_cndmask_b32_e32 v19, v14, v5, vcc
	v_cmp_ngt_f32_e32 vcc, s24, v5
	v_cndmask_b32_e32 v5, v15, v19, vcc
	v_cmp_ngt_f32_e32 vcc, s24, v4
	v_cndmask_b32_e32 v4, v15, v18, vcc
	v_cvt_i32_f32_e32 v3, v3
	v_cvt_i32_f32_e32 v5, v5
	;; [unrolled: 1-line block ×3, first 2 shown]
	v_and_b32_e32 v18, 0xff, v21
	v_lshlrev_b32_e32 v18, 16, v18
	v_lshlrev_b32_sdwa v5, v17, v5 dst_sel:DWORD dst_unused:UNUSED_PAD src0_sel:DWORD src1_sel:BYTE_0
	v_lshl_or_b32 v4, v4, 24, v18
	v_and_b32_e32 v3, 0xff, v3
	v_or3_b32 v3, v4, v5, v3
	v_cmp_gt_u32_e32 vcc, s18, v0
	s_mov_b64 s[0:1], -1
	global_store_dword v[6:7], v3, off
	s_and_saveexec_b64 s[10:11], vcc
	s_cbranch_execz .LBB74_60
; %bb.66:                               ;   in Loop: Header=BB74_63 Depth=1
	v_lshlrev_b64 v[4:5], 3, v[0:1]
	v_mov_b32_e32 v3, s42
	v_add_co_u32_e32 v6, vcc, s33, v4
	v_addc_co_u32_e32 v7, vcc, v3, v5, vcc
	v_mov_b32_e32 v3, s15
	v_add_co_u32_e32 v4, vcc, s14, v4
	v_addc_co_u32_e32 v5, vcc, v3, v5, vcc
	v_bfe_u32 v3, v0, 5, 25
	v_mad_u64_u32 v[18:19], s[0:1], v8, v3, 0
	v_mov_b32_e32 v20, v19
	v_mad_u64_u32 v[20:21], s[0:1], v9, v3, v[20:21]
	v_mov_b32_e32 v19, v20
	global_load_dwordx2 v[6:7], v[6:7], off
	v_lshlrev_b64 v[18:19], 2, v[18:19]
	v_mov_b32_e32 v22, s19
	v_add_co_u32_e32 v18, vcc, s17, v18
	v_addc_co_u32_e32 v19, vcc, v22, v19, vcc
	global_load_dword v3, v[18:19], off
	v_lshlrev_b64 v[18:19], 2, v[0:1]
	global_load_dwordx2 v[4:5], v[4:5], off
	v_mov_b32_e32 v0, s13
	v_add_co_u32_e32 v18, vcc, s12, v18
	v_addc_co_u32_e32 v19, vcc, v0, v19, vcc
	s_waitcnt vmcnt(2)
	v_lshlrev_b32_e32 v20, 16, v6
	v_and_b32_e32 v0, 0xffff0000, v6
	v_alignbit_b32 v6, v7, v6, 16
	v_and_b32_e32 v7, 0xffff0000, v7
	v_mul_f32_e32 v20, v36, v20
	v_mul_f32_e32 v0, v36, v0
	;; [unrolled: 1-line block ×3, first 2 shown]
	v_bfe_u32 v7, v20, 16, 1
	v_and_b32_e32 v6, 0xffff0000, v6
	v_bfe_u32 v24, v0, 16, 1
	v_add3_u32 v7, v20, v7, s22
	s_waitcnt vmcnt(1)
	v_div_scale_f32 v27, s[0:1], v3, v3, 1.0
	v_mul_f32_e32 v25, v36, v6
	v_bfe_u32 v6, v23, 16, 1
	v_add3_u32 v24, v0, v24, s22
	v_and_b32_e32 v7, 0xffff0000, v7
	v_cmp_o_f32_e64 s[0:1], v20, v20
	v_bfe_u32 v26, v25, 16, 1
	v_add3_u32 v6, v23, v6, s22
	v_and_b32_e32 v24, 0xffff0000, v24
	v_cndmask_b32_e64 v20, v13, v7, s[0:1]
	v_cmp_o_f32_e64 s[0:1], v0, v0
	v_add3_u32 v26, v25, v26, s22
	v_and_b32_e32 v6, 0xffff0000, v6
	v_cndmask_b32_e64 v7, v13, v24, s[0:1]
	v_cmp_o_f32_e64 s[0:1], v23, v23
	s_waitcnt vmcnt(0)
	v_lshlrev_b32_e32 v21, 16, v4
	v_alignbit_b32 v22, v5, v4, 16
	v_and_b32_e32 v26, 0xffff0000, v26
	v_cndmask_b32_e64 v6, v13, v6, s[0:1]
	v_rcp_f32_e32 v0, v27
	v_cmp_o_f32_e64 s[0:1], v25, v25
	v_and_b32_e32 v22, 0xffff0000, v22
	v_mul_f32_e32 v20, v20, v21
	v_cndmask_b32_e64 v21, v13, v26, s[0:1]
	v_bfe_u32 v23, v20, 16, 1
	v_mul_f32_e32 v21, v21, v22
	v_add3_u32 v22, v20, v23, s22
	v_bfe_u32 v23, v21, 16, 1
	v_and_b32_e32 v22, 0xffff0000, v22
	v_add3_u32 v23, v21, v23, s22
	v_fma_f32 v24, -v27, v0, 1.0
	v_cmp_o_f32_e64 s[0:1], v20, v20
	v_div_scale_f32 v28, vcc, 1.0, v3, 1.0
	v_cndmask_b32_e64 v20, v13, v22, s[0:1]
	v_and_b32_e32 v22, 0xffff0000, v23
	v_fmac_f32_e32 v0, v24, v0
	v_cmp_o_f32_e64 s[0:1], v21, v21
	v_cndmask_b32_e64 v21, v13, v22, s[0:1]
	v_mul_f32_e32 v22, v28, v0
	v_fma_f32 v23, -v27, v22, v28
	v_fmac_f32_e32 v22, v23, v0
	v_fma_f32 v23, -v27, v22, v28
	v_div_fmas_f32 v0, v23, v0, v22
	v_div_fixup_f32 v0, v0, v3, 1.0
	v_mul_f32_e32 v3, v0, v20
	v_mul_f32_e32 v20, v0, v21
	v_rndne_f32_e32 v3, v3
	v_rndne_f32_e32 v20, v20
	v_cmp_nlt_f32_e32 vcc, s23, v3
	v_cndmask_b32_e32 v21, v14, v3, vcc
	v_cmp_nlt_f32_e32 vcc, s23, v20
	v_cndmask_b32_e32 v22, v14, v20, vcc
	v_cmp_ngt_f32_e32 vcc, s24, v3
	v_cndmask_b32_e32 v3, v15, v21, vcc
	v_cmp_ngt_f32_e32 vcc, s24, v20
	v_cndmask_b32_e32 v20, v15, v22, vcc
	v_cvt_i32_f32_e32 v22, v20
	v_and_b32_e32 v21, 0xffff0000, v4
	v_and_b32_e32 v20, 0xffff0000, v5
	v_pk_mul_f32 v[4:5], v[6:7], v[20:21]
	v_bfe_u32 v7, v5, 16, 1
	v_bfe_u32 v6, v4, 16, 1
	v_add3_u32 v7, v5, v7, s22
	v_add3_u32 v6, v4, v6, s22
	v_and_b32_e32 v7, 0xffff0000, v7
	v_cmp_o_f32_e32 vcc, v5, v5
	v_and_b32_e32 v6, 0xffff0000, v6
	v_cndmask_b32_e32 v5, v13, v7, vcc
	v_cmp_o_f32_e32 vcc, v4, v4
	v_cndmask_b32_e32 v4, v13, v6, vcc
	v_pk_mul_f32 v[4:5], v[0:1], v[4:5] op_sel_hi:[0,1]
	v_rndne_f32_e32 v4, v4
	v_rndne_f32_e32 v0, v5
	v_cmp_nlt_f32_e32 vcc, s23, v4
	v_cndmask_b32_e32 v5, v14, v4, vcc
	v_cmp_nlt_f32_e32 vcc, s23, v0
	v_cndmask_b32_e32 v6, v14, v0, vcc
	v_cmp_ngt_f32_e32 vcc, s24, v0
	v_cndmask_b32_e32 v0, v15, v6, vcc
	v_cmp_ngt_f32_e32 vcc, s24, v4
	v_cndmask_b32_e32 v4, v15, v5, vcc
	v_cvt_i32_f32_e32 v3, v3
	v_cvt_i32_f32_e32 v0, v0
	;; [unrolled: 1-line block ×3, first 2 shown]
	v_and_b32_e32 v5, 0xff, v22
	v_lshlrev_b32_e32 v5, 16, v5
	v_lshlrev_b32_sdwa v0, v17, v0 dst_sel:DWORD dst_unused:UNUSED_PAD src0_sel:DWORD src1_sel:BYTE_0
	v_lshl_or_b32 v4, v4, 24, v5
	v_and_b32_e32 v3, 0xff, v3
	s_add_i32 s0, s16, s16
	v_or3_b32 v0, v4, v0, v3
	s_add_i32 s0, s0, s16
	global_store_dword v[18:19], v0, off
	v_add_u32_e32 v0, s0, v2
	v_cmp_le_u32_e32 vcc, s18, v0
	s_orn2_b64 s[0:1], vcc, exec
	s_branch .LBB74_60
.LBB74_67:
	s_endpgm
.LBB74_68:
                                        ; implicit-def: $vgpr4_vgpr5
	s_andn2_b64 vcc, exec, s[26:27]
	s_cbranch_vccz .LBB74_53
	s_branch .LBB74_54
.LBB74_69:
                                        ; implicit-def: $vgpr2_vgpr3
	s_andn2_b64 vcc, exec, s[22:23]
	s_cbranch_vccz .LBB74_58
	s_branch .LBB74_59
	.section	.rodata,"a",@progbits
	.p2align	6, 0x0
	.amdhsa_kernel _ZN4vllm31rms_norm_per_block_quant_kernelIN3c108BFloat16EaLb0ELb1ELi128EEEvPT0_PfPKT_S8_PKffiiPS6_l
		.amdhsa_group_segment_fixed_size 4164
		.amdhsa_private_segment_fixed_size 0
		.amdhsa_kernarg_size 328
		.amdhsa_user_sgpr_count 6
		.amdhsa_user_sgpr_private_segment_buffer 1
		.amdhsa_user_sgpr_dispatch_ptr 0
		.amdhsa_user_sgpr_queue_ptr 0
		.amdhsa_user_sgpr_kernarg_segment_ptr 1
		.amdhsa_user_sgpr_dispatch_id 0
		.amdhsa_user_sgpr_flat_scratch_init 0
		.amdhsa_user_sgpr_kernarg_preload_length 0
		.amdhsa_user_sgpr_kernarg_preload_offset 0
		.amdhsa_user_sgpr_private_segment_size 0
		.amdhsa_uses_dynamic_stack 0
		.amdhsa_system_sgpr_private_segment_wavefront_offset 0
		.amdhsa_system_sgpr_workgroup_id_x 1
		.amdhsa_system_sgpr_workgroup_id_y 0
		.amdhsa_system_sgpr_workgroup_id_z 0
		.amdhsa_system_sgpr_workgroup_info 0
		.amdhsa_system_vgpr_workitem_id 0
		.amdhsa_next_free_vgpr 48
		.amdhsa_next_free_sgpr 45
		.amdhsa_accum_offset 48
		.amdhsa_reserve_vcc 1
		.amdhsa_reserve_flat_scratch 0
		.amdhsa_float_round_mode_32 0
		.amdhsa_float_round_mode_16_64 0
		.amdhsa_float_denorm_mode_32 3
		.amdhsa_float_denorm_mode_16_64 3
		.amdhsa_dx10_clamp 1
		.amdhsa_ieee_mode 1
		.amdhsa_fp16_overflow 0
		.amdhsa_tg_split 0
		.amdhsa_exception_fp_ieee_invalid_op 0
		.amdhsa_exception_fp_denorm_src 0
		.amdhsa_exception_fp_ieee_div_zero 0
		.amdhsa_exception_fp_ieee_overflow 0
		.amdhsa_exception_fp_ieee_underflow 0
		.amdhsa_exception_fp_ieee_inexact 0
		.amdhsa_exception_int_div_zero 0
	.end_amdhsa_kernel
	.section	.text._ZN4vllm31rms_norm_per_block_quant_kernelIN3c108BFloat16EaLb0ELb1ELi128EEEvPT0_PfPKT_S8_PKffiiPS6_l,"axG",@progbits,_ZN4vllm31rms_norm_per_block_quant_kernelIN3c108BFloat16EaLb0ELb1ELi128EEEvPT0_PfPKT_S8_PKffiiPS6_l,comdat
.Lfunc_end74:
	.size	_ZN4vllm31rms_norm_per_block_quant_kernelIN3c108BFloat16EaLb0ELb1ELi128EEEvPT0_PfPKT_S8_PKffiiPS6_l, .Lfunc_end74-_ZN4vllm31rms_norm_per_block_quant_kernelIN3c108BFloat16EaLb0ELb1ELi128EEEvPT0_PfPKT_S8_PKffiiPS6_l
                                        ; -- End function
	.section	.AMDGPU.csdata,"",@progbits
; Kernel info:
; codeLenInByte = 10448
; NumSgprs: 49
; NumVgprs: 48
; NumAgprs: 0
; TotalNumVgprs: 48
; ScratchSize: 0
; MemoryBound: 0
; FloatMode: 240
; IeeeMode: 1
; LDSByteSize: 4164 bytes/workgroup (compile time only)
; SGPRBlocks: 6
; VGPRBlocks: 5
; NumSGPRsForWavesPerEU: 49
; NumVGPRsForWavesPerEU: 48
; AccumOffset: 48
; Occupancy: 8
; WaveLimiterHint : 0
; COMPUTE_PGM_RSRC2:SCRATCH_EN: 0
; COMPUTE_PGM_RSRC2:USER_SGPR: 6
; COMPUTE_PGM_RSRC2:TRAP_HANDLER: 0
; COMPUTE_PGM_RSRC2:TGID_X_EN: 1
; COMPUTE_PGM_RSRC2:TGID_Y_EN: 0
; COMPUTE_PGM_RSRC2:TGID_Z_EN: 0
; COMPUTE_PGM_RSRC2:TIDIG_COMP_CNT: 0
; COMPUTE_PGM_RSRC3_GFX90A:ACCUM_OFFSET: 11
; COMPUTE_PGM_RSRC3_GFX90A:TG_SPLIT: 0
	.section	.text._ZN4vllm31rms_norm_per_block_quant_kernelIN3c108BFloat16ENS1_13Float8_e4m3fnELb0ELb0ELi128EEEvPT0_PfPKT_S9_PKffiiPS7_l,"axG",@progbits,_ZN4vllm31rms_norm_per_block_quant_kernelIN3c108BFloat16ENS1_13Float8_e4m3fnELb0ELb0ELi128EEEvPT0_PfPKT_S9_PKffiiPS7_l,comdat
	.protected	_ZN4vllm31rms_norm_per_block_quant_kernelIN3c108BFloat16ENS1_13Float8_e4m3fnELb0ELb0ELi128EEEvPT0_PfPKT_S9_PKffiiPS7_l ; -- Begin function _ZN4vllm31rms_norm_per_block_quant_kernelIN3c108BFloat16ENS1_13Float8_e4m3fnELb0ELb0ELi128EEEvPT0_PfPKT_S9_PKffiiPS7_l
	.globl	_ZN4vllm31rms_norm_per_block_quant_kernelIN3c108BFloat16ENS1_13Float8_e4m3fnELb0ELb0ELi128EEEvPT0_PfPKT_S9_PKffiiPS7_l
	.p2align	8
	.type	_ZN4vllm31rms_norm_per_block_quant_kernelIN3c108BFloat16ENS1_13Float8_e4m3fnELb0ELb0ELi128EEEvPT0_PfPKT_S9_PKffiiPS7_l,@function
_ZN4vllm31rms_norm_per_block_quant_kernelIN3c108BFloat16ENS1_13Float8_e4m3fnELb0ELb0ELi128EEEvPT0_PfPKT_S9_PKffiiPS7_l: ; @_ZN4vllm31rms_norm_per_block_quant_kernelIN3c108BFloat16ENS1_13Float8_e4m3fnELb0ELb0ELi128EEEvPT0_PfPKT_S9_PKffiiPS7_l
; %bb.0:
	s_load_dwordx4 s[16:19], s[4:5], 0x28
	s_load_dwordx8 s[8:15], s[4:5], 0x0
	v_mov_b32_e32 v1, 0
	s_waitcnt lgkmcnt(0)
	s_ashr_i32 s0, s18, 31
	s_mul_hi_u32 s1, s18, s6
	s_mul_i32 s0, s0, s6
	s_add_i32 s1, s1, s0
	s_mul_i32 s0, s18, s6
	s_lshl_b64 s[28:29], s[0:1], 1
	s_add_u32 s33, s12, s28
	s_addc_u32 s42, s13, s29
	s_ashr_i32 s18, s17, 2
	s_add_u32 s2, s4, 0x48
	s_mov_b32 s20, s17
	v_cmp_gt_u32_e64 s[0:1], s18, v0
	s_addc_u32 s3, s5, 0
	s_and_saveexec_b64 s[22:23], s[0:1]
	s_cbranch_execz .LBB75_10
; %bb.1:
	s_load_dword s7, s[2:3], 0x0
	v_mov_b32_e32 v3, 0
	v_mov_b32_e32 v9, s42
	;; [unrolled: 1-line block ×3, first 2 shown]
                                        ; implicit-def: $sgpr26_sgpr27
	s_waitcnt lgkmcnt(0)
	s_cmp_lt_u32 s6, s7
	s_cselect_b32 s7, 12, 18
	s_add_u32 s24, s2, s7
	s_addc_u32 s25, s3, 0
	global_load_ushort v8, v3, s[24:25]
	s_mov_b64 s[24:25], 0
	s_waitcnt vmcnt(0)
	v_add_u32_e32 v1, v8, v8
	v_mul_lo_u32 v10, v8, 3
	v_lshlrev_b32_e32 v11, 1, v8
	v_add_u32_e32 v12, v1, v8
	v_mov_b32_e32 v1, v3
	s_branch .LBB75_5
.LBB75_2:                               ;   in Loop: Header=BB75_5 Depth=1
	s_or_b64 exec, exec, s[36:37]
	s_orn2_b64 s[36:37], s[38:39], exec
.LBB75_3:                               ;   in Loop: Header=BB75_5 Depth=1
	s_or_b64 exec, exec, s[34:35]
	s_andn2_b64 s[26:27], s[26:27], exec
	s_and_b64 s[34:35], s[36:37], exec
	s_or_b64 s[26:27], s[26:27], s[34:35]
.LBB75_4:                               ;   in Loop: Header=BB75_5 Depth=1
	s_or_b64 exec, exec, s[30:31]
	s_and_b64 s[30:31], exec, s[26:27]
	s_or_b64 s[24:25], s[30:31], s[24:25]
	s_andn2_b64 exec, exec, s[24:25]
	s_cbranch_execz .LBB75_9
.LBB75_5:                               ; =>This Inner Loop Header: Depth=1
	v_lshlrev_b64 v[4:5], 3, v[2:3]
	v_add_co_u32_e32 v4, vcc, s33, v4
	v_addc_co_u32_e32 v5, vcc, v9, v5, vcc
	global_load_dwordx2 v[6:7], v[4:5], off
	v_add_u32_e32 v4, v2, v8
	v_cmp_gt_u32_e32 vcc, s18, v4
	s_or_b64 s[26:27], s[26:27], exec
	s_waitcnt vmcnt(0)
	v_lshlrev_b32_e32 v13, 16, v6
	v_and_b32_e32 v5, 0xffff0000, v6
	v_alignbit_b32 v6, v7, v6, 16
	v_fmac_f32_e32 v1, v13, v13
	v_and_b32_e32 v6, 0xffff0000, v6
	v_fmac_f32_e32 v1, v5, v5
	v_and_b32_e32 v7, 0xffff0000, v7
	v_fmac_f32_e32 v1, v6, v6
	v_fmac_f32_e32 v1, v7, v7
	s_and_saveexec_b64 s[30:31], vcc
	s_cbranch_execz .LBB75_4
; %bb.6:                                ;   in Loop: Header=BB75_5 Depth=1
	v_mov_b32_e32 v5, v3
	v_lshlrev_b64 v[6:7], 3, v[4:5]
	v_add_co_u32_e32 v6, vcc, s33, v6
	v_addc_co_u32_e32 v7, vcc, v9, v7, vcc
	global_load_dwordx2 v[14:15], v[6:7], off
	v_add_u32_e32 v6, v11, v2
	v_cmp_gt_u32_e32 vcc, s18, v6
	s_mov_b64 s[36:37], -1
	s_waitcnt vmcnt(0)
	v_lshlrev_b32_e32 v7, 16, v14
	v_and_b32_e32 v5, 0xffff0000, v14
	v_alignbit_b32 v13, v15, v14, 16
	v_fmac_f32_e32 v1, v7, v7
	v_and_b32_e32 v13, 0xffff0000, v13
	v_fmac_f32_e32 v1, v5, v5
	v_and_b32_e32 v14, 0xffff0000, v15
	v_fmac_f32_e32 v1, v13, v13
	v_fmac_f32_e32 v1, v14, v14
	s_and_saveexec_b64 s[34:35], vcc
	s_cbranch_execz .LBB75_3
; %bb.7:                                ;   in Loop: Header=BB75_5 Depth=1
	v_mov_b32_e32 v7, v3
	v_lshlrev_b64 v[6:7], 3, v[6:7]
	v_add_co_u32_e32 v6, vcc, s33, v6
	v_addc_co_u32_e32 v7, vcc, v9, v7, vcc
	global_load_dwordx2 v[6:7], v[6:7], off
	v_add_u32_e32 v2, v10, v2
	v_cmp_gt_u32_e32 vcc, s18, v2
	s_mov_b64 s[38:39], -1
	s_waitcnt vmcnt(0)
	v_lshlrev_b32_e32 v13, 16, v6
	v_and_b32_e32 v5, 0xffff0000, v6
	v_alignbit_b32 v6, v7, v6, 16
	v_fmac_f32_e32 v1, v13, v13
	v_and_b32_e32 v6, 0xffff0000, v6
	v_fmac_f32_e32 v1, v5, v5
	v_and_b32_e32 v7, 0xffff0000, v7
	v_fmac_f32_e32 v1, v6, v6
	v_fmac_f32_e32 v1, v7, v7
	s_and_saveexec_b64 s[36:37], vcc
	s_xor_b64 s[36:37], exec, s[36:37]
	s_cbranch_execz .LBB75_2
; %bb.8:                                ;   in Loop: Header=BB75_5 Depth=1
	v_lshlrev_b64 v[6:7], 3, v[2:3]
	v_add_co_u32_e32 v6, vcc, s33, v6
	v_addc_co_u32_e32 v7, vcc, v9, v7, vcc
	global_load_dwordx2 v[6:7], v[6:7], off
	v_add_u32_e32 v2, v12, v4
	v_cmp_le_u32_e32 vcc, s18, v2
	s_orn2_b64 s[38:39], vcc, exec
	s_waitcnt vmcnt(0)
	v_lshlrev_b32_e32 v5, 16, v6
	v_and_b32_e32 v4, 0xffff0000, v6
	v_alignbit_b32 v6, v7, v6, 16
	v_fmac_f32_e32 v1, v5, v5
	v_and_b32_e32 v6, 0xffff0000, v6
	v_fmac_f32_e32 v1, v4, v4
	v_and_b32_e32 v7, 0xffff0000, v7
	v_fmac_f32_e32 v1, v6, v6
	v_fmac_f32_e32 v1, v7, v7
	s_branch .LBB75_2
.LBB75_9:
	s_or_b64 exec, exec, s[24:25]
.LBB75_10:
	s_or_b64 exec, exec, s[22:23]
	v_mbcnt_lo_u32_b32 v2, -1, 0
	v_mbcnt_hi_u32_b32 v2, -1, v2
	v_and_b32_e32 v3, 63, v2
	v_cmp_ne_u32_e32 vcc, 63, v3
	s_load_dword s2, s[2:3], 0xc
	v_addc_co_u32_e32 v4, vcc, 0, v2, vcc
	v_lshlrev_b32_e32 v4, 2, v4
	ds_bpermute_b32 v4, v4, v1
	s_waitcnt lgkmcnt(0)
	s_and_b32 s43, s2, 0xffff
	v_and_b32_e32 v5, 0x3c0, v0
	v_sub_u32_e64 v5, s43, v5 clamp
	v_add_u32_e32 v6, 1, v2
	v_add_f32_e32 v4, v1, v4
	v_cmp_lt_u32_e32 vcc, v6, v5
	v_cndmask_b32_e32 v1, v1, v4, vcc
	v_cmp_gt_u32_e32 vcc, 62, v3
	v_cndmask_b32_e64 v4, 0, 1, vcc
	v_lshlrev_b32_e32 v4, 1, v4
	v_add_lshl_u32 v4, v4, v2, 2
	ds_bpermute_b32 v4, v4, v1
	v_add_u32_e32 v6, 2, v2
	v_cmp_lt_u32_e32 vcc, v6, v5
	v_add_u32_e32 v6, 4, v2
	s_waitcnt lgkmcnt(0)
	v_add_f32_e32 v4, v1, v4
	v_cndmask_b32_e32 v1, v1, v4, vcc
	v_cmp_gt_u32_e32 vcc, 60, v3
	v_cndmask_b32_e64 v4, 0, 1, vcc
	v_lshlrev_b32_e32 v4, 2, v4
	v_add_lshl_u32 v4, v4, v2, 2
	ds_bpermute_b32 v4, v4, v1
	v_cmp_lt_u32_e32 vcc, v6, v5
	v_add_u32_e32 v6, 8, v2
	s_waitcnt lgkmcnt(0)
	v_add_f32_e32 v4, v1, v4
	v_cndmask_b32_e32 v1, v1, v4, vcc
	v_cmp_gt_u32_e32 vcc, 56, v3
	v_cndmask_b32_e64 v4, 0, 1, vcc
	v_lshlrev_b32_e32 v4, 3, v4
	v_add_lshl_u32 v4, v4, v2, 2
	ds_bpermute_b32 v4, v4, v1
	;; [unrolled: 10-line block ×3, first 2 shown]
	v_cmp_lt_u32_e32 vcc, v6, v5
	s_waitcnt lgkmcnt(0)
	v_add_f32_e32 v4, v1, v4
	v_cndmask_b32_e32 v1, v1, v4, vcc
	v_cmp_gt_u32_e32 vcc, 32, v3
	v_cndmask_b32_e64 v3, 0, 1, vcc
	v_lshlrev_b32_e32 v3, 5, v3
	v_add_lshl_u32 v3, v3, v2, 2
	ds_bpermute_b32 v3, v3, v1
	v_add_u32_e32 v4, 32, v2
	v_cmp_lt_u32_e32 vcc, v4, v5
	s_waitcnt lgkmcnt(0)
	v_add_f32_e32 v3, v1, v3
	v_cndmask_b32_e32 v1, v1, v3, vcc
	v_cmp_eq_u32_e32 vcc, 0, v2
	s_and_saveexec_b64 s[2:3], vcc
	s_cbranch_execz .LBB75_12
; %bb.11:
	v_lshrrev_b32_e32 v3, 4, v0
	v_and_b32_e32 v3, 60, v3
	ds_write_b32 v3, v1 offset:4096
.LBB75_12:
	s_or_b64 exec, exec, s[2:3]
	v_cmp_gt_u32_e32 vcc, 16, v0
	s_waitcnt lgkmcnt(0)
	s_barrier
	s_and_saveexec_b64 s[22:23], vcc
	s_cbranch_execz .LBB75_14
; %bb.13:
	v_lshlrev_b32_e32 v1, 2, v2
	ds_read_b32 v1, v1 offset:4096
	v_and_b32_e32 v3, 15, v2
	v_cmp_ne_u32_e32 vcc, 15, v3
	v_addc_co_u32_e32 v4, vcc, 0, v2, vcc
	v_lshlrev_b32_e32 v4, 2, v4
	s_waitcnt lgkmcnt(0)
	ds_bpermute_b32 v4, v4, v1
	s_add_i32 s2, s43, 63
	s_lshr_b32 s7, s2, 6
	v_add_u32_e32 v5, 1, v3
	v_cmp_gt_u32_e64 s[2:3], 14, v3
	v_cmp_gt_u32_e32 vcc, s7, v5
	v_cndmask_b32_e64 v5, 0, 1, s[2:3]
	s_waitcnt lgkmcnt(0)
	v_add_f32_e32 v4, v1, v4
	v_lshlrev_b32_e32 v5, 1, v5
	v_cndmask_b32_e32 v4, v1, v4, vcc
	v_add_lshl_u32 v5, v5, v2, 2
	ds_bpermute_b32 v5, v5, v4
	v_add_u32_e32 v6, 2, v3
	v_cmp_gt_u32_e64 s[2:3], s7, v6
	v_add_u32_e32 v6, 4, v3
	s_waitcnt lgkmcnt(0)
	v_add_f32_e32 v5, v4, v5
	v_cndmask_b32_e64 v4, v4, v5, s[2:3]
	v_cmp_gt_u32_e64 s[2:3], 12, v3
	v_cndmask_b32_e64 v5, 0, 1, s[2:3]
	v_lshlrev_b32_e32 v5, 2, v5
	v_add_lshl_u32 v5, v5, v2, 2
	ds_bpermute_b32 v5, v5, v4
	v_cmp_gt_u32_e64 s[2:3], s7, v6
	s_waitcnt lgkmcnt(0)
	v_add_f32_e32 v5, v4, v5
	v_cndmask_b32_e64 v4, v4, v5, s[2:3]
	v_cmp_gt_u32_e64 s[2:3], 8, v3
	v_cndmask_b32_e64 v5, 0, 1, s[2:3]
	v_lshlrev_b32_e32 v5, 3, v5
	v_add_lshl_u32 v2, v5, v2, 2
	ds_bpermute_b32 v2, v2, v4
	v_add_u32_e32 v3, 8, v3
	v_cmp_gt_u32_e64 s[2:3], s7, v3
	s_waitcnt lgkmcnt(0)
	v_add_f32_e32 v2, v4, v2
	v_cndmask_b32_e64 v2, v4, v2, s[2:3]
	v_cndmask_b32_e32 v1, v1, v2, vcc
.LBB75_14:
	s_or_b64 exec, exec, s[22:23]
	v_cmp_eq_u32_e32 vcc, 0, v0
	s_and_saveexec_b64 s[2:3], vcc
	s_cbranch_execz .LBB75_16
; %bb.15:
	v_cvt_f32_i32_e32 v2, s17
	s_mov_b32 s7, 0x800000
	v_div_scale_f32 v3, s[22:23], v2, v2, v1
	v_rcp_f32_e32 v4, v3
	v_div_scale_f32 v5, vcc, v1, v2, v1
	v_fma_f32 v6, -v3, v4, 1.0
	v_fmac_f32_e32 v4, v6, v4
	v_mul_f32_e32 v6, v5, v4
	v_fma_f32 v7, -v3, v6, v5
	v_fmac_f32_e32 v6, v7, v4
	v_fma_f32 v3, -v3, v6, v5
	v_div_fmas_f32 v3, v3, v4, v6
	v_div_fixup_f32 v1, v3, v2, v1
	v_add_f32_e32 v1, s16, v1
	v_mul_f32_e32 v2, 0x4b800000, v1
	v_cmp_gt_f32_e32 vcc, s7, v1
	v_cndmask_b32_e32 v1, v1, v2, vcc
	v_rsq_f32_e32 v1, v1
	v_mul_f32_e32 v2, 0x45800000, v1
	v_cndmask_b32_e32 v1, v1, v2, vcc
	v_mov_b32_e32 v2, 0
	ds_write_b32 v2, v1 offset:4160
.LBB75_16:
	s_or_b64 exec, exec, s[2:3]
	s_ashr_i32 s21, s17, 31
	s_lshr_b32 s2, s21, 25
	s_add_i32 s2, s17, s2
	s_ashr_i32 s22, s2, 7
	s_abs_i32 s3, s22
	v_cvt_f32_u32_e32 v1, s3
	s_sub_i32 s7, 0, s3
	s_ashr_i32 s2, s2, 31
	v_mov_b32_e32 v5, 0
	v_rcp_iflag_f32_e32 v1, v1
	s_waitcnt lgkmcnt(0)
	s_barrier
	v_mul_f32_e32 v1, 0x4f7ffffe, v1
	v_cvt_u32_f32_e32 v1, v1
	ds_read_b32 v36, v5 offset:4160
	v_readfirstlane_b32 s16, v1
	s_mul_i32 s7, s7, s16
	s_mul_hi_u32 s7, s16, s7
	s_add_i32 s16, s16, s7
	s_mul_hi_u32 s7, s43, s16
	s_mul_i32 s16, s7, s3
	s_sub_i32 s16, s43, s16
	s_add_i32 s19, s7, 1
	s_sub_i32 s23, s16, s3
	s_cmp_ge_u32 s16, s3
	s_cselect_b32 s7, s19, s7
	s_cselect_b32 s16, s23, s16
	s_add_i32 s19, s7, 1
	s_cmp_ge_u32 s16, s3
	s_cselect_b32 s3, s19, s7
	s_xor_b32 s3, s3, s2
	s_sub_i32 s24, s3, s2
	s_abs_i32 s2, s24
	v_cvt_f32_u32_e32 v1, s2
	s_sub_i32 s3, 0, s2
	s_ashr_i32 s25, s24, 31
	s_ashr_i32 s19, s18, 31
	v_rcp_iflag_f32_e32 v1, v1
	v_mul_f32_e32 v1, 0x4f7ffffe, v1
	v_cvt_u32_f32_e32 v1, v1
	v_mul_lo_u32 v2, s3, v1
	v_mul_hi_u32 v2, v1, v2
	v_add_u32_e32 v1, v1, v2
	v_mul_hi_u32 v1, v0, v1
	v_mul_lo_u32 v2, v1, s2
	v_sub_u32_e32 v2, v0, v2
	v_add_u32_e32 v3, 1, v1
	v_cmp_le_u32_e32 vcc, s2, v2
	v_cndmask_b32_e32 v1, v1, v3, vcc
	v_subrev_u32_e32 v3, s2, v2
	v_cndmask_b32_e32 v2, v2, v3, vcc
	v_add_u32_e32 v3, 1, v1
	v_cmp_le_u32_e32 vcc, s2, v2
	v_cndmask_b32_e32 v1, v1, v3, vcc
	v_xor_b32_e32 v1, s25, v1
	v_subrev_u32_e32 v2, s25, v1
	v_mul_lo_u32 v1, v2, s24
	v_ashrrev_i32_e32 v3, 31, v2
	v_sub_u32_e32 v4, v0, v1
	v_lshlrev_b64 v[8:9], 5, v[2:3]
	v_add_co_u32_e32 v6, vcc, v8, v4
	v_addc_co_u32_e32 v7, vcc, 0, v9, vcc
	v_add_co_u32_e32 v8, vcc, 32, v8
	v_addc_co_u32_e32 v9, vcc, 0, v9, vcc
	v_mov_b32_e32 v1, s19
	v_cmp_gt_i64_e32 vcc, s[18:19], v[8:9]
	v_cndmask_b32_e32 v9, v1, v9, vcc
	v_mov_b32_e32 v1, s18
	v_cndmask_b32_e32 v8, v1, v8, vcc
	v_ashrrev_i32_e32 v11, 31, v8
	v_mov_b32_e32 v10, v8
	v_cmp_lt_i64_e32 vcc, v[6:7], v[10:11]
	s_and_saveexec_b64 s[26:27], vcc
	s_cbranch_execz .LBB75_26
; %bb.17:
	v_lshlrev_b64 v[28:29], 8, v[2:3]
	s_mul_i32 s16, s24, 24
	v_lshlrev_b64 v[12:13], 3, v[4:5]
	v_mov_b32_e32 v1, s29
	v_add_co_u32_e32 v5, vcc, s28, v28
	s_mul_hi_i32 s7, s24, 24
	s_add_u32 s2, s12, s16
	v_addc_co_u32_e32 v19, vcc, v1, v29, vcc
	s_addc_u32 s3, s13, s7
	v_mov_b32_e32 v1, s3
	v_add_co_u32_e32 v14, vcc, s2, v5
	s_lshl_b64 s[28:29], s[24:25], 5
	s_lshl_b64 s[2:3], s[24:25], 4
	s_add_u32 s19, s12, s2
	v_addc_co_u32_e32 v1, vcc, v1, v19, vcc
	s_addc_u32 s23, s13, s3
	s_lshl_b64 s[30:31], s[24:25], 3
	v_mov_b32_e32 v15, s23
	v_add_co_u32_e32 v16, vcc, s19, v5
	s_add_u32 s19, s12, s30
	v_addc_co_u32_e32 v15, vcc, v15, v19, vcc
	s_addc_u32 s23, s13, s31
	v_mov_b32_e32 v17, s23
	v_add_co_u32_e32 v18, vcc, s19, v5
	v_addc_co_u32_e32 v17, vcc, v17, v19, vcc
	v_mov_b32_e32 v21, s13
	v_add_co_u32_e32 v20, vcc, s12, v5
	s_add_u32 s12, s14, s16
	v_addc_co_u32_e32 v19, vcc, v21, v19, vcc
	s_addc_u32 s7, s15, s7
	v_mov_b32_e32 v5, s7
	v_add_co_u32_e32 v22, vcc, s12, v28
	s_add_u32 s2, s14, s2
	v_addc_co_u32_e32 v21, vcc, v5, v29, vcc
	s_addc_u32 s3, s15, s3
	v_mov_b32_e32 v5, s3
	v_add_co_u32_e32 v24, vcc, s2, v28
	s_add_u32 s2, s14, s30
	v_addc_co_u32_e32 v23, vcc, v5, v29, vcc
	s_addc_u32 s3, s15, s31
	v_mov_b32_e32 v5, s3
	v_add_co_u32_e32 v26, vcc, s2, v28
	v_addc_co_u32_e32 v25, vcc, v5, v29, vcc
	v_mov_b32_e32 v5, s15
	v_add_co_u32_e32 v28, vcc, s14, v28
	v_addc_co_u32_e32 v27, vcc, v5, v29, vcc
	s_mul_hi_i32 s7, s24, 3
	s_mul_i32 s16, s24, 3
	s_lshl_b64 s[30:31], s[24:25], 1
	s_mov_b64 s[12:13], 0
	v_mov_b32_e32 v5, 0
	s_movk_i32 s19, 0x7fff
	v_mov_b32_e32 v29, 0x7fc00000
	v_mov_b32_e32 v34, s25
	v_pk_mov_b32 v[30:31], v[6:7], v[6:7] op_sel:[0,1]
                                        ; implicit-def: $sgpr34_sgpr35
	s_branch .LBB75_21
.LBB75_18:                              ;   in Loop: Header=BB75_21 Depth=1
	s_or_b64 exec, exec, s[2:3]
	s_orn2_b64 s[2:3], s[40:41], exec
.LBB75_19:                              ;   in Loop: Header=BB75_21 Depth=1
	s_or_b64 exec, exec, s[38:39]
	s_andn2_b64 s[34:35], s[34:35], exec
	s_and_b64 s[2:3], s[2:3], exec
	s_or_b64 s[34:35], s[34:35], s[2:3]
.LBB75_20:                              ;   in Loop: Header=BB75_21 Depth=1
	s_or_b64 exec, exec, s[36:37]
	s_and_b64 s[2:3], exec, s[34:35]
	s_or_b64 s[12:13], s[2:3], s[12:13]
	s_andn2_b64 exec, exec, s[12:13]
	s_cbranch_execz .LBB75_25
.LBB75_21:                              ; =>This Inner Loop Header: Depth=1
	v_add_co_u32_e32 v32, vcc, v20, v12
	v_addc_co_u32_e32 v33, vcc, v19, v13, vcc
	global_load_dwordx2 v[38:39], v[32:33], off
	v_add_co_u32_e32 v32, vcc, v28, v12
	v_addc_co_u32_e32 v33, vcc, v27, v13, vcc
	global_load_dwordx2 v[40:41], v[32:33], off
	v_add_co_u32_e32 v32, vcc, s24, v30
	v_addc_co_u32_e32 v33, vcc, v31, v34, vcc
	v_cmp_lt_i64_e32 vcc, v[32:33], v[10:11]
	s_or_b64 s[34:35], s[34:35], exec
	s_waitcnt vmcnt(1)
	v_lshlrev_b32_e32 v42, 16, v38
	v_and_b32_e32 v35, 0xffff0000, v38
	s_waitcnt lgkmcnt(0)
	v_mul_f32_e32 v42, v36, v42
	v_alignbit_b32 v38, v39, v38, 16
	v_and_b32_e32 v39, 0xffff0000, v39
	v_mul_f32_e32 v35, v36, v35
	v_bfe_u32 v44, v42, 16, 1
	v_mul_f32_e32 v39, v36, v39
	v_bfe_u32 v45, v35, 16, 1
	v_add3_u32 v44, v42, v44, s19
	v_and_b32_e32 v38, 0xffff0000, v38
	v_bfe_u32 v46, v39, 16, 1
	v_add3_u32 v45, v35, v45, s19
	v_and_b32_e32 v44, 0xffff0000, v44
	v_cmp_o_f32_e64 s[2:3], v42, v42
	v_mul_f32_e32 v38, v36, v38
	v_add3_u32 v46, v39, v46, s19
	v_and_b32_e32 v45, 0xffff0000, v45
	v_cndmask_b32_e64 v42, v29, v44, s[2:3]
	v_cmp_o_f32_e64 s[2:3], v35, v35
	s_waitcnt vmcnt(0)
	v_lshlrev_b32_e32 v43, 16, v40
	v_bfe_u32 v47, v38, 16, 1
	v_and_b32_e32 v46, 0xffff0000, v46
	v_cndmask_b32_e64 v35, v29, v45, s[2:3]
	v_cmp_o_f32_e64 s[2:3], v39, v39
	v_and_b32_e32 v37, 0xffff0000, v40
	v_alignbit_b32 v40, v41, v40, 16
	v_and_b32_e32 v41, 0xffff0000, v41
	v_add3_u32 v47, v38, v47, s19
	v_cndmask_b32_e64 v39, v29, v46, s[2:3]
	v_mul_f32_e32 v42, v42, v43
	v_and_b32_e32 v44, 0xffff0000, v47
	v_mul_f32_e32 v35, v35, v37
	v_cmp_o_f32_e64 s[2:3], v38, v38
	v_mul_f32_e32 v38, v39, v41
	v_bfe_u32 v39, v42, 16, 1
	v_and_b32_e32 v40, 0xffff0000, v40
	v_cndmask_b32_e64 v37, v29, v44, s[2:3]
	v_bfe_u32 v41, v35, 16, 1
	v_add3_u32 v39, v42, v39, s19
	v_mul_f32_e32 v37, v37, v40
	v_bfe_u32 v40, v38, 16, 1
	v_add3_u32 v41, v35, v41, s19
	v_and_b32_e32 v39, 0xffff0000, v39
	v_cmp_o_f32_e64 s[2:3], v42, v42
	v_bfe_u32 v43, v37, 16, 1
	v_add3_u32 v40, v38, v40, s19
	v_and_b32_e32 v41, 0xffff0000, v41
	v_cndmask_b32_e64 v39, v29, |v39|, s[2:3]
	v_cmp_o_f32_e64 s[2:3], v35, v35
	v_add3_u32 v43, v37, v43, s19
	v_and_b32_e32 v40, 0xffff0000, v40
	v_cndmask_b32_e64 v35, v29, |v41|, s[2:3]
	v_cmp_o_f32_e64 s[2:3], v38, v38
	v_and_b32_e32 v41, 0xffff0000, v43
	v_cndmask_b32_e64 v38, v29, |v40|, s[2:3]
	v_cmp_o_f32_e64 s[2:3], v37, v37
	v_max3_f32 v5, v5, v39, v35
	v_cndmask_b32_e64 v35, v29, |v41|, s[2:3]
	v_max3_f32 v5, v5, v35, v38
	s_and_saveexec_b64 s[36:37], vcc
	s_cbranch_execz .LBB75_20
; %bb.22:                               ;   in Loop: Header=BB75_21 Depth=1
	v_add_co_u32_e32 v38, vcc, v18, v12
	v_addc_co_u32_e32 v39, vcc, v17, v13, vcc
	global_load_dwordx2 v[38:39], v[38:39], off
	v_add_co_u32_e32 v40, vcc, v26, v12
	v_addc_co_u32_e32 v41, vcc, v25, v13, vcc
	global_load_dwordx2 v[40:41], v[40:41], off
	v_mov_b32_e32 v35, s31
	v_add_co_u32_e32 v42, vcc, s30, v30
	v_addc_co_u32_e32 v43, vcc, v35, v31, vcc
	v_cmp_lt_i64_e32 vcc, v[42:43], v[10:11]
	s_waitcnt vmcnt(1)
	v_lshlrev_b32_e32 v42, 16, v38
	v_and_b32_e32 v35, 0xffff0000, v38
	v_mul_f32_e32 v42, v36, v42
	v_alignbit_b32 v38, v39, v38, 16
	v_and_b32_e32 v39, 0xffff0000, v39
	v_mul_f32_e32 v35, v36, v35
	v_bfe_u32 v44, v42, 16, 1
	v_mul_f32_e32 v39, v36, v39
	v_bfe_u32 v45, v35, 16, 1
	v_add3_u32 v44, v42, v44, s19
	v_and_b32_e32 v38, 0xffff0000, v38
	v_bfe_u32 v46, v39, 16, 1
	v_add3_u32 v45, v35, v45, s19
	v_and_b32_e32 v44, 0xffff0000, v44
	v_cmp_o_f32_e64 s[2:3], v42, v42
	v_mul_f32_e32 v38, v36, v38
	v_add3_u32 v46, v39, v46, s19
	v_and_b32_e32 v45, 0xffff0000, v45
	v_cndmask_b32_e64 v42, v29, v44, s[2:3]
	v_cmp_o_f32_e64 s[2:3], v35, v35
	s_waitcnt vmcnt(0)
	v_lshlrev_b32_e32 v43, 16, v40
	v_bfe_u32 v47, v38, 16, 1
	v_and_b32_e32 v46, 0xffff0000, v46
	v_cndmask_b32_e64 v35, v29, v45, s[2:3]
	v_cmp_o_f32_e64 s[2:3], v39, v39
	v_and_b32_e32 v37, 0xffff0000, v40
	v_alignbit_b32 v40, v41, v40, 16
	v_and_b32_e32 v41, 0xffff0000, v41
	v_add3_u32 v47, v38, v47, s19
	v_cndmask_b32_e64 v39, v29, v46, s[2:3]
	v_mul_f32_e32 v42, v42, v43
	v_and_b32_e32 v44, 0xffff0000, v47
	v_mul_f32_e32 v35, v35, v37
	v_cmp_o_f32_e64 s[2:3], v38, v38
	v_mul_f32_e32 v38, v39, v41
	v_bfe_u32 v39, v42, 16, 1
	v_and_b32_e32 v40, 0xffff0000, v40
	v_cndmask_b32_e64 v37, v29, v44, s[2:3]
	v_bfe_u32 v41, v35, 16, 1
	v_add3_u32 v39, v42, v39, s19
	v_mul_f32_e32 v37, v37, v40
	v_bfe_u32 v40, v38, 16, 1
	v_add3_u32 v41, v35, v41, s19
	v_and_b32_e32 v39, 0xffff0000, v39
	v_cmp_o_f32_e64 s[2:3], v42, v42
	v_bfe_u32 v43, v37, 16, 1
	v_add3_u32 v40, v38, v40, s19
	v_and_b32_e32 v41, 0xffff0000, v41
	v_cndmask_b32_e64 v39, v29, |v39|, s[2:3]
	v_cmp_o_f32_e64 s[2:3], v35, v35
	v_add3_u32 v43, v37, v43, s19
	v_and_b32_e32 v40, 0xffff0000, v40
	v_cndmask_b32_e64 v35, v29, |v41|, s[2:3]
	v_cmp_o_f32_e64 s[2:3], v38, v38
	v_and_b32_e32 v41, 0xffff0000, v43
	v_cndmask_b32_e64 v38, v29, |v40|, s[2:3]
	v_cmp_o_f32_e64 s[2:3], v37, v37
	v_max3_f32 v5, v5, v39, v35
	v_cndmask_b32_e64 v35, v29, |v41|, s[2:3]
	v_max3_f32 v5, v5, v35, v38
	s_mov_b64 s[2:3], -1
	s_and_saveexec_b64 s[38:39], vcc
	s_cbranch_execz .LBB75_19
; %bb.23:                               ;   in Loop: Header=BB75_21 Depth=1
	v_add_co_u32_e32 v38, vcc, v16, v12
	v_addc_co_u32_e32 v39, vcc, v15, v13, vcc
	global_load_dwordx2 v[38:39], v[38:39], off
	v_add_co_u32_e32 v40, vcc, v24, v12
	v_addc_co_u32_e32 v41, vcc, v23, v13, vcc
	global_load_dwordx2 v[40:41], v[40:41], off
	v_mov_b32_e32 v35, s7
	v_add_co_u32_e32 v30, vcc, s16, v30
	v_addc_co_u32_e32 v31, vcc, v35, v31, vcc
	v_cmp_lt_i64_e32 vcc, v[30:31], v[10:11]
	s_mov_b64 s[40:41], -1
	s_waitcnt vmcnt(1)
	v_lshlrev_b32_e32 v35, 16, v38
	v_and_b32_e32 v30, 0xffff0000, v38
	v_mul_f32_e32 v35, v36, v35
	v_alignbit_b32 v37, v39, v38, 16
	v_and_b32_e32 v38, 0xffff0000, v39
	v_mul_f32_e32 v30, v36, v30
	v_bfe_u32 v42, v35, 16, 1
	v_mul_f32_e32 v38, v36, v38
	v_bfe_u32 v43, v30, 16, 1
	v_add3_u32 v42, v35, v42, s19
	v_and_b32_e32 v37, 0xffff0000, v37
	v_bfe_u32 v44, v38, 16, 1
	v_add3_u32 v43, v30, v43, s19
	v_and_b32_e32 v42, 0xffff0000, v42
	v_cmp_o_f32_e64 s[2:3], v35, v35
	v_mul_f32_e32 v37, v36, v37
	v_add3_u32 v44, v38, v44, s19
	v_and_b32_e32 v43, 0xffff0000, v43
	v_cndmask_b32_e64 v35, v29, v42, s[2:3]
	v_cmp_o_f32_e64 s[2:3], v30, v30
	s_waitcnt vmcnt(0)
	v_lshlrev_b32_e32 v39, 16, v40
	v_bfe_u32 v45, v37, 16, 1
	v_and_b32_e32 v44, 0xffff0000, v44
	v_cndmask_b32_e64 v30, v29, v43, s[2:3]
	v_cmp_o_f32_e64 s[2:3], v38, v38
	v_and_b32_e32 v31, 0xffff0000, v40
	v_alignbit_b32 v40, v41, v40, 16
	v_and_b32_e32 v41, 0xffff0000, v41
	v_add3_u32 v45, v37, v45, s19
	v_cndmask_b32_e64 v38, v29, v44, s[2:3]
	v_mul_f32_e32 v35, v35, v39
	v_and_b32_e32 v42, 0xffff0000, v45
	v_mul_f32_e32 v30, v30, v31
	v_cmp_o_f32_e64 s[2:3], v37, v37
	v_mul_f32_e32 v37, v38, v41
	v_bfe_u32 v38, v35, 16, 1
	v_and_b32_e32 v40, 0xffff0000, v40
	v_cndmask_b32_e64 v31, v29, v42, s[2:3]
	v_bfe_u32 v39, v30, 16, 1
	v_add3_u32 v38, v35, v38, s19
	v_mul_f32_e32 v31, v31, v40
	v_bfe_u32 v40, v37, 16, 1
	v_add3_u32 v39, v30, v39, s19
	v_and_b32_e32 v38, 0xffff0000, v38
	v_cmp_o_f32_e64 s[2:3], v35, v35
	v_bfe_u32 v41, v31, 16, 1
	v_add3_u32 v40, v37, v40, s19
	v_and_b32_e32 v39, 0xffff0000, v39
	v_cndmask_b32_e64 v35, v29, |v38|, s[2:3]
	v_cmp_o_f32_e64 s[2:3], v30, v30
	v_add3_u32 v41, v31, v41, s19
	v_and_b32_e32 v40, 0xffff0000, v40
	v_cndmask_b32_e64 v30, v29, |v39|, s[2:3]
	v_cmp_o_f32_e64 s[2:3], v37, v37
	v_and_b32_e32 v38, 0xffff0000, v41
	v_cndmask_b32_e64 v37, v29, |v40|, s[2:3]
	v_cmp_o_f32_e64 s[2:3], v31, v31
	v_max3_f32 v5, v5, v35, v30
	v_cndmask_b32_e64 v30, v29, |v38|, s[2:3]
	v_max3_f32 v5, v5, v30, v37
                                        ; implicit-def: $vgpr30_vgpr31
	s_and_saveexec_b64 s[2:3], vcc
	s_xor_b64 s[2:3], exec, s[2:3]
	s_cbranch_execz .LBB75_18
; %bb.24:                               ;   in Loop: Header=BB75_21 Depth=1
	v_add_co_u32_e32 v30, vcc, v14, v12
	v_addc_co_u32_e32 v31, vcc, v1, v13, vcc
	global_load_dwordx2 v[38:39], v[30:31], off
	v_add_co_u32_e32 v30, vcc, v22, v12
	v_addc_co_u32_e32 v31, vcc, v21, v13, vcc
	global_load_dwordx2 v[40:41], v[30:31], off
	v_mov_b32_e32 v35, s29
	v_add_co_u32_e32 v14, vcc, s28, v14
	v_addc_co_u32_e32 v1, vcc, v1, v35, vcc
	v_add_co_u32_e32 v16, vcc, s28, v16
	s_add_u32 s23, s24, s24
	v_addc_co_u32_e32 v15, vcc, v15, v35, vcc
	s_addc_u32 s40, s25, s25
	v_add_co_u32_e32 v18, vcc, s28, v18
	v_addc_co_u32_e32 v17, vcc, v17, v35, vcc
	s_add_u32 s23, s23, s24
	s_addc_u32 s40, s40, s25
	v_add_co_u32_e32 v30, vcc, s23, v32
	v_mov_b32_e32 v31, s40
	v_addc_co_u32_e32 v31, vcc, v31, v33, vcc
	s_waitcnt vmcnt(1)
	v_lshlrev_b32_e32 v37, 16, v38
	v_and_b32_e32 v32, 0xffff0000, v38
	v_mul_f32_e32 v37, v36, v37
	v_alignbit_b32 v38, v39, v38, 16
	v_and_b32_e32 v39, 0xffff0000, v39
	v_mul_f32_e32 v32, v36, v32
	v_bfe_u32 v43, v37, 16, 1
	v_mul_f32_e32 v39, v36, v39
	v_bfe_u32 v44, v32, 16, 1
	v_add3_u32 v43, v37, v43, s19
	v_and_b32_e32 v38, 0xffff0000, v38
	v_bfe_u32 v45, v39, 16, 1
	v_add3_u32 v44, v32, v44, s19
	v_and_b32_e32 v43, 0xffff0000, v43
	v_cmp_o_f32_e32 vcc, v37, v37
	v_mul_f32_e32 v38, v36, v38
	v_add3_u32 v45, v39, v45, s19
	v_and_b32_e32 v44, 0xffff0000, v44
	v_cndmask_b32_e32 v37, v29, v43, vcc
	v_cmp_o_f32_e32 vcc, v32, v32
	s_waitcnt vmcnt(0)
	v_lshlrev_b32_e32 v42, 16, v40
	v_bfe_u32 v46, v38, 16, 1
	v_and_b32_e32 v45, 0xffff0000, v45
	v_cndmask_b32_e32 v32, v29, v44, vcc
	v_cmp_o_f32_e32 vcc, v39, v39
	v_and_b32_e32 v33, 0xffff0000, v40
	v_alignbit_b32 v40, v41, v40, 16
	v_and_b32_e32 v41, 0xffff0000, v41
	v_add3_u32 v46, v38, v46, s19
	v_cndmask_b32_e32 v39, v29, v45, vcc
	v_mul_f32_e32 v37, v37, v42
	v_and_b32_e32 v43, 0xffff0000, v46
	v_mul_f32_e32 v32, v32, v33
	v_cmp_o_f32_e32 vcc, v38, v38
	v_mul_f32_e32 v38, v39, v41
	v_bfe_u32 v39, v37, 16, 1
	v_and_b32_e32 v40, 0xffff0000, v40
	v_cndmask_b32_e32 v33, v29, v43, vcc
	v_bfe_u32 v41, v32, 16, 1
	v_add3_u32 v39, v37, v39, s19
	v_mul_f32_e32 v33, v33, v40
	v_bfe_u32 v40, v38, 16, 1
	v_add3_u32 v41, v32, v41, s19
	v_and_b32_e32 v39, 0xffff0000, v39
	v_cmp_o_f32_e32 vcc, v37, v37
	v_bfe_u32 v42, v33, 16, 1
	v_add3_u32 v40, v38, v40, s19
	v_and_b32_e32 v41, 0xffff0000, v41
	v_cndmask_b32_e64 v37, v29, |v39|, vcc
	v_cmp_o_f32_e32 vcc, v32, v32
	v_add3_u32 v42, v33, v42, s19
	v_and_b32_e32 v40, 0xffff0000, v40
	v_cndmask_b32_e64 v32, v29, |v41|, vcc
	v_cmp_o_f32_e32 vcc, v38, v38
	v_and_b32_e32 v39, 0xffff0000, v42
	v_cndmask_b32_e64 v38, v29, |v40|, vcc
	v_cmp_o_f32_e32 vcc, v33, v33
	v_max3_f32 v5, v5, v37, v32
	v_cndmask_b32_e64 v32, v29, |v39|, vcc
	v_add_co_u32_e32 v20, vcc, s28, v20
	v_addc_co_u32_e32 v19, vcc, v19, v35, vcc
	v_add_co_u32_e32 v22, vcc, s28, v22
	v_addc_co_u32_e32 v21, vcc, v21, v35, vcc
	v_add_co_u32_e32 v24, vcc, s28, v24
	v_addc_co_u32_e32 v23, vcc, v23, v35, vcc
	v_add_co_u32_e32 v26, vcc, s28, v26
	v_addc_co_u32_e32 v25, vcc, v25, v35, vcc
	v_add_co_u32_e32 v28, vcc, s28, v28
	v_addc_co_u32_e32 v27, vcc, v27, v35, vcc
	v_cmp_ge_i64_e32 vcc, v[30:31], v[10:11]
	v_max3_f32 v5, v5, v32, v38
	s_orn2_b64 s[40:41], vcc, exec
	s_branch .LBB75_18
.LBB75_25:
	s_or_b64 exec, exec, s[12:13]
.LBB75_26:
	s_or_b64 exec, exec, s[26:27]
	s_lshr_b32 s7, s43, 6
	v_cvt_f32_u32_e32 v10, s7
	v_lshlrev_b32_e32 v1, 2, v0
	ds_write_b32 v1, v5
	s_sub_i32 s12, 0, s7
	v_rcp_iflag_f32_e32 v5, v10
	s_add_i32 s2, s22, s7
	s_add_i32 s2, s2, -1
	s_ashr_i32 s3, s2, 31
	v_mul_f32_e32 v5, 0x4f7ffffe, v5
	v_cvt_u32_f32_e32 v5, v5
	s_abs_i32 s2, s2
	s_ashr_i32 s23, s22, 31
	s_waitcnt lgkmcnt(0)
	v_readfirstlane_b32 s13, v5
	s_mul_i32 s12, s12, s13
	s_mul_hi_u32 s12, s13, s12
	s_add_i32 s13, s13, s12
	s_mul_hi_u32 s12, s2, s13
	s_mul_i32 s13, s12, s7
	s_sub_i32 s2, s2, s13
	s_add_i32 s13, s12, 1
	s_sub_i32 s16, s2, s7
	s_cmp_ge_u32 s2, s7
	s_cselect_b32 s12, s13, s12
	s_cselect_b32 s2, s16, s2
	s_add_i32 s13, s12, 1
	s_cmp_ge_u32 s2, s7
	s_cselect_b32 s2, s13, s12
	s_xor_b32 s2, s2, s3
	s_sub_i32 s2, s2, s3
	s_ashr_i32 s3, s2, 31
	v_cmp_lt_i64_e64 s[12:13], s[2:3], 1
	s_and_b64 vcc, exec, s[12:13]
	s_barrier
	s_cbranch_vccnz .LBB75_48
; %bb.27:
	v_and_b32_e32 v12, 63, v0
	v_add_co_u32_e32 v14, vcc, 32, v12
	v_addc_co_u32_e64 v15, s[12:13], 0, 0, vcc
	v_add_co_u32_e32 v16, vcc, 16, v12
	v_addc_co_u32_e64 v17, s[12:13], 0, 0, vcc
	;; [unrolled: 2-line block ×4, first 2 shown]
	v_add_co_u32_e32 v22, vcc, 2, v12
	v_lshrrev_b32_e32 v10, 6, v0
	v_addc_co_u32_e64 v23, s[12:13], 0, 0, vcc
	v_add_co_u32_e32 v24, vcc, 1, v12
	v_addc_co_u32_e64 v25, s[12:13], 0, 0, vcc
	v_mul_lo_u32 v5, s24, v10
	v_lshlrev_b32_e32 v5, 2, v5
	v_lshlrev_b32_e32 v26, 2, v12
	s_movk_i32 s12, 0x100
	v_mov_b32_e32 v11, 0
	v_add3_u32 v5, v5, v26, s12
	s_mul_i32 s12, s24, s7
	v_mov_b32_e32 v13, v11
	s_lshl_b32 s16, s12, 2
	s_mov_b64 s[12:13], 0
	v_mov_b32_e32 v37, s7
	s_mov_b64 s[26:27], src_shared_base
	s_branch .LBB75_30
.LBB75_28:                              ;   in Loop: Header=BB75_30 Depth=1
	s_or_b64 exec, exec, s[30:31]
	v_mov_b32_e32 v27, s27
	flat_load_dword v26, v[26:27] glc
	s_waitcnt vmcnt(0)
.LBB75_29:                              ;   in Loop: Header=BB75_30 Depth=1
	s_or_b64 exec, exec, s[28:29]
	s_add_u32 s12, s12, 1
	s_addc_u32 s13, s13, 0
	s_cmp_eq_u64 s[12:13], s[2:3]
	v_add_u32_e32 v5, s16, v5
	s_cbranch_scc1 .LBB75_48
.LBB75_30:                              ; =>This Loop Header: Depth=1
                                        ;     Child Loop BB75_33 Depth 2
	v_mad_u64_u32 v[30:31], s[28:29], s12, v37, v[10:11]
	s_mul_i32 s19, s13, s7
	v_add_u32_e32 v31, s19, v31
	v_cmp_gt_i64_e32 vcc, s[22:23], v[30:31]
	s_and_saveexec_b64 s[28:29], vcc
	s_cbranch_execz .LBB75_29
; %bb.31:                               ;   in Loop: Header=BB75_30 Depth=1
	v_pk_mov_b32 v[32:33], s[24:25], s[24:25] op_sel:[0,1]
	v_mul_lo_u32 v29, v31, s24
	v_mul_lo_u32 v38, v30, s25
	v_mad_u64_u32 v[32:33], s[30:31], v30, s24, v[32:33]
	v_add3_u32 v33, v29, v33, v38
	v_mov_b32_e32 v28, s21
	v_cmp_gt_i64_e32 vcc, s[20:21], v[32:33]
	s_waitcnt lgkmcnt(0)
	v_mad_u64_u32 v[26:27], s[30:31], v30, s24, v[12:13]
	v_cndmask_b32_e32 v33, v28, v33, vcc
	v_mov_b32_e32 v28, s17
	v_add3_u32 v27, v29, v27, v38
	v_cndmask_b32_e32 v32, v28, v32, vcc
	v_add_co_u32_e32 v34, vcc, 64, v26
	v_addc_co_u32_e32 v35, vcc, 0, v27, vcc
	v_cmp_lt_i64_e32 vcc, v[34:35], v[32:33]
	v_lshlrev_b32_e32 v28, 2, v26
	s_and_saveexec_b64 s[30:31], vcc
	s_cbranch_execz .LBB75_34
; %bb.32:                               ;   in Loop: Header=BB75_30 Depth=1
	ds_read_b32 v31, v28
	s_mov_b64 s[34:35], 0
	v_mov_b32_e32 v27, v5
.LBB75_33:                              ;   Parent Loop BB75_30 Depth=1
                                        ; =>  This Inner Loop Header: Depth=2
	ds_read_b32 v39, v27
	v_add_co_u32_e32 v34, vcc, 64, v34
	v_addc_co_u32_e32 v35, vcc, 0, v35, vcc
	s_waitcnt lgkmcnt(1)
	v_max_f32_e32 v31, v31, v31
	v_cmp_ge_i64_e32 vcc, v[34:35], v[32:33]
	s_waitcnt lgkmcnt(0)
	v_max_f32_e32 v39, v39, v39
	v_add_u32_e32 v27, 0x100, v27
	s_or_b64 s[34:35], vcc, s[34:35]
	v_max_f32_e32 v31, v31, v39
	ds_write_b32 v28, v31
	s_andn2_b64 exec, exec, s[34:35]
	s_cbranch_execnz .LBB75_33
.LBB75_34:                              ;   in Loop: Header=BB75_30 Depth=1
	s_or_b64 exec, exec, s[30:31]
	v_mad_u64_u32 v[30:31], s[30:31], v30, s24, 0
	v_add3_u32 v27, v31, v38, v29
	v_sub_co_u32_e32 v30, vcc, v32, v30
	v_subb_co_u32_e32 v31, vcc, v33, v27, vcc
	v_cmp_gt_i64_e32 vcc, 64, v[30:31]
	v_cndmask_b32_e32 v31, 0, v31, vcc
	v_cndmask_b32_e32 v30, 64, v30, vcc
	v_cmp_lt_i64_e32 vcc, v[14:15], v[30:31]
	s_and_saveexec_b64 s[30:31], vcc
	s_cbranch_execnz .LBB75_46
; %bb.35:                               ;   in Loop: Header=BB75_30 Depth=1
	s_or_b64 exec, exec, s[30:31]
	v_cmp_lt_i64_e32 vcc, v[16:17], v[30:31]
	s_and_saveexec_b64 s[30:31], vcc
	s_cbranch_execnz .LBB75_47
.LBB75_36:                              ;   in Loop: Header=BB75_30 Depth=1
	s_or_b64 exec, exec, s[30:31]
	v_cmp_lt_i64_e32 vcc, v[18:19], v[30:31]
	s_and_saveexec_b64 s[30:31], vcc
	s_cbranch_execz .LBB75_38
.LBB75_37:                              ;   in Loop: Header=BB75_30 Depth=1
	v_mov_b32_e32 v29, s27
	v_add_u32_e32 v32, 32, v28
	v_mov_b32_e32 v33, s27
	flat_load_dword v27, v[28:29] glc
	s_waitcnt vmcnt(0)
	flat_load_dword v34, v[32:33] glc
	s_waitcnt vmcnt(0) lgkmcnt(0)
	v_max_f32_e32 v27, v27, v27
	v_max_f32_e32 v32, v34, v34
	;; [unrolled: 1-line block ×3, first 2 shown]
	flat_store_dword v[28:29], v27
	s_waitcnt vmcnt(0)
.LBB75_38:                              ;   in Loop: Header=BB75_30 Depth=1
	s_or_b64 exec, exec, s[30:31]
	v_cmp_ge_i64_e32 vcc, v[20:21], v[30:31]
	s_and_saveexec_b64 s[30:31], vcc
	s_xor_b64 s[30:31], exec, s[30:31]
; %bb.39:                               ;   in Loop: Header=BB75_30 Depth=1
                                        ; implicit-def: $vgpr28
; %bb.40:                               ;   in Loop: Header=BB75_30 Depth=1
	s_andn2_saveexec_b64 s[30:31], s[30:31]
	s_cbranch_execz .LBB75_42
; %bb.41:                               ;   in Loop: Header=BB75_30 Depth=1
	v_mov_b32_e32 v29, s27
	v_add_u32_e32 v32, 16, v28
	v_mov_b32_e32 v33, s27
	flat_load_dword v27, v[28:29] glc
	s_waitcnt vmcnt(0)
	flat_load_dword v34, v[32:33] glc
	s_waitcnt vmcnt(0) lgkmcnt(0)
	v_max_f32_e32 v27, v27, v27
	v_max_f32_e32 v32, v34, v34
	v_max_f32_e32 v27, v27, v32
	flat_store_dword v[28:29], v27
	s_waitcnt vmcnt(0)
.LBB75_42:                              ;   in Loop: Header=BB75_30 Depth=1
	s_or_b64 exec, exec, s[30:31]
	v_cmp_lt_i64_e32 vcc, v[22:23], v[30:31]
	v_lshlrev_b32_e32 v26, 2, v26
	s_and_saveexec_b64 s[30:31], vcc
	s_cbranch_execz .LBB75_44
; %bb.43:                               ;   in Loop: Header=BB75_30 Depth=1
	v_mov_b32_e32 v27, s27
	v_add_u32_e32 v28, 8, v26
	v_mov_b32_e32 v29, s27
	flat_load_dword v32, v[26:27] glc
	s_waitcnt vmcnt(0)
	flat_load_dword v33, v[28:29] glc
	s_waitcnt vmcnt(0) lgkmcnt(0)
	v_max_f32_e32 v28, v32, v32
	v_max_f32_e32 v29, v33, v33
	;; [unrolled: 1-line block ×3, first 2 shown]
	flat_store_dword v[26:27], v28
	s_waitcnt vmcnt(0)
.LBB75_44:                              ;   in Loop: Header=BB75_30 Depth=1
	s_or_b64 exec, exec, s[30:31]
	v_cmp_lt_i64_e32 vcc, v[24:25], v[30:31]
	s_and_saveexec_b64 s[30:31], vcc
	s_cbranch_execz .LBB75_28
; %bb.45:                               ;   in Loop: Header=BB75_30 Depth=1
	v_mov_b32_e32 v27, s27
	v_add_u32_e32 v28, 4, v26
	v_mov_b32_e32 v29, s27
	flat_load_dword v30, v[26:27] glc
	s_waitcnt vmcnt(0)
	flat_load_dword v31, v[28:29] glc
	s_waitcnt vmcnt(0) lgkmcnt(0)
	v_max_f32_e32 v28, v30, v30
	v_max_f32_e32 v29, v31, v31
	;; [unrolled: 1-line block ×3, first 2 shown]
	flat_store_dword v[26:27], v28
	s_waitcnt vmcnt(0)
	s_branch .LBB75_28
.LBB75_46:                              ;   in Loop: Header=BB75_30 Depth=1
	v_mov_b32_e32 v29, s27
	v_add_u32_e32 v32, 0x80, v28
	v_mov_b32_e32 v33, s27
	flat_load_dword v27, v[28:29] glc
	s_waitcnt vmcnt(0)
	flat_load_dword v34, v[32:33] glc
	s_waitcnt vmcnt(0) lgkmcnt(0)
	v_max_f32_e32 v27, v27, v27
	v_max_f32_e32 v32, v34, v34
	;; [unrolled: 1-line block ×3, first 2 shown]
	flat_store_dword v[28:29], v27
	s_waitcnt vmcnt(0)
	s_or_b64 exec, exec, s[30:31]
	v_cmp_lt_i64_e32 vcc, v[16:17], v[30:31]
	s_and_saveexec_b64 s[30:31], vcc
	s_cbranch_execz .LBB75_36
.LBB75_47:                              ;   in Loop: Header=BB75_30 Depth=1
	v_mov_b32_e32 v29, s27
	v_add_u32_e32 v32, 64, v28
	v_mov_b32_e32 v33, s27
	flat_load_dword v27, v[28:29] glc
	s_waitcnt vmcnt(0)
	flat_load_dword v34, v[32:33] glc
	s_waitcnt vmcnt(0) lgkmcnt(0)
	v_max_f32_e32 v27, v27, v27
	v_max_f32_e32 v32, v34, v34
	;; [unrolled: 1-line block ×3, first 2 shown]
	flat_store_dword v[28:29], v27
	s_waitcnt vmcnt(0)
	s_or_b64 exec, exec, s[30:31]
	v_cmp_lt_i64_e32 vcc, v[18:19], v[30:31]
	s_and_saveexec_b64 s[30:31], vcc
	s_cbranch_execnz .LBB75_37
	s_branch .LBB75_38
.LBB75_48:
	v_cmp_eq_u32_e32 vcc, 0, v4
	v_cmp_lt_i64_e64 s[2:3], v[6:7], v[8:9]
	s_and_b64 s[24:25], vcc, s[2:3]
	s_mul_i32 s7, s23, s6
	s_mul_hi_u32 s19, s22, s6
	s_mul_i32 s2, s22, s6
	s_waitcnt lgkmcnt(0)
	s_barrier
	s_and_saveexec_b64 s[12:13], s[24:25]
	s_cbranch_execz .LBB75_52
; %bb.49:
	s_load_dwordx2 s[4:5], s[4:5], 0x20
	ds_read_b32 v1, v1
	s_waitcnt lgkmcnt(0)
	s_cmp_eq_u64 s[4:5], 0
	s_cbranch_scc1 .LBB75_51
; %bb.50:
	s_load_dword s3, s[4:5], 0x0
	v_max_f32_e32 v1, v1, v1
	s_waitcnt lgkmcnt(0)
	v_max_f32_e64 v4, s3, s3
	v_min_f32_e32 v1, v1, v4
.LBB75_51:
	s_mov_b32 s3, 0x43e00000
	v_div_scale_f32 v4, s[4:5], s3, s3, v1
	v_rcp_f32_e32 v5, v4
	v_div_scale_f32 v6, vcc, v1, s3, v1
	v_lshlrev_b64 v[2:3], 2, v[2:3]
	v_fma_f32 v7, -v4, v5, 1.0
	v_fmac_f32_e32 v5, v7, v5
	v_mul_f32_e32 v7, v6, v5
	v_fma_f32 v8, -v4, v7, v6
	v_fmac_f32_e32 v7, v8, v5
	v_fma_f32 v4, -v4, v7, v6
	v_div_fmas_f32 v4, v4, v5, v7
	v_div_fixup_f32 v1, v4, s3, v1
	s_add_i32 s3, s19, s7
	s_lshl_b64 s[4:5], s[2:3], 2
	s_add_u32 s3, s10, s4
	s_addc_u32 s4, s11, s5
	v_mov_b32_e32 v4, s4
	v_add_co_u32_e32 v2, vcc, s3, v2
	v_max_f32_e32 v1, 0x36924925, v1
	v_addc_co_u32_e32 v3, vcc, v4, v3, vcc
	global_store_dword v[2:3], v1, off
.LBB75_52:
	s_or_b64 exec, exec, s[12:13]
	s_barrier
	s_and_saveexec_b64 s[4:5], s[0:1]
	s_cbranch_execz .LBB75_157
; %bb.53:
	s_mul_i32 s0, s21, s6
	s_mul_hi_u32 s1, s17, s6
	s_add_i32 s1, s1, s0
	s_mul_i32 s0, s17, s6
	s_add_u32 s16, s8, s0
	s_addc_u32 s17, s9, s1
	s_add_i32 s3, s19, s7
	s_lshl_b64 s[0:1], s[2:3], 2
	s_add_u32 s0, s10, s0
	s_addc_u32 s1, s11, s1
	s_mul_i32 s19, s43, 3
	s_lshl_b32 s20, s43, 1
	s_mov_b64 s[2:3], 0
	v_mov_b32_e32 v1, 0
	v_mov_b32_e32 v10, s42
	;; [unrolled: 1-line block ×3, first 2 shown]
	s_movk_i32 s21, 0x7fff
	v_mov_b32_e32 v12, 0x7fc00000
	s_mov_b32 s22, 0x43f00000
	s_mov_b32 s23, 0x3c7fffff
	;; [unrolled: 1-line block ×4, first 2 shown]
	s_movk_i32 s26, 0x80
	s_movk_i32 s27, 0xff
	s_branch .LBB75_59
.LBB75_54:                              ;   in Loop: Header=BB75_59 Depth=1
	s_or_b64 exec, exec, s[12:13]
.LBB75_55:                              ;   in Loop: Header=BB75_59 Depth=1
	s_or_b64 exec, exec, s[10:11]
	v_and_b32_sdwa v7, v15, s26 dst_sel:DWORD dst_unused:UNUSED_PAD src0_sel:BYTE_3 src1_sel:DWORD
	v_and_b32_sdwa v8, v14, s26 dst_sel:DWORD dst_unused:UNUSED_PAD src0_sel:BYTE_3 src1_sel:DWORD
	v_lshlrev_b64 v[14:15], 2, v[0:1]
	v_mov_b32_e32 v0, s17
	v_add_co_u32_e32 v14, vcc, s16, v14
	v_and_or_b32 v4, v4, s27, v7
	v_addc_co_u32_e32 v15, vcc, v0, v15, vcc
	v_lshlrev_b32_e32 v0, 24, v6
	v_and_b32_e32 v5, 0x80000000, v5
	v_lshlrev_b32_e32 v4, 16, v4
	v_lshrrev_b32_e32 v13, 24, v13
	v_or3_b32 v0, v5, v0, v4
	v_and_or_b32 v3, v3, s27, v8
	v_and_b32_e32 v4, 0xff, v9
	v_lshlrev_b32_e32 v3, 8, v3
	v_and_or_b32 v4, v13, s26, v4
	s_add_i32 s10, s43, s43
	v_or3_b32 v0, v0, v3, v4
	s_add_i32 s10, s10, s43
	global_store_dword v[14:15], v0, off
	v_add_u32_e32 v0, s10, v2
	v_cmp_le_u32_e32 vcc, s18, v0
	s_orn2_b64 s[10:11], vcc, exec
.LBB75_56:                              ;   in Loop: Header=BB75_59 Depth=1
	s_or_b64 exec, exec, s[8:9]
	s_orn2_b64 s[8:9], s[10:11], exec
.LBB75_57:                              ;   in Loop: Header=BB75_59 Depth=1
	s_or_b64 exec, exec, s[6:7]
	s_orn2_b64 s[6:7], s[8:9], exec
.LBB75_58:                              ;   in Loop: Header=BB75_59 Depth=1
	s_or_b64 exec, exec, s[4:5]
	s_and_b64 s[4:5], exec, s[6:7]
	s_or_b64 s[2:3], s[4:5], s[2:3]
	s_andn2_b64 exec, exec, s[2:3]
	s_cbranch_execz .LBB75_157
.LBB75_59:                              ; =>This Inner Loop Header: Depth=1
	v_lshlrev_b64 v[2:3], 3, v[0:1]
	v_add_co_u32_e32 v4, vcc, s33, v2
	v_addc_co_u32_e32 v5, vcc, v10, v3, vcc
	global_load_dwordx2 v[4:5], v[4:5], off
	v_add_co_u32_e32 v2, vcc, s14, v2
	v_addc_co_u32_e32 v3, vcc, v11, v3, vcc
	global_load_dwordx2 v[2:3], v[2:3], off
	v_lshrrev_b32_e32 v6, 3, v0
	v_and_b32_e32 v6, 0x7fffffc, v6
	global_load_dword v7, v6, s[0:1]
	s_waitcnt vmcnt(2)
	v_lshlrev_b32_e32 v6, 16, v4
	v_mul_f32_e32 v6, v36, v6
	v_bfe_u32 v9, v6, 16, 1
	v_add3_u32 v9, v6, v9, s21
	v_and_b32_e32 v9, 0xffff0000, v9
	v_cmp_o_f32_e32 vcc, v6, v6
	s_waitcnt vmcnt(1)
	v_lshlrev_b32_e32 v8, 16, v2
	v_cndmask_b32_e32 v6, v12, v9, vcc
	v_mul_f32_e32 v6, v6, v8
	v_bfe_u32 v8, v6, 16, 1
	v_add3_u32 v8, v6, v8, s21
	v_and_b32_e32 v8, 0xffff0000, v8
	v_cmp_o_f32_e32 vcc, v6, v6
	v_cndmask_b32_e32 v8, v12, v8, vcc
	s_waitcnt vmcnt(0)
	v_div_scale_f32 v9, s[4:5], v7, v7, v8
	v_rcp_f32_e32 v13, v9
	v_div_scale_f32 v14, vcc, v8, v7, v8
	v_mov_b32_e32 v6, 0x7f
	v_fma_f32 v15, -v9, v13, 1.0
	v_fmac_f32_e32 v13, v15, v13
	v_mul_f32_e32 v15, v14, v13
	v_fma_f32 v16, -v9, v15, v14
	v_fmac_f32_e32 v15, v16, v13
	v_fma_f32 v9, -v9, v15, v14
	v_div_fmas_f32 v9, v9, v13, v15
	v_div_fixup_f32 v8, v9, v7, v8
	v_min_f32_e32 v8, 0x43e00000, v8
	v_max_f32_e32 v9, 0xc3e00000, v8
	v_and_b32_e32 v13, 0x7fffffff, v9
	v_cmp_gt_u32_e32 vcc, s22, v13
	v_mov_b32_e32 v8, 0x7f
	s_and_saveexec_b64 s[4:5], vcc
	s_cbranch_execz .LBB75_65
; %bb.60:                               ;   in Loop: Header=BB75_59 Depth=1
	v_cmp_lt_u32_e32 vcc, s23, v13
                                        ; implicit-def: $vgpr8
	s_and_saveexec_b64 s[6:7], vcc
	s_xor_b64 s[6:7], exec, s[6:7]
; %bb.61:                               ;   in Loop: Header=BB75_59 Depth=1
	v_bfe_u32 v8, v9, 20, 1
	v_add3_u32 v8, v9, v8, s24
	v_lshrrev_b32_e32 v8, 20, v8
; %bb.62:                               ;   in Loop: Header=BB75_59 Depth=1
	s_andn2_saveexec_b64 s[6:7], s[6:7]
; %bb.63:                               ;   in Loop: Header=BB75_59 Depth=1
	v_add_f32_e64 v8, |v9|, s25
; %bb.64:                               ;   in Loop: Header=BB75_59 Depth=1
	s_or_b64 exec, exec, s[6:7]
.LBB75_65:                              ;   in Loop: Header=BB75_59 Depth=1
	s_or_b64 exec, exec, s[4:5]
	v_and_b32_e32 v13, 0xffff0000, v4
	v_mul_f32_e32 v13, v36, v13
	v_bfe_u32 v15, v13, 16, 1
	v_add3_u32 v15, v13, v15, s21
	v_and_b32_e32 v15, 0xffff0000, v15
	v_cmp_o_f32_e32 vcc, v13, v13
	v_and_b32_e32 v14, 0xffff0000, v2
	v_cndmask_b32_e32 v13, v12, v15, vcc
	v_mul_f32_e32 v13, v13, v14
	v_bfe_u32 v14, v13, 16, 1
	v_add3_u32 v14, v13, v14, s21
	v_and_b32_e32 v14, 0xffff0000, v14
	v_cmp_o_f32_e32 vcc, v13, v13
	v_cndmask_b32_e32 v13, v12, v14, vcc
	v_div_scale_f32 v14, s[4:5], v7, v7, v13
	v_rcp_f32_e32 v15, v14
	v_fma_f32 v16, -v14, v15, 1.0
	v_fmac_f32_e32 v15, v16, v15
	v_div_scale_f32 v16, vcc, v13, v7, v13
	v_mul_f32_e32 v17, v16, v15
	v_fma_f32 v18, -v14, v17, v16
	v_fmac_f32_e32 v17, v18, v15
	v_fma_f32 v14, -v14, v17, v16
	v_div_fmas_f32 v14, v14, v15, v17
	v_div_fixup_f32 v13, v14, v7, v13
	v_min_f32_e32 v13, 0x43e00000, v13
	v_max_f32_e32 v13, 0xc3e00000, v13
	v_and_b32_e32 v14, 0x7fffffff, v13
	v_cmp_gt_u32_e32 vcc, s22, v14
	s_and_saveexec_b64 s[4:5], vcc
	s_cbranch_execz .LBB75_71
; %bb.66:                               ;   in Loop: Header=BB75_59 Depth=1
	v_cmp_lt_u32_e32 vcc, s23, v14
                                        ; implicit-def: $vgpr6
	s_and_saveexec_b64 s[6:7], vcc
	s_xor_b64 s[6:7], exec, s[6:7]
; %bb.67:                               ;   in Loop: Header=BB75_59 Depth=1
	v_bfe_u32 v6, v13, 20, 1
	v_add3_u32 v6, v13, v6, s24
	v_lshrrev_b32_e32 v6, 20, v6
; %bb.68:                               ;   in Loop: Header=BB75_59 Depth=1
	s_andn2_saveexec_b64 s[6:7], s[6:7]
; %bb.69:                               ;   in Loop: Header=BB75_59 Depth=1
	v_add_f32_e64 v6, |v13|, s25
; %bb.70:                               ;   in Loop: Header=BB75_59 Depth=1
	s_or_b64 exec, exec, s[6:7]
.LBB75_71:                              ;   in Loop: Header=BB75_59 Depth=1
	s_or_b64 exec, exec, s[4:5]
	v_alignbit_b32 v4, v5, v4, 16
	v_and_b32_e32 v4, 0xffff0000, v4
	v_mul_f32_e32 v4, v36, v4
	v_bfe_u32 v14, v4, 16, 1
	v_add3_u32 v14, v4, v14, s21
	v_and_b32_e32 v14, 0xffff0000, v14
	v_cmp_o_f32_e32 vcc, v4, v4
	v_alignbit_b32 v2, v3, v2, 16
	v_cndmask_b32_e32 v4, v12, v14, vcc
	v_and_b32_e32 v2, 0xffff0000, v2
	v_mul_f32_e32 v2, v4, v2
	v_bfe_u32 v4, v2, 16, 1
	v_add3_u32 v4, v2, v4, s21
	v_and_b32_e32 v4, 0xffff0000, v4
	v_cmp_o_f32_e32 vcc, v2, v2
	v_cndmask_b32_e32 v2, v12, v4, vcc
	v_div_scale_f32 v4, s[4:5], v7, v7, v2
	v_rcp_f32_e32 v14, v4
	v_fma_f32 v15, -v4, v14, 1.0
	v_fmac_f32_e32 v14, v15, v14
	v_div_scale_f32 v15, vcc, v2, v7, v2
	v_mul_f32_e32 v16, v15, v14
	v_fma_f32 v17, -v4, v16, v15
	v_fmac_f32_e32 v16, v17, v14
	v_fma_f32 v4, -v4, v16, v15
	v_div_fmas_f32 v4, v4, v14, v16
	v_div_fixup_f32 v2, v4, v7, v2
	v_min_f32_e32 v2, 0x43e00000, v2
	v_max_f32_e32 v14, 0xc3e00000, v2
	v_and_b32_e32 v15, 0x7fffffff, v14
	v_cmp_gt_u32_e32 vcc, s22, v15
	v_mov_b32_e32 v4, 0x7f
	v_mov_b32_e32 v2, 0x7f
	s_and_saveexec_b64 s[4:5], vcc
	s_cbranch_execz .LBB75_77
; %bb.72:                               ;   in Loop: Header=BB75_59 Depth=1
	v_cmp_lt_u32_e32 vcc, s23, v15
                                        ; implicit-def: $vgpr2
	s_and_saveexec_b64 s[6:7], vcc
	s_xor_b64 s[6:7], exec, s[6:7]
; %bb.73:                               ;   in Loop: Header=BB75_59 Depth=1
	v_bfe_u32 v2, v14, 20, 1
	v_add3_u32 v2, v14, v2, s24
	v_lshrrev_b32_e32 v2, 20, v2
; %bb.74:                               ;   in Loop: Header=BB75_59 Depth=1
	s_andn2_saveexec_b64 s[6:7], s[6:7]
; %bb.75:                               ;   in Loop: Header=BB75_59 Depth=1
	v_add_f32_e64 v2, |v14|, s25
; %bb.76:                               ;   in Loop: Header=BB75_59 Depth=1
	s_or_b64 exec, exec, s[6:7]
.LBB75_77:                              ;   in Loop: Header=BB75_59 Depth=1
	s_or_b64 exec, exec, s[4:5]
	v_and_b32_e32 v5, 0xffff0000, v5
	v_mul_f32_e32 v5, v36, v5
	v_bfe_u32 v15, v5, 16, 1
	v_add3_u32 v15, v5, v15, s21
	v_and_b32_e32 v15, 0xffff0000, v15
	v_cmp_o_f32_e32 vcc, v5, v5
	v_cndmask_b32_e32 v5, v12, v15, vcc
	v_and_b32_e32 v3, 0xffff0000, v3
	v_mul_f32_e32 v3, v5, v3
	v_bfe_u32 v5, v3, 16, 1
	v_add3_u32 v5, v3, v5, s21
	v_and_b32_e32 v5, 0xffff0000, v5
	v_cmp_o_f32_e32 vcc, v3, v3
	v_cndmask_b32_e32 v3, v12, v5, vcc
	v_div_scale_f32 v5, s[4:5], v7, v7, v3
	v_rcp_f32_e32 v15, v5
	v_fma_f32 v16, -v5, v15, 1.0
	v_fmac_f32_e32 v15, v16, v15
	v_div_scale_f32 v16, vcc, v3, v7, v3
	v_mul_f32_e32 v17, v16, v15
	v_fma_f32 v18, -v5, v17, v16
	v_fmac_f32_e32 v17, v18, v15
	v_fma_f32 v5, -v5, v17, v16
	v_div_fmas_f32 v5, v5, v15, v17
	v_div_fixup_f32 v3, v5, v7, v3
	v_min_f32_e32 v3, 0x43e00000, v3
	v_max_f32_e32 v3, 0xc3e00000, v3
	v_and_b32_e32 v5, 0x7fffffff, v3
	v_cmp_gt_u32_e32 vcc, s22, v5
	s_and_saveexec_b64 s[4:5], vcc
	s_cbranch_execz .LBB75_83
; %bb.78:                               ;   in Loop: Header=BB75_59 Depth=1
	v_cmp_lt_u32_e32 vcc, s23, v5
                                        ; implicit-def: $vgpr4
	s_and_saveexec_b64 s[6:7], vcc
	s_xor_b64 s[6:7], exec, s[6:7]
; %bb.79:                               ;   in Loop: Header=BB75_59 Depth=1
	v_bfe_u32 v4, v3, 20, 1
	v_add3_u32 v4, v3, v4, s24
	v_lshrrev_b32_e32 v4, 20, v4
; %bb.80:                               ;   in Loop: Header=BB75_59 Depth=1
	s_andn2_saveexec_b64 s[6:7], s[6:7]
; %bb.81:                               ;   in Loop: Header=BB75_59 Depth=1
	v_add_f32_e64 v4, |v3|, s25
; %bb.82:                               ;   in Loop: Header=BB75_59 Depth=1
	s_or_b64 exec, exec, s[6:7]
.LBB75_83:                              ;   in Loop: Header=BB75_59 Depth=1
	s_or_b64 exec, exec, s[4:5]
	v_and_b32_sdwa v5, v14, s26 dst_sel:DWORD dst_unused:UNUSED_PAD src0_sel:BYTE_3 src1_sel:DWORD
	v_and_or_b32 v2, v2, s27, v5
	v_and_b32_sdwa v7, v13, s26 dst_sel:DWORD dst_unused:UNUSED_PAD src0_sel:BYTE_3 src1_sel:DWORD
	v_lshlrev_b32_e32 v4, 24, v4
	v_and_b32_e32 v3, 0x80000000, v3
	v_lshlrev_b32_e32 v2, 16, v2
	v_lshrrev_b32_e32 v9, 24, v9
	v_lshlrev_b64 v[14:15], 2, v[0:1]
	v_or3_b32 v2, v3, v4, v2
	v_and_or_b32 v3, v6, s27, v7
	v_and_b32_e32 v4, 0xff, v8
	v_mov_b32_e32 v13, s17
	v_add_co_u32_e32 v14, vcc, s16, v14
	v_lshlrev_b32_e32 v3, 8, v3
	v_and_or_b32 v4, v9, s26, v4
	v_addc_co_u32_e32 v15, vcc, v13, v15, vcc
	v_or3_b32 v2, v2, v3, v4
	global_store_dword v[14:15], v2, off
	v_add_u32_e32 v2, s43, v0
	v_cmp_gt_u32_e32 vcc, s18, v2
	s_mov_b64 s[6:7], -1
	s_and_saveexec_b64 s[4:5], vcc
	s_cbranch_execz .LBB75_58
; %bb.84:                               ;   in Loop: Header=BB75_59 Depth=1
	v_mov_b32_e32 v3, v1
	v_lshlrev_b64 v[6:7], 3, v[2:3]
	v_mov_b32_e32 v5, s42
	v_add_co_u32_e32 v4, vcc, s33, v6
	v_addc_co_u32_e32 v5, vcc, v5, v7, vcc
	global_load_dwordx2 v[4:5], v[4:5], off
	v_mov_b32_e32 v8, s15
	v_add_co_u32_e32 v6, vcc, s14, v6
	v_addc_co_u32_e32 v7, vcc, v8, v7, vcc
	global_load_dwordx2 v[6:7], v[6:7], off
	v_lshrrev_b32_e32 v8, 3, v2
	v_and_b32_e32 v8, 0x7fffffc, v8
	global_load_dword v9, v8, s[0:1]
	s_waitcnt vmcnt(2)
	v_lshlrev_b32_e32 v8, 16, v4
	v_mul_f32_e32 v8, v36, v8
	v_bfe_u32 v14, v8, 16, 1
	v_add3_u32 v14, v8, v14, s21
	v_and_b32_e32 v14, 0xffff0000, v14
	v_cmp_o_f32_e32 vcc, v8, v8
	s_waitcnt vmcnt(1)
	v_lshlrev_b32_e32 v13, 16, v6
	v_cndmask_b32_e32 v8, v12, v14, vcc
	v_mul_f32_e32 v8, v8, v13
	v_bfe_u32 v13, v8, 16, 1
	v_add3_u32 v13, v8, v13, s21
	v_and_b32_e32 v13, 0xffff0000, v13
	v_cmp_o_f32_e32 vcc, v8, v8
	v_cndmask_b32_e32 v13, v12, v13, vcc
	s_waitcnt vmcnt(0)
	v_div_scale_f32 v14, s[6:7], v9, v9, v13
	v_rcp_f32_e32 v15, v14
	v_div_scale_f32 v16, vcc, v13, v9, v13
	v_mov_b32_e32 v8, 0x7f
	v_fma_f32 v17, -v14, v15, 1.0
	v_fmac_f32_e32 v15, v17, v15
	v_mul_f32_e32 v17, v16, v15
	v_fma_f32 v18, -v14, v17, v16
	v_fmac_f32_e32 v17, v18, v15
	v_fma_f32 v14, -v14, v17, v16
	v_div_fmas_f32 v14, v14, v15, v17
	v_div_fixup_f32 v13, v14, v9, v13
	v_min_f32_e32 v13, 0x43e00000, v13
	v_max_f32_e32 v14, 0xc3e00000, v13
	v_and_b32_e32 v15, 0x7fffffff, v14
	v_cmp_gt_u32_e32 vcc, s22, v15
	v_mov_b32_e32 v13, 0x7f
	s_and_saveexec_b64 s[6:7], vcc
	s_cbranch_execz .LBB75_90
; %bb.85:                               ;   in Loop: Header=BB75_59 Depth=1
	v_cmp_lt_u32_e32 vcc, s23, v15
                                        ; implicit-def: $vgpr13
	s_and_saveexec_b64 s[8:9], vcc
	s_xor_b64 s[8:9], exec, s[8:9]
; %bb.86:                               ;   in Loop: Header=BB75_59 Depth=1
	v_bfe_u32 v13, v14, 20, 1
	v_add3_u32 v13, v14, v13, s24
	v_lshrrev_b32_e32 v13, 20, v13
; %bb.87:                               ;   in Loop: Header=BB75_59 Depth=1
	s_andn2_saveexec_b64 s[8:9], s[8:9]
; %bb.88:                               ;   in Loop: Header=BB75_59 Depth=1
	v_add_f32_e64 v13, |v14|, s25
; %bb.89:                               ;   in Loop: Header=BB75_59 Depth=1
	s_or_b64 exec, exec, s[8:9]
.LBB75_90:                              ;   in Loop: Header=BB75_59 Depth=1
	s_or_b64 exec, exec, s[6:7]
	v_and_b32_e32 v15, 0xffff0000, v4
	v_mul_f32_e32 v15, v36, v15
	v_bfe_u32 v17, v15, 16, 1
	v_add3_u32 v17, v15, v17, s21
	v_and_b32_e32 v17, 0xffff0000, v17
	v_cmp_o_f32_e32 vcc, v15, v15
	v_and_b32_e32 v16, 0xffff0000, v6
	v_cndmask_b32_e32 v15, v12, v17, vcc
	v_mul_f32_e32 v15, v15, v16
	v_bfe_u32 v16, v15, 16, 1
	v_add3_u32 v16, v15, v16, s21
	v_and_b32_e32 v16, 0xffff0000, v16
	v_cmp_o_f32_e32 vcc, v15, v15
	v_cndmask_b32_e32 v15, v12, v16, vcc
	v_div_scale_f32 v16, s[6:7], v9, v9, v15
	v_rcp_f32_e32 v17, v16
	v_fma_f32 v18, -v16, v17, 1.0
	v_fmac_f32_e32 v17, v18, v17
	v_div_scale_f32 v18, vcc, v15, v9, v15
	v_mul_f32_e32 v19, v18, v17
	v_fma_f32 v20, -v16, v19, v18
	v_fmac_f32_e32 v19, v20, v17
	v_fma_f32 v16, -v16, v19, v18
	v_div_fmas_f32 v16, v16, v17, v19
	v_div_fixup_f32 v15, v16, v9, v15
	v_min_f32_e32 v15, 0x43e00000, v15
	v_max_f32_e32 v15, 0xc3e00000, v15
	v_and_b32_e32 v16, 0x7fffffff, v15
	v_cmp_gt_u32_e32 vcc, s22, v16
	s_and_saveexec_b64 s[6:7], vcc
	s_cbranch_execz .LBB75_96
; %bb.91:                               ;   in Loop: Header=BB75_59 Depth=1
	v_cmp_lt_u32_e32 vcc, s23, v16
                                        ; implicit-def: $vgpr8
	s_and_saveexec_b64 s[8:9], vcc
	s_xor_b64 s[8:9], exec, s[8:9]
; %bb.92:                               ;   in Loop: Header=BB75_59 Depth=1
	v_bfe_u32 v8, v15, 20, 1
	v_add3_u32 v8, v15, v8, s24
	v_lshrrev_b32_e32 v8, 20, v8
; %bb.93:                               ;   in Loop: Header=BB75_59 Depth=1
	s_andn2_saveexec_b64 s[8:9], s[8:9]
; %bb.94:                               ;   in Loop: Header=BB75_59 Depth=1
	v_add_f32_e64 v8, |v15|, s25
; %bb.95:                               ;   in Loop: Header=BB75_59 Depth=1
	s_or_b64 exec, exec, s[8:9]
.LBB75_96:                              ;   in Loop: Header=BB75_59 Depth=1
	s_or_b64 exec, exec, s[6:7]
	v_alignbit_b32 v4, v5, v4, 16
	v_and_b32_e32 v4, 0xffff0000, v4
	v_mul_f32_e32 v4, v36, v4
	v_bfe_u32 v16, v4, 16, 1
	v_add3_u32 v16, v4, v16, s21
	v_and_b32_e32 v16, 0xffff0000, v16
	v_cmp_o_f32_e32 vcc, v4, v4
	v_alignbit_b32 v6, v7, v6, 16
	v_cndmask_b32_e32 v4, v12, v16, vcc
	v_and_b32_e32 v6, 0xffff0000, v6
	v_mul_f32_e32 v4, v4, v6
	v_bfe_u32 v6, v4, 16, 1
	v_add3_u32 v6, v4, v6, s21
	v_and_b32_e32 v6, 0xffff0000, v6
	v_cmp_o_f32_e32 vcc, v4, v4
	v_cndmask_b32_e32 v4, v12, v6, vcc
	v_div_scale_f32 v6, s[6:7], v9, v9, v4
	v_rcp_f32_e32 v16, v6
	v_fma_f32 v17, -v6, v16, 1.0
	v_fmac_f32_e32 v16, v17, v16
	v_div_scale_f32 v17, vcc, v4, v9, v4
	v_mul_f32_e32 v18, v17, v16
	v_fma_f32 v19, -v6, v18, v17
	v_fmac_f32_e32 v18, v19, v16
	v_fma_f32 v6, -v6, v18, v17
	v_div_fmas_f32 v6, v6, v16, v18
	v_div_fixup_f32 v4, v6, v9, v4
	v_min_f32_e32 v4, 0x43e00000, v4
	v_max_f32_e32 v16, 0xc3e00000, v4
	v_and_b32_e32 v17, 0x7fffffff, v16
	v_cmp_gt_u32_e32 vcc, s22, v17
	v_mov_b32_e32 v6, 0x7f
	v_mov_b32_e32 v4, 0x7f
	s_and_saveexec_b64 s[6:7], vcc
	s_cbranch_execz .LBB75_102
; %bb.97:                               ;   in Loop: Header=BB75_59 Depth=1
	v_cmp_lt_u32_e32 vcc, s23, v17
                                        ; implicit-def: $vgpr4
	s_and_saveexec_b64 s[8:9], vcc
	s_xor_b64 s[8:9], exec, s[8:9]
; %bb.98:                               ;   in Loop: Header=BB75_59 Depth=1
	v_bfe_u32 v4, v16, 20, 1
	v_add3_u32 v4, v16, v4, s24
	v_lshrrev_b32_e32 v4, 20, v4
; %bb.99:                               ;   in Loop: Header=BB75_59 Depth=1
	s_andn2_saveexec_b64 s[8:9], s[8:9]
; %bb.100:                              ;   in Loop: Header=BB75_59 Depth=1
	v_add_f32_e64 v4, |v16|, s25
; %bb.101:                              ;   in Loop: Header=BB75_59 Depth=1
	s_or_b64 exec, exec, s[8:9]
.LBB75_102:                             ;   in Loop: Header=BB75_59 Depth=1
	s_or_b64 exec, exec, s[6:7]
	v_and_b32_e32 v5, 0xffff0000, v5
	v_mul_f32_e32 v5, v36, v5
	v_bfe_u32 v17, v5, 16, 1
	v_add3_u32 v17, v5, v17, s21
	v_and_b32_e32 v17, 0xffff0000, v17
	v_cmp_o_f32_e32 vcc, v5, v5
	v_cndmask_b32_e32 v5, v12, v17, vcc
	v_and_b32_e32 v7, 0xffff0000, v7
	v_mul_f32_e32 v5, v5, v7
	v_bfe_u32 v7, v5, 16, 1
	v_add3_u32 v7, v5, v7, s21
	v_and_b32_e32 v7, 0xffff0000, v7
	v_cmp_o_f32_e32 vcc, v5, v5
	v_cndmask_b32_e32 v5, v12, v7, vcc
	v_div_scale_f32 v7, s[6:7], v9, v9, v5
	v_rcp_f32_e32 v17, v7
	v_fma_f32 v18, -v7, v17, 1.0
	v_fmac_f32_e32 v17, v18, v17
	v_div_scale_f32 v18, vcc, v5, v9, v5
	v_mul_f32_e32 v19, v18, v17
	v_fma_f32 v20, -v7, v19, v18
	v_fmac_f32_e32 v19, v20, v17
	v_fma_f32 v7, -v7, v19, v18
	v_div_fmas_f32 v7, v7, v17, v19
	v_div_fixup_f32 v5, v7, v9, v5
	v_min_f32_e32 v5, 0x43e00000, v5
	v_max_f32_e32 v5, 0xc3e00000, v5
	v_and_b32_e32 v7, 0x7fffffff, v5
	v_cmp_gt_u32_e32 vcc, s22, v7
	s_and_saveexec_b64 s[6:7], vcc
	s_cbranch_execz .LBB75_108
; %bb.103:                              ;   in Loop: Header=BB75_59 Depth=1
	v_cmp_lt_u32_e32 vcc, s23, v7
                                        ; implicit-def: $vgpr6
	s_and_saveexec_b64 s[8:9], vcc
	s_xor_b64 s[8:9], exec, s[8:9]
; %bb.104:                              ;   in Loop: Header=BB75_59 Depth=1
	v_bfe_u32 v6, v5, 20, 1
	v_add3_u32 v6, v5, v6, s24
	v_lshrrev_b32_e32 v6, 20, v6
; %bb.105:                              ;   in Loop: Header=BB75_59 Depth=1
	s_andn2_saveexec_b64 s[8:9], s[8:9]
; %bb.106:                              ;   in Loop: Header=BB75_59 Depth=1
	v_add_f32_e64 v6, |v5|, s25
; %bb.107:                              ;   in Loop: Header=BB75_59 Depth=1
	s_or_b64 exec, exec, s[8:9]
.LBB75_108:                             ;   in Loop: Header=BB75_59 Depth=1
	s_or_b64 exec, exec, s[6:7]
	v_and_b32_sdwa v7, v16, s26 dst_sel:DWORD dst_unused:UNUSED_PAD src0_sel:BYTE_3 src1_sel:DWORD
	v_and_b32_sdwa v9, v15, s26 dst_sel:DWORD dst_unused:UNUSED_PAD src0_sel:BYTE_3 src1_sel:DWORD
	v_lshrrev_b32_e32 v16, 24, v14
	v_lshlrev_b64 v[14:15], 2, v[2:3]
	v_mov_b32_e32 v3, s17
	v_add_co_u32_e32 v14, vcc, s16, v14
	v_and_or_b32 v4, v4, s27, v7
	v_addc_co_u32_e32 v15, vcc, v3, v15, vcc
	v_lshlrev_b32_e32 v3, 24, v6
	v_and_b32_e32 v5, 0x80000000, v5
	v_lshlrev_b32_e32 v4, 16, v4
	v_or3_b32 v3, v5, v3, v4
	v_and_or_b32 v4, v8, s27, v9
	v_and_b32_e32 v5, 0xff, v13
	v_lshlrev_b32_e32 v4, 8, v4
	v_and_or_b32 v5, v16, s26, v5
	v_or3_b32 v3, v3, v4, v5
	v_add_u32_e32 v4, s20, v0
	v_cmp_gt_u32_e32 vcc, s18, v4
	s_mov_b64 s[8:9], -1
	global_store_dword v[14:15], v3, off
	s_and_saveexec_b64 s[6:7], vcc
	s_cbranch_execz .LBB75_57
; %bb.109:                              ;   in Loop: Header=BB75_59 Depth=1
	v_mov_b32_e32 v5, v1
	v_lshlrev_b64 v[8:9], 3, v[4:5]
	v_mov_b32_e32 v3, s42
	v_add_co_u32_e32 v6, vcc, s33, v8
	v_addc_co_u32_e32 v7, vcc, v3, v9, vcc
	global_load_dwordx2 v[6:7], v[6:7], off
	v_mov_b32_e32 v3, s15
	v_add_co_u32_e32 v8, vcc, s14, v8
	v_addc_co_u32_e32 v9, vcc, v3, v9, vcc
	global_load_dwordx2 v[8:9], v[8:9], off
	v_lshrrev_b32_e32 v3, 3, v4
	v_and_b32_e32 v3, 0x7fffffc, v3
	global_load_dword v13, v3, s[0:1]
	s_waitcnt vmcnt(2)
	v_lshlrev_b32_e32 v3, 16, v6
	v_mul_f32_e32 v3, v36, v3
	v_bfe_u32 v15, v3, 16, 1
	v_add3_u32 v15, v3, v15, s21
	v_and_b32_e32 v15, 0xffff0000, v15
	v_cmp_o_f32_e32 vcc, v3, v3
	s_waitcnt vmcnt(1)
	v_lshlrev_b32_e32 v14, 16, v8
	v_cndmask_b32_e32 v3, v12, v15, vcc
	v_mul_f32_e32 v3, v3, v14
	v_bfe_u32 v14, v3, 16, 1
	v_add3_u32 v14, v3, v14, s21
	v_and_b32_e32 v14, 0xffff0000, v14
	v_cmp_o_f32_e32 vcc, v3, v3
	v_cndmask_b32_e32 v14, v12, v14, vcc
	s_waitcnt vmcnt(0)
	v_div_scale_f32 v15, s[8:9], v13, v13, v14
	v_rcp_f32_e32 v16, v15
	v_div_scale_f32 v17, vcc, v14, v13, v14
	v_mov_b32_e32 v3, 0x7f
	v_fma_f32 v18, -v15, v16, 1.0
	v_fmac_f32_e32 v16, v18, v16
	v_mul_f32_e32 v18, v17, v16
	v_fma_f32 v19, -v15, v18, v17
	v_fmac_f32_e32 v18, v19, v16
	v_fma_f32 v15, -v15, v18, v17
	v_div_fmas_f32 v15, v15, v16, v18
	v_div_fixup_f32 v14, v15, v13, v14
	v_min_f32_e32 v14, 0x43e00000, v14
	v_max_f32_e32 v15, 0xc3e00000, v14
	v_and_b32_e32 v16, 0x7fffffff, v15
	v_cmp_gt_u32_e32 vcc, s22, v16
	v_mov_b32_e32 v14, 0x7f
	s_and_saveexec_b64 s[8:9], vcc
	s_cbranch_execz .LBB75_115
; %bb.110:                              ;   in Loop: Header=BB75_59 Depth=1
	v_cmp_lt_u32_e32 vcc, s23, v16
                                        ; implicit-def: $vgpr14
	s_and_saveexec_b64 s[10:11], vcc
	s_xor_b64 s[10:11], exec, s[10:11]
; %bb.111:                              ;   in Loop: Header=BB75_59 Depth=1
	v_bfe_u32 v14, v15, 20, 1
	v_add3_u32 v14, v15, v14, s24
	v_lshrrev_b32_e32 v14, 20, v14
; %bb.112:                              ;   in Loop: Header=BB75_59 Depth=1
	s_andn2_saveexec_b64 s[10:11], s[10:11]
; %bb.113:                              ;   in Loop: Header=BB75_59 Depth=1
	v_add_f32_e64 v14, |v15|, s25
; %bb.114:                              ;   in Loop: Header=BB75_59 Depth=1
	s_or_b64 exec, exec, s[10:11]
.LBB75_115:                             ;   in Loop: Header=BB75_59 Depth=1
	s_or_b64 exec, exec, s[8:9]
	v_and_b32_e32 v16, 0xffff0000, v6
	v_mul_f32_e32 v16, v36, v16
	v_bfe_u32 v18, v16, 16, 1
	v_add3_u32 v18, v16, v18, s21
	v_and_b32_e32 v18, 0xffff0000, v18
	v_cmp_o_f32_e32 vcc, v16, v16
	v_and_b32_e32 v17, 0xffff0000, v8
	v_cndmask_b32_e32 v16, v12, v18, vcc
	v_mul_f32_e32 v16, v16, v17
	v_bfe_u32 v17, v16, 16, 1
	v_add3_u32 v17, v16, v17, s21
	v_and_b32_e32 v17, 0xffff0000, v17
	v_cmp_o_f32_e32 vcc, v16, v16
	v_cndmask_b32_e32 v16, v12, v17, vcc
	v_div_scale_f32 v17, s[8:9], v13, v13, v16
	v_rcp_f32_e32 v18, v17
	v_fma_f32 v19, -v17, v18, 1.0
	v_fmac_f32_e32 v18, v19, v18
	v_div_scale_f32 v19, vcc, v16, v13, v16
	v_mul_f32_e32 v20, v19, v18
	v_fma_f32 v21, -v17, v20, v19
	v_fmac_f32_e32 v20, v21, v18
	v_fma_f32 v17, -v17, v20, v19
	v_div_fmas_f32 v17, v17, v18, v20
	v_div_fixup_f32 v16, v17, v13, v16
	v_min_f32_e32 v16, 0x43e00000, v16
	v_max_f32_e32 v16, 0xc3e00000, v16
	v_and_b32_e32 v17, 0x7fffffff, v16
	v_cmp_gt_u32_e32 vcc, s22, v17
	s_and_saveexec_b64 s[8:9], vcc
	s_cbranch_execz .LBB75_121
; %bb.116:                              ;   in Loop: Header=BB75_59 Depth=1
	v_cmp_lt_u32_e32 vcc, s23, v17
                                        ; implicit-def: $vgpr3
	s_and_saveexec_b64 s[10:11], vcc
	s_xor_b64 s[10:11], exec, s[10:11]
; %bb.117:                              ;   in Loop: Header=BB75_59 Depth=1
	v_bfe_u32 v3, v16, 20, 1
	v_add3_u32 v3, v16, v3, s24
	v_lshrrev_b32_e32 v3, 20, v3
; %bb.118:                              ;   in Loop: Header=BB75_59 Depth=1
	s_andn2_saveexec_b64 s[10:11], s[10:11]
; %bb.119:                              ;   in Loop: Header=BB75_59 Depth=1
	v_add_f32_e64 v3, |v16|, s25
; %bb.120:                              ;   in Loop: Header=BB75_59 Depth=1
	s_or_b64 exec, exec, s[10:11]
.LBB75_121:                             ;   in Loop: Header=BB75_59 Depth=1
	s_or_b64 exec, exec, s[8:9]
	v_alignbit_b32 v6, v7, v6, 16
	v_and_b32_e32 v6, 0xffff0000, v6
	v_mul_f32_e32 v6, v36, v6
	v_bfe_u32 v17, v6, 16, 1
	v_add3_u32 v17, v6, v17, s21
	v_and_b32_e32 v17, 0xffff0000, v17
	v_cmp_o_f32_e32 vcc, v6, v6
	v_alignbit_b32 v8, v9, v8, 16
	v_cndmask_b32_e32 v6, v12, v17, vcc
	v_and_b32_e32 v8, 0xffff0000, v8
	v_mul_f32_e32 v6, v6, v8
	v_bfe_u32 v8, v6, 16, 1
	v_add3_u32 v8, v6, v8, s21
	v_and_b32_e32 v8, 0xffff0000, v8
	v_cmp_o_f32_e32 vcc, v6, v6
	v_cndmask_b32_e32 v6, v12, v8, vcc
	v_div_scale_f32 v8, s[8:9], v13, v13, v6
	v_rcp_f32_e32 v17, v8
	v_fma_f32 v18, -v8, v17, 1.0
	v_fmac_f32_e32 v17, v18, v17
	v_div_scale_f32 v18, vcc, v6, v13, v6
	v_mul_f32_e32 v19, v18, v17
	v_fma_f32 v20, -v8, v19, v18
	v_fmac_f32_e32 v19, v20, v17
	v_fma_f32 v8, -v8, v19, v18
	v_div_fmas_f32 v8, v8, v17, v19
	v_div_fixup_f32 v6, v8, v13, v6
	v_min_f32_e32 v6, 0x43e00000, v6
	v_max_f32_e32 v17, 0xc3e00000, v6
	v_and_b32_e32 v18, 0x7fffffff, v17
	v_cmp_gt_u32_e32 vcc, s22, v18
	v_mov_b32_e32 v8, 0x7f
	v_mov_b32_e32 v6, 0x7f
	s_and_saveexec_b64 s[8:9], vcc
	s_cbranch_execz .LBB75_127
; %bb.122:                              ;   in Loop: Header=BB75_59 Depth=1
	v_cmp_lt_u32_e32 vcc, s23, v18
                                        ; implicit-def: $vgpr6
	s_and_saveexec_b64 s[10:11], vcc
	s_xor_b64 s[10:11], exec, s[10:11]
; %bb.123:                              ;   in Loop: Header=BB75_59 Depth=1
	v_bfe_u32 v6, v17, 20, 1
	v_add3_u32 v6, v17, v6, s24
	v_lshrrev_b32_e32 v6, 20, v6
; %bb.124:                              ;   in Loop: Header=BB75_59 Depth=1
	s_andn2_saveexec_b64 s[10:11], s[10:11]
; %bb.125:                              ;   in Loop: Header=BB75_59 Depth=1
	v_add_f32_e64 v6, |v17|, s25
; %bb.126:                              ;   in Loop: Header=BB75_59 Depth=1
	s_or_b64 exec, exec, s[10:11]
.LBB75_127:                             ;   in Loop: Header=BB75_59 Depth=1
	s_or_b64 exec, exec, s[8:9]
	v_and_b32_e32 v7, 0xffff0000, v7
	v_mul_f32_e32 v7, v36, v7
	v_bfe_u32 v18, v7, 16, 1
	v_add3_u32 v18, v7, v18, s21
	v_and_b32_e32 v18, 0xffff0000, v18
	v_cmp_o_f32_e32 vcc, v7, v7
	v_cndmask_b32_e32 v7, v12, v18, vcc
	v_and_b32_e32 v9, 0xffff0000, v9
	v_mul_f32_e32 v7, v7, v9
	v_bfe_u32 v9, v7, 16, 1
	v_add3_u32 v9, v7, v9, s21
	v_and_b32_e32 v9, 0xffff0000, v9
	v_cmp_o_f32_e32 vcc, v7, v7
	v_cndmask_b32_e32 v7, v12, v9, vcc
	v_div_scale_f32 v9, s[8:9], v13, v13, v7
	v_rcp_f32_e32 v18, v9
	v_fma_f32 v19, -v9, v18, 1.0
	v_fmac_f32_e32 v18, v19, v18
	v_div_scale_f32 v19, vcc, v7, v13, v7
	v_mul_f32_e32 v20, v19, v18
	v_fma_f32 v21, -v9, v20, v19
	v_fmac_f32_e32 v20, v21, v18
	v_fma_f32 v9, -v9, v20, v19
	v_div_fmas_f32 v9, v9, v18, v20
	v_div_fixup_f32 v7, v9, v13, v7
	v_min_f32_e32 v7, 0x43e00000, v7
	v_max_f32_e32 v7, 0xc3e00000, v7
	v_and_b32_e32 v9, 0x7fffffff, v7
	v_cmp_gt_u32_e32 vcc, s22, v9
	s_and_saveexec_b64 s[8:9], vcc
	s_cbranch_execz .LBB75_133
; %bb.128:                              ;   in Loop: Header=BB75_59 Depth=1
	v_cmp_lt_u32_e32 vcc, s23, v9
                                        ; implicit-def: $vgpr8
	s_and_saveexec_b64 s[10:11], vcc
	s_xor_b64 s[10:11], exec, s[10:11]
; %bb.129:                              ;   in Loop: Header=BB75_59 Depth=1
	v_bfe_u32 v8, v7, 20, 1
	v_add3_u32 v8, v7, v8, s24
	v_lshrrev_b32_e32 v8, 20, v8
; %bb.130:                              ;   in Loop: Header=BB75_59 Depth=1
	s_andn2_saveexec_b64 s[10:11], s[10:11]
; %bb.131:                              ;   in Loop: Header=BB75_59 Depth=1
	v_add_f32_e64 v8, |v7|, s25
; %bb.132:                              ;   in Loop: Header=BB75_59 Depth=1
	s_or_b64 exec, exec, s[10:11]
.LBB75_133:                             ;   in Loop: Header=BB75_59 Depth=1
	s_or_b64 exec, exec, s[8:9]
	v_and_b32_sdwa v9, v17, s26 dst_sel:DWORD dst_unused:UNUSED_PAD src0_sel:BYTE_3 src1_sel:DWORD
	v_and_or_b32 v6, v6, s27, v9
	v_and_b32_sdwa v13, v16, s26 dst_sel:DWORD dst_unused:UNUSED_PAD src0_sel:BYTE_3 src1_sel:DWORD
	v_lshlrev_b64 v[4:5], 2, v[4:5]
	v_lshlrev_b32_e32 v8, 24, v8
	v_and_b32_e32 v7, 0x80000000, v7
	v_lshlrev_b32_e32 v6, 16, v6
	v_lshrrev_b32_e32 v15, 24, v15
	v_mov_b32_e32 v16, s17
	v_add_co_u32_e32 v4, vcc, s16, v4
	v_or3_b32 v6, v7, v8, v6
	v_and_or_b32 v3, v3, s27, v13
	v_and_b32_e32 v7, 0xff, v14
	v_addc_co_u32_e32 v5, vcc, v16, v5, vcc
	v_lshlrev_b32_e32 v3, 8, v3
	v_and_or_b32 v7, v15, s26, v7
	v_add_u32_e32 v0, s19, v0
	v_or3_b32 v3, v6, v3, v7
	v_cmp_gt_u32_e32 vcc, s18, v0
	s_mov_b64 s[10:11], -1
	global_store_dword v[4:5], v3, off
	s_and_saveexec_b64 s[8:9], vcc
	s_cbranch_execz .LBB75_56
; %bb.134:                              ;   in Loop: Header=BB75_59 Depth=1
	v_lshlrev_b64 v[6:7], 3, v[0:1]
	v_mov_b32_e32 v3, s42
	v_add_co_u32_e32 v4, vcc, s33, v6
	v_addc_co_u32_e32 v5, vcc, v3, v7, vcc
	global_load_dwordx2 v[4:5], v[4:5], off
	v_mov_b32_e32 v3, s15
	v_add_co_u32_e32 v6, vcc, s14, v6
	v_addc_co_u32_e32 v7, vcc, v3, v7, vcc
	global_load_dwordx2 v[6:7], v[6:7], off
	v_lshrrev_b32_e32 v3, 3, v0
	v_and_b32_e32 v3, 0x7fffffc, v3
	global_load_dword v8, v3, s[0:1]
	s_waitcnt vmcnt(2)
	v_lshlrev_b32_e32 v3, 16, v4
	v_mul_f32_e32 v3, v36, v3
	v_bfe_u32 v13, v3, 16, 1
	v_add3_u32 v13, v3, v13, s21
	v_and_b32_e32 v13, 0xffff0000, v13
	v_cmp_o_f32_e32 vcc, v3, v3
	s_waitcnt vmcnt(1)
	v_lshlrev_b32_e32 v9, 16, v6
	v_cndmask_b32_e32 v3, v12, v13, vcc
	v_mul_f32_e32 v3, v3, v9
	v_bfe_u32 v9, v3, 16, 1
	v_add3_u32 v9, v3, v9, s21
	v_and_b32_e32 v9, 0xffff0000, v9
	v_cmp_o_f32_e32 vcc, v3, v3
	v_cndmask_b32_e32 v9, v12, v9, vcc
	s_waitcnt vmcnt(0)
	v_div_scale_f32 v13, s[10:11], v8, v8, v9
	v_rcp_f32_e32 v14, v13
	v_div_scale_f32 v15, vcc, v9, v8, v9
	v_mov_b32_e32 v3, 0x7f
	v_fma_f32 v16, -v13, v14, 1.0
	v_fmac_f32_e32 v14, v16, v14
	v_mul_f32_e32 v16, v15, v14
	v_fma_f32 v17, -v13, v16, v15
	v_fmac_f32_e32 v16, v17, v14
	v_fma_f32 v13, -v13, v16, v15
	v_div_fmas_f32 v13, v13, v14, v16
	v_div_fixup_f32 v9, v13, v8, v9
	v_min_f32_e32 v9, 0x43e00000, v9
	v_max_f32_e32 v13, 0xc3e00000, v9
	v_and_b32_e32 v14, 0x7fffffff, v13
	v_cmp_gt_u32_e32 vcc, s22, v14
	v_mov_b32_e32 v9, 0x7f
	s_and_saveexec_b64 s[10:11], vcc
	s_cbranch_execz .LBB75_140
; %bb.135:                              ;   in Loop: Header=BB75_59 Depth=1
	v_cmp_lt_u32_e32 vcc, s23, v14
                                        ; implicit-def: $vgpr9
	s_and_saveexec_b64 s[12:13], vcc
	s_xor_b64 s[12:13], exec, s[12:13]
; %bb.136:                              ;   in Loop: Header=BB75_59 Depth=1
	v_bfe_u32 v9, v13, 20, 1
	v_add3_u32 v9, v13, v9, s24
	v_lshrrev_b32_e32 v9, 20, v9
; %bb.137:                              ;   in Loop: Header=BB75_59 Depth=1
	s_andn2_saveexec_b64 s[12:13], s[12:13]
; %bb.138:                              ;   in Loop: Header=BB75_59 Depth=1
	v_add_f32_e64 v9, |v13|, s25
; %bb.139:                              ;   in Loop: Header=BB75_59 Depth=1
	s_or_b64 exec, exec, s[12:13]
.LBB75_140:                             ;   in Loop: Header=BB75_59 Depth=1
	s_or_b64 exec, exec, s[10:11]
	v_and_b32_e32 v14, 0xffff0000, v4
	v_mul_f32_e32 v14, v36, v14
	v_bfe_u32 v16, v14, 16, 1
	v_add3_u32 v16, v14, v16, s21
	v_and_b32_e32 v16, 0xffff0000, v16
	v_cmp_o_f32_e32 vcc, v14, v14
	v_and_b32_e32 v15, 0xffff0000, v6
	v_cndmask_b32_e32 v14, v12, v16, vcc
	v_mul_f32_e32 v14, v14, v15
	v_bfe_u32 v15, v14, 16, 1
	v_add3_u32 v15, v14, v15, s21
	v_and_b32_e32 v15, 0xffff0000, v15
	v_cmp_o_f32_e32 vcc, v14, v14
	v_cndmask_b32_e32 v14, v12, v15, vcc
	v_div_scale_f32 v15, s[10:11], v8, v8, v14
	v_rcp_f32_e32 v16, v15
	v_fma_f32 v17, -v15, v16, 1.0
	v_fmac_f32_e32 v16, v17, v16
	v_div_scale_f32 v17, vcc, v14, v8, v14
	v_mul_f32_e32 v18, v17, v16
	v_fma_f32 v19, -v15, v18, v17
	v_fmac_f32_e32 v18, v19, v16
	v_fma_f32 v15, -v15, v18, v17
	v_div_fmas_f32 v15, v15, v16, v18
	v_div_fixup_f32 v14, v15, v8, v14
	v_min_f32_e32 v14, 0x43e00000, v14
	v_max_f32_e32 v14, 0xc3e00000, v14
	v_and_b32_e32 v15, 0x7fffffff, v14
	v_cmp_gt_u32_e32 vcc, s22, v15
	s_and_saveexec_b64 s[10:11], vcc
	s_cbranch_execz .LBB75_146
; %bb.141:                              ;   in Loop: Header=BB75_59 Depth=1
	v_cmp_lt_u32_e32 vcc, s23, v15
                                        ; implicit-def: $vgpr3
	s_and_saveexec_b64 s[12:13], vcc
	s_xor_b64 s[12:13], exec, s[12:13]
; %bb.142:                              ;   in Loop: Header=BB75_59 Depth=1
	v_bfe_u32 v3, v14, 20, 1
	v_add3_u32 v3, v14, v3, s24
	v_lshrrev_b32_e32 v3, 20, v3
; %bb.143:                              ;   in Loop: Header=BB75_59 Depth=1
	s_andn2_saveexec_b64 s[12:13], s[12:13]
; %bb.144:                              ;   in Loop: Header=BB75_59 Depth=1
	v_add_f32_e64 v3, |v14|, s25
; %bb.145:                              ;   in Loop: Header=BB75_59 Depth=1
	s_or_b64 exec, exec, s[12:13]
.LBB75_146:                             ;   in Loop: Header=BB75_59 Depth=1
	s_or_b64 exec, exec, s[10:11]
	v_alignbit_b32 v4, v5, v4, 16
	v_and_b32_e32 v4, 0xffff0000, v4
	v_mul_f32_e32 v4, v36, v4
	v_bfe_u32 v15, v4, 16, 1
	v_add3_u32 v15, v4, v15, s21
	v_and_b32_e32 v15, 0xffff0000, v15
	v_cmp_o_f32_e32 vcc, v4, v4
	v_alignbit_b32 v6, v7, v6, 16
	v_cndmask_b32_e32 v4, v12, v15, vcc
	v_and_b32_e32 v6, 0xffff0000, v6
	v_mul_f32_e32 v4, v4, v6
	v_bfe_u32 v6, v4, 16, 1
	v_add3_u32 v6, v4, v6, s21
	v_and_b32_e32 v6, 0xffff0000, v6
	v_cmp_o_f32_e32 vcc, v4, v4
	v_cndmask_b32_e32 v4, v12, v6, vcc
	v_div_scale_f32 v6, s[10:11], v8, v8, v4
	v_rcp_f32_e32 v15, v6
	v_fma_f32 v16, -v6, v15, 1.0
	v_fmac_f32_e32 v15, v16, v15
	v_div_scale_f32 v16, vcc, v4, v8, v4
	v_mul_f32_e32 v17, v16, v15
	v_fma_f32 v18, -v6, v17, v16
	v_fmac_f32_e32 v17, v18, v15
	v_fma_f32 v6, -v6, v17, v16
	v_div_fmas_f32 v6, v6, v15, v17
	v_div_fixup_f32 v4, v6, v8, v4
	v_min_f32_e32 v4, 0x43e00000, v4
	v_max_f32_e32 v15, 0xc3e00000, v4
	v_and_b32_e32 v16, 0x7fffffff, v15
	v_cmp_gt_u32_e32 vcc, s22, v16
	v_mov_b32_e32 v6, 0x7f
	v_mov_b32_e32 v4, 0x7f
	s_and_saveexec_b64 s[10:11], vcc
	s_cbranch_execz .LBB75_152
; %bb.147:                              ;   in Loop: Header=BB75_59 Depth=1
	v_cmp_lt_u32_e32 vcc, s23, v16
                                        ; implicit-def: $vgpr4
	s_and_saveexec_b64 s[12:13], vcc
	s_xor_b64 s[12:13], exec, s[12:13]
; %bb.148:                              ;   in Loop: Header=BB75_59 Depth=1
	v_bfe_u32 v4, v15, 20, 1
	v_add3_u32 v4, v15, v4, s24
	v_lshrrev_b32_e32 v4, 20, v4
; %bb.149:                              ;   in Loop: Header=BB75_59 Depth=1
	s_andn2_saveexec_b64 s[12:13], s[12:13]
; %bb.150:                              ;   in Loop: Header=BB75_59 Depth=1
	v_add_f32_e64 v4, |v15|, s25
; %bb.151:                              ;   in Loop: Header=BB75_59 Depth=1
	s_or_b64 exec, exec, s[12:13]
.LBB75_152:                             ;   in Loop: Header=BB75_59 Depth=1
	s_or_b64 exec, exec, s[10:11]
	v_and_b32_e32 v5, 0xffff0000, v5
	v_mul_f32_e32 v5, v36, v5
	v_bfe_u32 v16, v5, 16, 1
	v_add3_u32 v16, v5, v16, s21
	v_and_b32_e32 v16, 0xffff0000, v16
	v_cmp_o_f32_e32 vcc, v5, v5
	v_cndmask_b32_e32 v5, v12, v16, vcc
	v_and_b32_e32 v7, 0xffff0000, v7
	v_mul_f32_e32 v5, v5, v7
	v_bfe_u32 v7, v5, 16, 1
	v_add3_u32 v7, v5, v7, s21
	v_and_b32_e32 v7, 0xffff0000, v7
	v_cmp_o_f32_e32 vcc, v5, v5
	v_cndmask_b32_e32 v5, v12, v7, vcc
	v_div_scale_f32 v7, s[10:11], v8, v8, v5
	v_rcp_f32_e32 v16, v7
	v_fma_f32 v17, -v7, v16, 1.0
	v_fmac_f32_e32 v16, v17, v16
	v_div_scale_f32 v17, vcc, v5, v8, v5
	v_mul_f32_e32 v18, v17, v16
	v_fma_f32 v19, -v7, v18, v17
	v_fmac_f32_e32 v18, v19, v16
	v_fma_f32 v7, -v7, v18, v17
	v_div_fmas_f32 v7, v7, v16, v18
	v_div_fixup_f32 v5, v7, v8, v5
	v_min_f32_e32 v5, 0x43e00000, v5
	v_max_f32_e32 v5, 0xc3e00000, v5
	v_and_b32_e32 v7, 0x7fffffff, v5
	v_cmp_gt_u32_e32 vcc, s22, v7
	s_and_saveexec_b64 s[10:11], vcc
	s_cbranch_execz .LBB75_55
; %bb.153:                              ;   in Loop: Header=BB75_59 Depth=1
	v_cmp_lt_u32_e32 vcc, s23, v7
                                        ; implicit-def: $vgpr6
	s_and_saveexec_b64 s[12:13], vcc
	s_xor_b64 s[12:13], exec, s[12:13]
; %bb.154:                              ;   in Loop: Header=BB75_59 Depth=1
	v_bfe_u32 v6, v5, 20, 1
	v_add3_u32 v6, v5, v6, s24
	v_lshrrev_b32_e32 v6, 20, v6
; %bb.155:                              ;   in Loop: Header=BB75_59 Depth=1
	s_andn2_saveexec_b64 s[12:13], s[12:13]
	s_cbranch_execz .LBB75_54
; %bb.156:                              ;   in Loop: Header=BB75_59 Depth=1
	v_add_f32_e64 v6, |v5|, s25
	s_branch .LBB75_54
.LBB75_157:
	s_endpgm
	.section	.rodata,"a",@progbits
	.p2align	6, 0x0
	.amdhsa_kernel _ZN4vllm31rms_norm_per_block_quant_kernelIN3c108BFloat16ENS1_13Float8_e4m3fnELb0ELb0ELi128EEEvPT0_PfPKT_S9_PKffiiPS7_l
		.amdhsa_group_segment_fixed_size 4164
		.amdhsa_private_segment_fixed_size 0
		.amdhsa_kernarg_size 328
		.amdhsa_user_sgpr_count 6
		.amdhsa_user_sgpr_private_segment_buffer 1
		.amdhsa_user_sgpr_dispatch_ptr 0
		.amdhsa_user_sgpr_queue_ptr 0
		.amdhsa_user_sgpr_kernarg_segment_ptr 1
		.amdhsa_user_sgpr_dispatch_id 0
		.amdhsa_user_sgpr_flat_scratch_init 0
		.amdhsa_user_sgpr_kernarg_preload_length 0
		.amdhsa_user_sgpr_kernarg_preload_offset 0
		.amdhsa_user_sgpr_private_segment_size 0
		.amdhsa_uses_dynamic_stack 0
		.amdhsa_system_sgpr_private_segment_wavefront_offset 0
		.amdhsa_system_sgpr_workgroup_id_x 1
		.amdhsa_system_sgpr_workgroup_id_y 0
		.amdhsa_system_sgpr_workgroup_id_z 0
		.amdhsa_system_sgpr_workgroup_info 0
		.amdhsa_system_vgpr_workitem_id 0
		.amdhsa_next_free_vgpr 48
		.amdhsa_next_free_sgpr 44
		.amdhsa_accum_offset 48
		.amdhsa_reserve_vcc 1
		.amdhsa_reserve_flat_scratch 0
		.amdhsa_float_round_mode_32 0
		.amdhsa_float_round_mode_16_64 0
		.amdhsa_float_denorm_mode_32 3
		.amdhsa_float_denorm_mode_16_64 3
		.amdhsa_dx10_clamp 1
		.amdhsa_ieee_mode 1
		.amdhsa_fp16_overflow 0
		.amdhsa_tg_split 0
		.amdhsa_exception_fp_ieee_invalid_op 0
		.amdhsa_exception_fp_denorm_src 0
		.amdhsa_exception_fp_ieee_div_zero 0
		.amdhsa_exception_fp_ieee_overflow 0
		.amdhsa_exception_fp_ieee_underflow 0
		.amdhsa_exception_fp_ieee_inexact 0
		.amdhsa_exception_int_div_zero 0
	.end_amdhsa_kernel
	.section	.text._ZN4vllm31rms_norm_per_block_quant_kernelIN3c108BFloat16ENS1_13Float8_e4m3fnELb0ELb0ELi128EEEvPT0_PfPKT_S9_PKffiiPS7_l,"axG",@progbits,_ZN4vllm31rms_norm_per_block_quant_kernelIN3c108BFloat16ENS1_13Float8_e4m3fnELb0ELb0ELi128EEEvPT0_PfPKT_S9_PKffiiPS7_l,comdat
.Lfunc_end75:
	.size	_ZN4vllm31rms_norm_per_block_quant_kernelIN3c108BFloat16ENS1_13Float8_e4m3fnELb0ELb0ELi128EEEvPT0_PfPKT_S9_PKffiiPS7_l, .Lfunc_end75-_ZN4vllm31rms_norm_per_block_quant_kernelIN3c108BFloat16ENS1_13Float8_e4m3fnELb0ELb0ELi128EEEvPT0_PfPKT_S9_PKffiiPS7_l
                                        ; -- End function
	.section	.AMDGPU.csdata,"",@progbits
; Kernel info:
; codeLenInByte = 10660
; NumSgprs: 48
; NumVgprs: 48
; NumAgprs: 0
; TotalNumVgprs: 48
; ScratchSize: 0
; MemoryBound: 0
; FloatMode: 240
; IeeeMode: 1
; LDSByteSize: 4164 bytes/workgroup (compile time only)
; SGPRBlocks: 5
; VGPRBlocks: 5
; NumSGPRsForWavesPerEU: 48
; NumVGPRsForWavesPerEU: 48
; AccumOffset: 48
; Occupancy: 8
; WaveLimiterHint : 0
; COMPUTE_PGM_RSRC2:SCRATCH_EN: 0
; COMPUTE_PGM_RSRC2:USER_SGPR: 6
; COMPUTE_PGM_RSRC2:TRAP_HANDLER: 0
; COMPUTE_PGM_RSRC2:TGID_X_EN: 1
; COMPUTE_PGM_RSRC2:TGID_Y_EN: 0
; COMPUTE_PGM_RSRC2:TGID_Z_EN: 0
; COMPUTE_PGM_RSRC2:TIDIG_COMP_CNT: 0
; COMPUTE_PGM_RSRC3_GFX90A:ACCUM_OFFSET: 11
; COMPUTE_PGM_RSRC3_GFX90A:TG_SPLIT: 0
	.section	.text._ZN4vllm31rms_norm_per_block_quant_kernelIN3c108BFloat16ENS1_15Float8_e4m3fnuzELb0ELb0ELi128EEEvPT0_PfPKT_S9_PKffiiPS7_l,"axG",@progbits,_ZN4vllm31rms_norm_per_block_quant_kernelIN3c108BFloat16ENS1_15Float8_e4m3fnuzELb0ELb0ELi128EEEvPT0_PfPKT_S9_PKffiiPS7_l,comdat
	.protected	_ZN4vllm31rms_norm_per_block_quant_kernelIN3c108BFloat16ENS1_15Float8_e4m3fnuzELb0ELb0ELi128EEEvPT0_PfPKT_S9_PKffiiPS7_l ; -- Begin function _ZN4vllm31rms_norm_per_block_quant_kernelIN3c108BFloat16ENS1_15Float8_e4m3fnuzELb0ELb0ELi128EEEvPT0_PfPKT_S9_PKffiiPS7_l
	.globl	_ZN4vllm31rms_norm_per_block_quant_kernelIN3c108BFloat16ENS1_15Float8_e4m3fnuzELb0ELb0ELi128EEEvPT0_PfPKT_S9_PKffiiPS7_l
	.p2align	8
	.type	_ZN4vllm31rms_norm_per_block_quant_kernelIN3c108BFloat16ENS1_15Float8_e4m3fnuzELb0ELb0ELi128EEEvPT0_PfPKT_S9_PKffiiPS7_l,@function
_ZN4vllm31rms_norm_per_block_quant_kernelIN3c108BFloat16ENS1_15Float8_e4m3fnuzELb0ELb0ELi128EEEvPT0_PfPKT_S9_PKffiiPS7_l: ; @_ZN4vllm31rms_norm_per_block_quant_kernelIN3c108BFloat16ENS1_15Float8_e4m3fnuzELb0ELb0ELi128EEEvPT0_PfPKT_S9_PKffiiPS7_l
; %bb.0:
	s_load_dwordx4 s[16:19], s[4:5], 0x28
	s_load_dwordx8 s[8:15], s[4:5], 0x0
	v_mov_b32_e32 v1, 0
	s_waitcnt lgkmcnt(0)
	s_ashr_i32 s0, s18, 31
	s_mul_hi_u32 s1, s18, s6
	s_mul_i32 s0, s0, s6
	s_add_i32 s1, s1, s0
	s_mul_i32 s0, s18, s6
	s_lshl_b64 s[28:29], s[0:1], 1
	s_add_u32 s33, s12, s28
	s_addc_u32 s42, s13, s29
	s_ashr_i32 s18, s17, 2
	s_add_u32 s2, s4, 0x48
	s_mov_b32 s20, s17
	v_cmp_gt_u32_e64 s[0:1], s18, v0
	s_addc_u32 s3, s5, 0
	s_and_saveexec_b64 s[22:23], s[0:1]
	s_cbranch_execz .LBB76_10
; %bb.1:
	s_load_dword s7, s[2:3], 0x0
	v_mov_b32_e32 v3, 0
	v_mov_b32_e32 v9, s42
	;; [unrolled: 1-line block ×3, first 2 shown]
                                        ; implicit-def: $sgpr26_sgpr27
	s_waitcnt lgkmcnt(0)
	s_cmp_lt_u32 s6, s7
	s_cselect_b32 s7, 12, 18
	s_add_u32 s24, s2, s7
	s_addc_u32 s25, s3, 0
	global_load_ushort v8, v3, s[24:25]
	s_mov_b64 s[24:25], 0
	s_waitcnt vmcnt(0)
	v_add_u32_e32 v1, v8, v8
	v_mul_lo_u32 v10, v8, 3
	v_lshlrev_b32_e32 v11, 1, v8
	v_add_u32_e32 v12, v1, v8
	v_mov_b32_e32 v1, v3
	s_branch .LBB76_5
.LBB76_2:                               ;   in Loop: Header=BB76_5 Depth=1
	s_or_b64 exec, exec, s[36:37]
	s_orn2_b64 s[36:37], s[38:39], exec
.LBB76_3:                               ;   in Loop: Header=BB76_5 Depth=1
	s_or_b64 exec, exec, s[34:35]
	s_andn2_b64 s[26:27], s[26:27], exec
	s_and_b64 s[34:35], s[36:37], exec
	s_or_b64 s[26:27], s[26:27], s[34:35]
.LBB76_4:                               ;   in Loop: Header=BB76_5 Depth=1
	s_or_b64 exec, exec, s[30:31]
	s_and_b64 s[30:31], exec, s[26:27]
	s_or_b64 s[24:25], s[30:31], s[24:25]
	s_andn2_b64 exec, exec, s[24:25]
	s_cbranch_execz .LBB76_9
.LBB76_5:                               ; =>This Inner Loop Header: Depth=1
	v_lshlrev_b64 v[4:5], 3, v[2:3]
	v_add_co_u32_e32 v4, vcc, s33, v4
	v_addc_co_u32_e32 v5, vcc, v9, v5, vcc
	global_load_dwordx2 v[6:7], v[4:5], off
	v_add_u32_e32 v4, v2, v8
	v_cmp_gt_u32_e32 vcc, s18, v4
	s_or_b64 s[26:27], s[26:27], exec
	s_waitcnt vmcnt(0)
	v_lshlrev_b32_e32 v13, 16, v6
	v_and_b32_e32 v5, 0xffff0000, v6
	v_alignbit_b32 v6, v7, v6, 16
	v_fmac_f32_e32 v1, v13, v13
	v_and_b32_e32 v6, 0xffff0000, v6
	v_fmac_f32_e32 v1, v5, v5
	v_and_b32_e32 v7, 0xffff0000, v7
	v_fmac_f32_e32 v1, v6, v6
	v_fmac_f32_e32 v1, v7, v7
	s_and_saveexec_b64 s[30:31], vcc
	s_cbranch_execz .LBB76_4
; %bb.6:                                ;   in Loop: Header=BB76_5 Depth=1
	v_mov_b32_e32 v5, v3
	v_lshlrev_b64 v[6:7], 3, v[4:5]
	v_add_co_u32_e32 v6, vcc, s33, v6
	v_addc_co_u32_e32 v7, vcc, v9, v7, vcc
	global_load_dwordx2 v[14:15], v[6:7], off
	v_add_u32_e32 v6, v11, v2
	v_cmp_gt_u32_e32 vcc, s18, v6
	s_mov_b64 s[36:37], -1
	s_waitcnt vmcnt(0)
	v_lshlrev_b32_e32 v7, 16, v14
	v_and_b32_e32 v5, 0xffff0000, v14
	v_alignbit_b32 v13, v15, v14, 16
	v_fmac_f32_e32 v1, v7, v7
	v_and_b32_e32 v13, 0xffff0000, v13
	v_fmac_f32_e32 v1, v5, v5
	v_and_b32_e32 v14, 0xffff0000, v15
	v_fmac_f32_e32 v1, v13, v13
	v_fmac_f32_e32 v1, v14, v14
	s_and_saveexec_b64 s[34:35], vcc
	s_cbranch_execz .LBB76_3
; %bb.7:                                ;   in Loop: Header=BB76_5 Depth=1
	v_mov_b32_e32 v7, v3
	v_lshlrev_b64 v[6:7], 3, v[6:7]
	v_add_co_u32_e32 v6, vcc, s33, v6
	v_addc_co_u32_e32 v7, vcc, v9, v7, vcc
	global_load_dwordx2 v[6:7], v[6:7], off
	v_add_u32_e32 v2, v10, v2
	v_cmp_gt_u32_e32 vcc, s18, v2
	s_mov_b64 s[38:39], -1
	s_waitcnt vmcnt(0)
	v_lshlrev_b32_e32 v13, 16, v6
	v_and_b32_e32 v5, 0xffff0000, v6
	v_alignbit_b32 v6, v7, v6, 16
	v_fmac_f32_e32 v1, v13, v13
	v_and_b32_e32 v6, 0xffff0000, v6
	v_fmac_f32_e32 v1, v5, v5
	v_and_b32_e32 v7, 0xffff0000, v7
	v_fmac_f32_e32 v1, v6, v6
	v_fmac_f32_e32 v1, v7, v7
	s_and_saveexec_b64 s[36:37], vcc
	s_xor_b64 s[36:37], exec, s[36:37]
	s_cbranch_execz .LBB76_2
; %bb.8:                                ;   in Loop: Header=BB76_5 Depth=1
	v_lshlrev_b64 v[6:7], 3, v[2:3]
	v_add_co_u32_e32 v6, vcc, s33, v6
	v_addc_co_u32_e32 v7, vcc, v9, v7, vcc
	global_load_dwordx2 v[6:7], v[6:7], off
	v_add_u32_e32 v2, v12, v4
	v_cmp_le_u32_e32 vcc, s18, v2
	s_orn2_b64 s[38:39], vcc, exec
	s_waitcnt vmcnt(0)
	v_lshlrev_b32_e32 v5, 16, v6
	v_and_b32_e32 v4, 0xffff0000, v6
	v_alignbit_b32 v6, v7, v6, 16
	v_fmac_f32_e32 v1, v5, v5
	v_and_b32_e32 v6, 0xffff0000, v6
	v_fmac_f32_e32 v1, v4, v4
	v_and_b32_e32 v7, 0xffff0000, v7
	v_fmac_f32_e32 v1, v6, v6
	v_fmac_f32_e32 v1, v7, v7
	s_branch .LBB76_2
.LBB76_9:
	s_or_b64 exec, exec, s[24:25]
.LBB76_10:
	s_or_b64 exec, exec, s[22:23]
	v_mbcnt_lo_u32_b32 v2, -1, 0
	v_mbcnt_hi_u32_b32 v2, -1, v2
	v_and_b32_e32 v3, 63, v2
	v_cmp_ne_u32_e32 vcc, 63, v3
	s_load_dword s2, s[2:3], 0xc
	v_addc_co_u32_e32 v4, vcc, 0, v2, vcc
	v_lshlrev_b32_e32 v4, 2, v4
	ds_bpermute_b32 v4, v4, v1
	s_waitcnt lgkmcnt(0)
	s_and_b32 s43, s2, 0xffff
	v_and_b32_e32 v5, 0x3c0, v0
	v_sub_u32_e64 v5, s43, v5 clamp
	v_add_u32_e32 v6, 1, v2
	v_add_f32_e32 v4, v1, v4
	v_cmp_lt_u32_e32 vcc, v6, v5
	v_cndmask_b32_e32 v1, v1, v4, vcc
	v_cmp_gt_u32_e32 vcc, 62, v3
	v_cndmask_b32_e64 v4, 0, 1, vcc
	v_lshlrev_b32_e32 v4, 1, v4
	v_add_lshl_u32 v4, v4, v2, 2
	ds_bpermute_b32 v4, v4, v1
	v_add_u32_e32 v6, 2, v2
	v_cmp_lt_u32_e32 vcc, v6, v5
	v_add_u32_e32 v6, 4, v2
	s_waitcnt lgkmcnt(0)
	v_add_f32_e32 v4, v1, v4
	v_cndmask_b32_e32 v1, v1, v4, vcc
	v_cmp_gt_u32_e32 vcc, 60, v3
	v_cndmask_b32_e64 v4, 0, 1, vcc
	v_lshlrev_b32_e32 v4, 2, v4
	v_add_lshl_u32 v4, v4, v2, 2
	ds_bpermute_b32 v4, v4, v1
	v_cmp_lt_u32_e32 vcc, v6, v5
	v_add_u32_e32 v6, 8, v2
	s_waitcnt lgkmcnt(0)
	v_add_f32_e32 v4, v1, v4
	v_cndmask_b32_e32 v1, v1, v4, vcc
	v_cmp_gt_u32_e32 vcc, 56, v3
	v_cndmask_b32_e64 v4, 0, 1, vcc
	v_lshlrev_b32_e32 v4, 3, v4
	v_add_lshl_u32 v4, v4, v2, 2
	ds_bpermute_b32 v4, v4, v1
	;; [unrolled: 10-line block ×3, first 2 shown]
	v_cmp_lt_u32_e32 vcc, v6, v5
	s_waitcnt lgkmcnt(0)
	v_add_f32_e32 v4, v1, v4
	v_cndmask_b32_e32 v1, v1, v4, vcc
	v_cmp_gt_u32_e32 vcc, 32, v3
	v_cndmask_b32_e64 v3, 0, 1, vcc
	v_lshlrev_b32_e32 v3, 5, v3
	v_add_lshl_u32 v3, v3, v2, 2
	ds_bpermute_b32 v3, v3, v1
	v_add_u32_e32 v4, 32, v2
	v_cmp_lt_u32_e32 vcc, v4, v5
	s_waitcnt lgkmcnt(0)
	v_add_f32_e32 v3, v1, v3
	v_cndmask_b32_e32 v1, v1, v3, vcc
	v_cmp_eq_u32_e32 vcc, 0, v2
	s_and_saveexec_b64 s[2:3], vcc
	s_cbranch_execz .LBB76_12
; %bb.11:
	v_lshrrev_b32_e32 v3, 4, v0
	v_and_b32_e32 v3, 60, v3
	ds_write_b32 v3, v1 offset:4096
.LBB76_12:
	s_or_b64 exec, exec, s[2:3]
	v_cmp_gt_u32_e32 vcc, 16, v0
	s_waitcnt lgkmcnt(0)
	s_barrier
	s_and_saveexec_b64 s[22:23], vcc
	s_cbranch_execz .LBB76_14
; %bb.13:
	v_lshlrev_b32_e32 v1, 2, v2
	ds_read_b32 v1, v1 offset:4096
	v_and_b32_e32 v3, 15, v2
	v_cmp_ne_u32_e32 vcc, 15, v3
	v_addc_co_u32_e32 v4, vcc, 0, v2, vcc
	v_lshlrev_b32_e32 v4, 2, v4
	s_waitcnt lgkmcnt(0)
	ds_bpermute_b32 v4, v4, v1
	s_add_i32 s2, s43, 63
	s_lshr_b32 s7, s2, 6
	v_add_u32_e32 v5, 1, v3
	v_cmp_gt_u32_e64 s[2:3], 14, v3
	v_cmp_gt_u32_e32 vcc, s7, v5
	v_cndmask_b32_e64 v5, 0, 1, s[2:3]
	s_waitcnt lgkmcnt(0)
	v_add_f32_e32 v4, v1, v4
	v_lshlrev_b32_e32 v5, 1, v5
	v_cndmask_b32_e32 v4, v1, v4, vcc
	v_add_lshl_u32 v5, v5, v2, 2
	ds_bpermute_b32 v5, v5, v4
	v_add_u32_e32 v6, 2, v3
	v_cmp_gt_u32_e64 s[2:3], s7, v6
	v_add_u32_e32 v6, 4, v3
	s_waitcnt lgkmcnt(0)
	v_add_f32_e32 v5, v4, v5
	v_cndmask_b32_e64 v4, v4, v5, s[2:3]
	v_cmp_gt_u32_e64 s[2:3], 12, v3
	v_cndmask_b32_e64 v5, 0, 1, s[2:3]
	v_lshlrev_b32_e32 v5, 2, v5
	v_add_lshl_u32 v5, v5, v2, 2
	ds_bpermute_b32 v5, v5, v4
	v_cmp_gt_u32_e64 s[2:3], s7, v6
	s_waitcnt lgkmcnt(0)
	v_add_f32_e32 v5, v4, v5
	v_cndmask_b32_e64 v4, v4, v5, s[2:3]
	v_cmp_gt_u32_e64 s[2:3], 8, v3
	v_cndmask_b32_e64 v5, 0, 1, s[2:3]
	v_lshlrev_b32_e32 v5, 3, v5
	v_add_lshl_u32 v2, v5, v2, 2
	ds_bpermute_b32 v2, v2, v4
	v_add_u32_e32 v3, 8, v3
	v_cmp_gt_u32_e64 s[2:3], s7, v3
	s_waitcnt lgkmcnt(0)
	v_add_f32_e32 v2, v4, v2
	v_cndmask_b32_e64 v2, v4, v2, s[2:3]
	v_cndmask_b32_e32 v1, v1, v2, vcc
.LBB76_14:
	s_or_b64 exec, exec, s[22:23]
	v_cmp_eq_u32_e32 vcc, 0, v0
	s_and_saveexec_b64 s[2:3], vcc
	s_cbranch_execz .LBB76_16
; %bb.15:
	v_cvt_f32_i32_e32 v2, s17
	s_mov_b32 s7, 0x800000
	v_div_scale_f32 v3, s[22:23], v2, v2, v1
	v_rcp_f32_e32 v4, v3
	v_div_scale_f32 v5, vcc, v1, v2, v1
	v_fma_f32 v6, -v3, v4, 1.0
	v_fmac_f32_e32 v4, v6, v4
	v_mul_f32_e32 v6, v5, v4
	v_fma_f32 v7, -v3, v6, v5
	v_fmac_f32_e32 v6, v7, v4
	v_fma_f32 v3, -v3, v6, v5
	v_div_fmas_f32 v3, v3, v4, v6
	v_div_fixup_f32 v1, v3, v2, v1
	v_add_f32_e32 v1, s16, v1
	v_mul_f32_e32 v2, 0x4b800000, v1
	v_cmp_gt_f32_e32 vcc, s7, v1
	v_cndmask_b32_e32 v1, v1, v2, vcc
	v_rsq_f32_e32 v1, v1
	v_mul_f32_e32 v2, 0x45800000, v1
	v_cndmask_b32_e32 v1, v1, v2, vcc
	v_mov_b32_e32 v2, 0
	ds_write_b32 v2, v1 offset:4160
.LBB76_16:
	s_or_b64 exec, exec, s[2:3]
	s_ashr_i32 s21, s17, 31
	s_lshr_b32 s2, s21, 25
	s_add_i32 s2, s17, s2
	s_ashr_i32 s22, s2, 7
	s_abs_i32 s3, s22
	v_cvt_f32_u32_e32 v1, s3
	s_sub_i32 s7, 0, s3
	s_ashr_i32 s2, s2, 31
	v_mov_b32_e32 v5, 0
	v_rcp_iflag_f32_e32 v1, v1
	s_waitcnt lgkmcnt(0)
	s_barrier
	v_mul_f32_e32 v1, 0x4f7ffffe, v1
	v_cvt_u32_f32_e32 v1, v1
	ds_read_b32 v36, v5 offset:4160
	v_readfirstlane_b32 s16, v1
	s_mul_i32 s7, s7, s16
	s_mul_hi_u32 s7, s16, s7
	s_add_i32 s16, s16, s7
	s_mul_hi_u32 s7, s43, s16
	s_mul_i32 s16, s7, s3
	s_sub_i32 s16, s43, s16
	s_add_i32 s19, s7, 1
	s_sub_i32 s23, s16, s3
	s_cmp_ge_u32 s16, s3
	s_cselect_b32 s7, s19, s7
	s_cselect_b32 s16, s23, s16
	s_add_i32 s19, s7, 1
	s_cmp_ge_u32 s16, s3
	s_cselect_b32 s3, s19, s7
	s_xor_b32 s3, s3, s2
	s_sub_i32 s24, s3, s2
	s_abs_i32 s2, s24
	v_cvt_f32_u32_e32 v1, s2
	s_sub_i32 s3, 0, s2
	s_ashr_i32 s25, s24, 31
	s_ashr_i32 s19, s18, 31
	v_rcp_iflag_f32_e32 v1, v1
	v_mul_f32_e32 v1, 0x4f7ffffe, v1
	v_cvt_u32_f32_e32 v1, v1
	v_mul_lo_u32 v2, s3, v1
	v_mul_hi_u32 v2, v1, v2
	v_add_u32_e32 v1, v1, v2
	v_mul_hi_u32 v1, v0, v1
	v_mul_lo_u32 v2, v1, s2
	v_sub_u32_e32 v2, v0, v2
	v_add_u32_e32 v3, 1, v1
	v_cmp_le_u32_e32 vcc, s2, v2
	v_cndmask_b32_e32 v1, v1, v3, vcc
	v_subrev_u32_e32 v3, s2, v2
	v_cndmask_b32_e32 v2, v2, v3, vcc
	v_add_u32_e32 v3, 1, v1
	v_cmp_le_u32_e32 vcc, s2, v2
	v_cndmask_b32_e32 v1, v1, v3, vcc
	v_xor_b32_e32 v1, s25, v1
	v_subrev_u32_e32 v2, s25, v1
	v_mul_lo_u32 v1, v2, s24
	v_ashrrev_i32_e32 v3, 31, v2
	v_sub_u32_e32 v4, v0, v1
	v_lshlrev_b64 v[8:9], 5, v[2:3]
	v_add_co_u32_e32 v6, vcc, v8, v4
	v_addc_co_u32_e32 v7, vcc, 0, v9, vcc
	v_add_co_u32_e32 v8, vcc, 32, v8
	v_addc_co_u32_e32 v9, vcc, 0, v9, vcc
	v_mov_b32_e32 v1, s19
	v_cmp_gt_i64_e32 vcc, s[18:19], v[8:9]
	v_cndmask_b32_e32 v9, v1, v9, vcc
	v_mov_b32_e32 v1, s18
	v_cndmask_b32_e32 v8, v1, v8, vcc
	v_ashrrev_i32_e32 v11, 31, v8
	v_mov_b32_e32 v10, v8
	v_cmp_lt_i64_e32 vcc, v[6:7], v[10:11]
	s_and_saveexec_b64 s[26:27], vcc
	s_cbranch_execz .LBB76_26
; %bb.17:
	v_lshlrev_b64 v[28:29], 8, v[2:3]
	s_mul_i32 s16, s24, 24
	v_lshlrev_b64 v[12:13], 3, v[4:5]
	v_mov_b32_e32 v1, s29
	v_add_co_u32_e32 v5, vcc, s28, v28
	s_mul_hi_i32 s7, s24, 24
	s_add_u32 s2, s12, s16
	v_addc_co_u32_e32 v19, vcc, v1, v29, vcc
	s_addc_u32 s3, s13, s7
	v_mov_b32_e32 v1, s3
	v_add_co_u32_e32 v14, vcc, s2, v5
	s_lshl_b64 s[28:29], s[24:25], 5
	s_lshl_b64 s[2:3], s[24:25], 4
	s_add_u32 s19, s12, s2
	v_addc_co_u32_e32 v1, vcc, v1, v19, vcc
	s_addc_u32 s23, s13, s3
	s_lshl_b64 s[30:31], s[24:25], 3
	v_mov_b32_e32 v15, s23
	v_add_co_u32_e32 v16, vcc, s19, v5
	s_add_u32 s19, s12, s30
	v_addc_co_u32_e32 v15, vcc, v15, v19, vcc
	s_addc_u32 s23, s13, s31
	v_mov_b32_e32 v17, s23
	v_add_co_u32_e32 v18, vcc, s19, v5
	v_addc_co_u32_e32 v17, vcc, v17, v19, vcc
	v_mov_b32_e32 v21, s13
	v_add_co_u32_e32 v20, vcc, s12, v5
	s_add_u32 s12, s14, s16
	v_addc_co_u32_e32 v19, vcc, v21, v19, vcc
	s_addc_u32 s7, s15, s7
	v_mov_b32_e32 v5, s7
	v_add_co_u32_e32 v22, vcc, s12, v28
	s_add_u32 s2, s14, s2
	v_addc_co_u32_e32 v21, vcc, v5, v29, vcc
	s_addc_u32 s3, s15, s3
	;; [unrolled: 5-line block ×3, first 2 shown]
	v_mov_b32_e32 v5, s3
	v_add_co_u32_e32 v26, vcc, s2, v28
	v_addc_co_u32_e32 v25, vcc, v5, v29, vcc
	v_mov_b32_e32 v5, s15
	v_add_co_u32_e32 v28, vcc, s14, v28
	v_addc_co_u32_e32 v27, vcc, v5, v29, vcc
	s_mul_hi_i32 s7, s24, 3
	s_mul_i32 s16, s24, 3
	s_lshl_b64 s[30:31], s[24:25], 1
	s_mov_b64 s[12:13], 0
	v_mov_b32_e32 v5, 0
	s_movk_i32 s19, 0x7fff
	v_mov_b32_e32 v29, 0x7fc00000
	v_mov_b32_e32 v34, s25
	v_pk_mov_b32 v[30:31], v[6:7], v[6:7] op_sel:[0,1]
                                        ; implicit-def: $sgpr34_sgpr35
	s_branch .LBB76_21
.LBB76_18:                              ;   in Loop: Header=BB76_21 Depth=1
	s_or_b64 exec, exec, s[2:3]
	s_orn2_b64 s[2:3], s[40:41], exec
.LBB76_19:                              ;   in Loop: Header=BB76_21 Depth=1
	s_or_b64 exec, exec, s[38:39]
	s_andn2_b64 s[34:35], s[34:35], exec
	s_and_b64 s[2:3], s[2:3], exec
	s_or_b64 s[34:35], s[34:35], s[2:3]
.LBB76_20:                              ;   in Loop: Header=BB76_21 Depth=1
	s_or_b64 exec, exec, s[36:37]
	s_and_b64 s[2:3], exec, s[34:35]
	s_or_b64 s[12:13], s[2:3], s[12:13]
	s_andn2_b64 exec, exec, s[12:13]
	s_cbranch_execz .LBB76_25
.LBB76_21:                              ; =>This Inner Loop Header: Depth=1
	v_add_co_u32_e32 v32, vcc, v20, v12
	v_addc_co_u32_e32 v33, vcc, v19, v13, vcc
	global_load_dwordx2 v[38:39], v[32:33], off
	v_add_co_u32_e32 v32, vcc, v28, v12
	v_addc_co_u32_e32 v33, vcc, v27, v13, vcc
	global_load_dwordx2 v[40:41], v[32:33], off
	v_add_co_u32_e32 v32, vcc, s24, v30
	v_addc_co_u32_e32 v33, vcc, v31, v34, vcc
	v_cmp_lt_i64_e32 vcc, v[32:33], v[10:11]
	s_or_b64 s[34:35], s[34:35], exec
	s_waitcnt vmcnt(1)
	v_lshlrev_b32_e32 v42, 16, v38
	v_and_b32_e32 v35, 0xffff0000, v38
	s_waitcnt lgkmcnt(0)
	v_mul_f32_e32 v42, v36, v42
	v_alignbit_b32 v38, v39, v38, 16
	v_and_b32_e32 v39, 0xffff0000, v39
	v_mul_f32_e32 v35, v36, v35
	v_bfe_u32 v44, v42, 16, 1
	v_mul_f32_e32 v39, v36, v39
	v_bfe_u32 v45, v35, 16, 1
	v_add3_u32 v44, v42, v44, s19
	v_and_b32_e32 v38, 0xffff0000, v38
	v_bfe_u32 v46, v39, 16, 1
	v_add3_u32 v45, v35, v45, s19
	v_and_b32_e32 v44, 0xffff0000, v44
	v_cmp_o_f32_e64 s[2:3], v42, v42
	v_mul_f32_e32 v38, v36, v38
	v_add3_u32 v46, v39, v46, s19
	v_and_b32_e32 v45, 0xffff0000, v45
	v_cndmask_b32_e64 v42, v29, v44, s[2:3]
	v_cmp_o_f32_e64 s[2:3], v35, v35
	s_waitcnt vmcnt(0)
	v_lshlrev_b32_e32 v43, 16, v40
	v_bfe_u32 v47, v38, 16, 1
	v_and_b32_e32 v46, 0xffff0000, v46
	v_cndmask_b32_e64 v35, v29, v45, s[2:3]
	v_cmp_o_f32_e64 s[2:3], v39, v39
	v_and_b32_e32 v37, 0xffff0000, v40
	v_alignbit_b32 v40, v41, v40, 16
	v_and_b32_e32 v41, 0xffff0000, v41
	v_add3_u32 v47, v38, v47, s19
	v_cndmask_b32_e64 v39, v29, v46, s[2:3]
	v_mul_f32_e32 v42, v42, v43
	v_and_b32_e32 v44, 0xffff0000, v47
	v_mul_f32_e32 v35, v35, v37
	v_cmp_o_f32_e64 s[2:3], v38, v38
	v_mul_f32_e32 v38, v39, v41
	v_bfe_u32 v39, v42, 16, 1
	v_and_b32_e32 v40, 0xffff0000, v40
	v_cndmask_b32_e64 v37, v29, v44, s[2:3]
	v_bfe_u32 v41, v35, 16, 1
	v_add3_u32 v39, v42, v39, s19
	v_mul_f32_e32 v37, v37, v40
	v_bfe_u32 v40, v38, 16, 1
	v_add3_u32 v41, v35, v41, s19
	v_and_b32_e32 v39, 0xffff0000, v39
	v_cmp_o_f32_e64 s[2:3], v42, v42
	v_bfe_u32 v43, v37, 16, 1
	v_add3_u32 v40, v38, v40, s19
	v_and_b32_e32 v41, 0xffff0000, v41
	v_cndmask_b32_e64 v39, v29, |v39|, s[2:3]
	v_cmp_o_f32_e64 s[2:3], v35, v35
	v_add3_u32 v43, v37, v43, s19
	v_and_b32_e32 v40, 0xffff0000, v40
	v_cndmask_b32_e64 v35, v29, |v41|, s[2:3]
	v_cmp_o_f32_e64 s[2:3], v38, v38
	v_and_b32_e32 v41, 0xffff0000, v43
	v_cndmask_b32_e64 v38, v29, |v40|, s[2:3]
	v_cmp_o_f32_e64 s[2:3], v37, v37
	v_max3_f32 v5, v5, v39, v35
	v_cndmask_b32_e64 v35, v29, |v41|, s[2:3]
	v_max3_f32 v5, v5, v35, v38
	s_and_saveexec_b64 s[36:37], vcc
	s_cbranch_execz .LBB76_20
; %bb.22:                               ;   in Loop: Header=BB76_21 Depth=1
	v_add_co_u32_e32 v38, vcc, v18, v12
	v_addc_co_u32_e32 v39, vcc, v17, v13, vcc
	global_load_dwordx2 v[38:39], v[38:39], off
	v_add_co_u32_e32 v40, vcc, v26, v12
	v_addc_co_u32_e32 v41, vcc, v25, v13, vcc
	global_load_dwordx2 v[40:41], v[40:41], off
	v_mov_b32_e32 v35, s31
	v_add_co_u32_e32 v42, vcc, s30, v30
	v_addc_co_u32_e32 v43, vcc, v35, v31, vcc
	v_cmp_lt_i64_e32 vcc, v[42:43], v[10:11]
	s_waitcnt vmcnt(1)
	v_lshlrev_b32_e32 v42, 16, v38
	v_and_b32_e32 v35, 0xffff0000, v38
	v_mul_f32_e32 v42, v36, v42
	v_alignbit_b32 v38, v39, v38, 16
	v_and_b32_e32 v39, 0xffff0000, v39
	v_mul_f32_e32 v35, v36, v35
	v_bfe_u32 v44, v42, 16, 1
	v_mul_f32_e32 v39, v36, v39
	v_bfe_u32 v45, v35, 16, 1
	v_add3_u32 v44, v42, v44, s19
	v_and_b32_e32 v38, 0xffff0000, v38
	v_bfe_u32 v46, v39, 16, 1
	v_add3_u32 v45, v35, v45, s19
	v_and_b32_e32 v44, 0xffff0000, v44
	v_cmp_o_f32_e64 s[2:3], v42, v42
	v_mul_f32_e32 v38, v36, v38
	v_add3_u32 v46, v39, v46, s19
	v_and_b32_e32 v45, 0xffff0000, v45
	v_cndmask_b32_e64 v42, v29, v44, s[2:3]
	v_cmp_o_f32_e64 s[2:3], v35, v35
	s_waitcnt vmcnt(0)
	v_lshlrev_b32_e32 v43, 16, v40
	v_bfe_u32 v47, v38, 16, 1
	v_and_b32_e32 v46, 0xffff0000, v46
	v_cndmask_b32_e64 v35, v29, v45, s[2:3]
	v_cmp_o_f32_e64 s[2:3], v39, v39
	v_and_b32_e32 v37, 0xffff0000, v40
	v_alignbit_b32 v40, v41, v40, 16
	v_and_b32_e32 v41, 0xffff0000, v41
	v_add3_u32 v47, v38, v47, s19
	v_cndmask_b32_e64 v39, v29, v46, s[2:3]
	v_mul_f32_e32 v42, v42, v43
	v_and_b32_e32 v44, 0xffff0000, v47
	v_mul_f32_e32 v35, v35, v37
	v_cmp_o_f32_e64 s[2:3], v38, v38
	v_mul_f32_e32 v38, v39, v41
	v_bfe_u32 v39, v42, 16, 1
	v_and_b32_e32 v40, 0xffff0000, v40
	v_cndmask_b32_e64 v37, v29, v44, s[2:3]
	v_bfe_u32 v41, v35, 16, 1
	v_add3_u32 v39, v42, v39, s19
	v_mul_f32_e32 v37, v37, v40
	v_bfe_u32 v40, v38, 16, 1
	v_add3_u32 v41, v35, v41, s19
	v_and_b32_e32 v39, 0xffff0000, v39
	v_cmp_o_f32_e64 s[2:3], v42, v42
	v_bfe_u32 v43, v37, 16, 1
	v_add3_u32 v40, v38, v40, s19
	v_and_b32_e32 v41, 0xffff0000, v41
	v_cndmask_b32_e64 v39, v29, |v39|, s[2:3]
	v_cmp_o_f32_e64 s[2:3], v35, v35
	v_add3_u32 v43, v37, v43, s19
	v_and_b32_e32 v40, 0xffff0000, v40
	v_cndmask_b32_e64 v35, v29, |v41|, s[2:3]
	v_cmp_o_f32_e64 s[2:3], v38, v38
	v_and_b32_e32 v41, 0xffff0000, v43
	v_cndmask_b32_e64 v38, v29, |v40|, s[2:3]
	v_cmp_o_f32_e64 s[2:3], v37, v37
	v_max3_f32 v5, v5, v39, v35
	v_cndmask_b32_e64 v35, v29, |v41|, s[2:3]
	v_max3_f32 v5, v5, v35, v38
	s_mov_b64 s[2:3], -1
	s_and_saveexec_b64 s[38:39], vcc
	s_cbranch_execz .LBB76_19
; %bb.23:                               ;   in Loop: Header=BB76_21 Depth=1
	v_add_co_u32_e32 v38, vcc, v16, v12
	v_addc_co_u32_e32 v39, vcc, v15, v13, vcc
	global_load_dwordx2 v[38:39], v[38:39], off
	v_add_co_u32_e32 v40, vcc, v24, v12
	v_addc_co_u32_e32 v41, vcc, v23, v13, vcc
	global_load_dwordx2 v[40:41], v[40:41], off
	v_mov_b32_e32 v35, s7
	v_add_co_u32_e32 v30, vcc, s16, v30
	v_addc_co_u32_e32 v31, vcc, v35, v31, vcc
	v_cmp_lt_i64_e32 vcc, v[30:31], v[10:11]
	s_mov_b64 s[40:41], -1
	s_waitcnt vmcnt(1)
	v_lshlrev_b32_e32 v35, 16, v38
	v_and_b32_e32 v30, 0xffff0000, v38
	v_mul_f32_e32 v35, v36, v35
	v_alignbit_b32 v37, v39, v38, 16
	v_and_b32_e32 v38, 0xffff0000, v39
	v_mul_f32_e32 v30, v36, v30
	v_bfe_u32 v42, v35, 16, 1
	v_mul_f32_e32 v38, v36, v38
	v_bfe_u32 v43, v30, 16, 1
	v_add3_u32 v42, v35, v42, s19
	v_and_b32_e32 v37, 0xffff0000, v37
	v_bfe_u32 v44, v38, 16, 1
	v_add3_u32 v43, v30, v43, s19
	v_and_b32_e32 v42, 0xffff0000, v42
	v_cmp_o_f32_e64 s[2:3], v35, v35
	v_mul_f32_e32 v37, v36, v37
	v_add3_u32 v44, v38, v44, s19
	v_and_b32_e32 v43, 0xffff0000, v43
	v_cndmask_b32_e64 v35, v29, v42, s[2:3]
	v_cmp_o_f32_e64 s[2:3], v30, v30
	s_waitcnt vmcnt(0)
	v_lshlrev_b32_e32 v39, 16, v40
	v_bfe_u32 v45, v37, 16, 1
	v_and_b32_e32 v44, 0xffff0000, v44
	v_cndmask_b32_e64 v30, v29, v43, s[2:3]
	v_cmp_o_f32_e64 s[2:3], v38, v38
	v_and_b32_e32 v31, 0xffff0000, v40
	v_alignbit_b32 v40, v41, v40, 16
	v_and_b32_e32 v41, 0xffff0000, v41
	v_add3_u32 v45, v37, v45, s19
	v_cndmask_b32_e64 v38, v29, v44, s[2:3]
	v_mul_f32_e32 v35, v35, v39
	v_and_b32_e32 v42, 0xffff0000, v45
	v_mul_f32_e32 v30, v30, v31
	v_cmp_o_f32_e64 s[2:3], v37, v37
	v_mul_f32_e32 v37, v38, v41
	v_bfe_u32 v38, v35, 16, 1
	v_and_b32_e32 v40, 0xffff0000, v40
	v_cndmask_b32_e64 v31, v29, v42, s[2:3]
	v_bfe_u32 v39, v30, 16, 1
	v_add3_u32 v38, v35, v38, s19
	v_mul_f32_e32 v31, v31, v40
	v_bfe_u32 v40, v37, 16, 1
	v_add3_u32 v39, v30, v39, s19
	v_and_b32_e32 v38, 0xffff0000, v38
	v_cmp_o_f32_e64 s[2:3], v35, v35
	v_bfe_u32 v41, v31, 16, 1
	v_add3_u32 v40, v37, v40, s19
	v_and_b32_e32 v39, 0xffff0000, v39
	v_cndmask_b32_e64 v35, v29, |v38|, s[2:3]
	v_cmp_o_f32_e64 s[2:3], v30, v30
	v_add3_u32 v41, v31, v41, s19
	v_and_b32_e32 v40, 0xffff0000, v40
	v_cndmask_b32_e64 v30, v29, |v39|, s[2:3]
	v_cmp_o_f32_e64 s[2:3], v37, v37
	v_and_b32_e32 v38, 0xffff0000, v41
	v_cndmask_b32_e64 v37, v29, |v40|, s[2:3]
	v_cmp_o_f32_e64 s[2:3], v31, v31
	v_max3_f32 v5, v5, v35, v30
	v_cndmask_b32_e64 v30, v29, |v38|, s[2:3]
	v_max3_f32 v5, v5, v30, v37
                                        ; implicit-def: $vgpr30_vgpr31
	s_and_saveexec_b64 s[2:3], vcc
	s_xor_b64 s[2:3], exec, s[2:3]
	s_cbranch_execz .LBB76_18
; %bb.24:                               ;   in Loop: Header=BB76_21 Depth=1
	v_add_co_u32_e32 v30, vcc, v14, v12
	v_addc_co_u32_e32 v31, vcc, v1, v13, vcc
	global_load_dwordx2 v[38:39], v[30:31], off
	v_add_co_u32_e32 v30, vcc, v22, v12
	v_addc_co_u32_e32 v31, vcc, v21, v13, vcc
	global_load_dwordx2 v[40:41], v[30:31], off
	v_mov_b32_e32 v35, s29
	v_add_co_u32_e32 v14, vcc, s28, v14
	v_addc_co_u32_e32 v1, vcc, v1, v35, vcc
	v_add_co_u32_e32 v16, vcc, s28, v16
	s_add_u32 s23, s24, s24
	v_addc_co_u32_e32 v15, vcc, v15, v35, vcc
	s_addc_u32 s40, s25, s25
	v_add_co_u32_e32 v18, vcc, s28, v18
	v_addc_co_u32_e32 v17, vcc, v17, v35, vcc
	s_add_u32 s23, s23, s24
	s_addc_u32 s40, s40, s25
	v_add_co_u32_e32 v30, vcc, s23, v32
	v_mov_b32_e32 v31, s40
	v_addc_co_u32_e32 v31, vcc, v31, v33, vcc
	s_waitcnt vmcnt(1)
	v_lshlrev_b32_e32 v37, 16, v38
	v_and_b32_e32 v32, 0xffff0000, v38
	v_mul_f32_e32 v37, v36, v37
	v_alignbit_b32 v38, v39, v38, 16
	v_and_b32_e32 v39, 0xffff0000, v39
	v_mul_f32_e32 v32, v36, v32
	v_bfe_u32 v43, v37, 16, 1
	v_mul_f32_e32 v39, v36, v39
	v_bfe_u32 v44, v32, 16, 1
	v_add3_u32 v43, v37, v43, s19
	v_and_b32_e32 v38, 0xffff0000, v38
	v_bfe_u32 v45, v39, 16, 1
	v_add3_u32 v44, v32, v44, s19
	v_and_b32_e32 v43, 0xffff0000, v43
	v_cmp_o_f32_e32 vcc, v37, v37
	v_mul_f32_e32 v38, v36, v38
	v_add3_u32 v45, v39, v45, s19
	v_and_b32_e32 v44, 0xffff0000, v44
	v_cndmask_b32_e32 v37, v29, v43, vcc
	v_cmp_o_f32_e32 vcc, v32, v32
	s_waitcnt vmcnt(0)
	v_lshlrev_b32_e32 v42, 16, v40
	v_bfe_u32 v46, v38, 16, 1
	v_and_b32_e32 v45, 0xffff0000, v45
	v_cndmask_b32_e32 v32, v29, v44, vcc
	v_cmp_o_f32_e32 vcc, v39, v39
	v_and_b32_e32 v33, 0xffff0000, v40
	v_alignbit_b32 v40, v41, v40, 16
	v_and_b32_e32 v41, 0xffff0000, v41
	v_add3_u32 v46, v38, v46, s19
	v_cndmask_b32_e32 v39, v29, v45, vcc
	v_mul_f32_e32 v37, v37, v42
	v_and_b32_e32 v43, 0xffff0000, v46
	v_mul_f32_e32 v32, v32, v33
	v_cmp_o_f32_e32 vcc, v38, v38
	v_mul_f32_e32 v38, v39, v41
	v_bfe_u32 v39, v37, 16, 1
	v_and_b32_e32 v40, 0xffff0000, v40
	v_cndmask_b32_e32 v33, v29, v43, vcc
	v_bfe_u32 v41, v32, 16, 1
	v_add3_u32 v39, v37, v39, s19
	v_mul_f32_e32 v33, v33, v40
	v_bfe_u32 v40, v38, 16, 1
	v_add3_u32 v41, v32, v41, s19
	v_and_b32_e32 v39, 0xffff0000, v39
	v_cmp_o_f32_e32 vcc, v37, v37
	v_bfe_u32 v42, v33, 16, 1
	v_add3_u32 v40, v38, v40, s19
	v_and_b32_e32 v41, 0xffff0000, v41
	v_cndmask_b32_e64 v37, v29, |v39|, vcc
	v_cmp_o_f32_e32 vcc, v32, v32
	v_add3_u32 v42, v33, v42, s19
	v_and_b32_e32 v40, 0xffff0000, v40
	v_cndmask_b32_e64 v32, v29, |v41|, vcc
	v_cmp_o_f32_e32 vcc, v38, v38
	v_and_b32_e32 v39, 0xffff0000, v42
	v_cndmask_b32_e64 v38, v29, |v40|, vcc
	v_cmp_o_f32_e32 vcc, v33, v33
	v_max3_f32 v5, v5, v37, v32
	v_cndmask_b32_e64 v32, v29, |v39|, vcc
	v_add_co_u32_e32 v20, vcc, s28, v20
	v_addc_co_u32_e32 v19, vcc, v19, v35, vcc
	v_add_co_u32_e32 v22, vcc, s28, v22
	v_addc_co_u32_e32 v21, vcc, v21, v35, vcc
	;; [unrolled: 2-line block ×5, first 2 shown]
	v_cmp_ge_i64_e32 vcc, v[30:31], v[10:11]
	v_max3_f32 v5, v5, v32, v38
	s_orn2_b64 s[40:41], vcc, exec
	s_branch .LBB76_18
.LBB76_25:
	s_or_b64 exec, exec, s[12:13]
.LBB76_26:
	s_or_b64 exec, exec, s[26:27]
	s_lshr_b32 s7, s43, 6
	v_cvt_f32_u32_e32 v10, s7
	v_lshlrev_b32_e32 v1, 2, v0
	ds_write_b32 v1, v5
	s_sub_i32 s12, 0, s7
	v_rcp_iflag_f32_e32 v5, v10
	s_add_i32 s2, s22, s7
	s_add_i32 s2, s2, -1
	s_ashr_i32 s3, s2, 31
	v_mul_f32_e32 v5, 0x4f7ffffe, v5
	v_cvt_u32_f32_e32 v5, v5
	s_abs_i32 s2, s2
	s_ashr_i32 s23, s22, 31
	s_waitcnt lgkmcnt(0)
	v_readfirstlane_b32 s13, v5
	s_mul_i32 s12, s12, s13
	s_mul_hi_u32 s12, s13, s12
	s_add_i32 s13, s13, s12
	s_mul_hi_u32 s12, s2, s13
	s_mul_i32 s13, s12, s7
	s_sub_i32 s2, s2, s13
	s_add_i32 s13, s12, 1
	s_sub_i32 s16, s2, s7
	s_cmp_ge_u32 s2, s7
	s_cselect_b32 s12, s13, s12
	s_cselect_b32 s2, s16, s2
	s_add_i32 s13, s12, 1
	s_cmp_ge_u32 s2, s7
	s_cselect_b32 s2, s13, s12
	s_xor_b32 s2, s2, s3
	s_sub_i32 s2, s2, s3
	s_ashr_i32 s3, s2, 31
	v_cmp_lt_i64_e64 s[12:13], s[2:3], 1
	s_and_b64 vcc, exec, s[12:13]
	s_barrier
	s_cbranch_vccnz .LBB76_48
; %bb.27:
	v_and_b32_e32 v12, 63, v0
	v_add_co_u32_e32 v14, vcc, 32, v12
	v_addc_co_u32_e64 v15, s[12:13], 0, 0, vcc
	v_add_co_u32_e32 v16, vcc, 16, v12
	v_addc_co_u32_e64 v17, s[12:13], 0, 0, vcc
	;; [unrolled: 2-line block ×4, first 2 shown]
	v_add_co_u32_e32 v22, vcc, 2, v12
	v_lshrrev_b32_e32 v10, 6, v0
	v_addc_co_u32_e64 v23, s[12:13], 0, 0, vcc
	v_add_co_u32_e32 v24, vcc, 1, v12
	v_addc_co_u32_e64 v25, s[12:13], 0, 0, vcc
	v_mul_lo_u32 v5, s24, v10
	v_lshlrev_b32_e32 v5, 2, v5
	v_lshlrev_b32_e32 v26, 2, v12
	s_movk_i32 s12, 0x100
	v_mov_b32_e32 v11, 0
	v_add3_u32 v5, v5, v26, s12
	s_mul_i32 s12, s24, s7
	v_mov_b32_e32 v13, v11
	s_lshl_b32 s16, s12, 2
	s_mov_b64 s[12:13], 0
	v_mov_b32_e32 v37, s7
	s_mov_b64 s[26:27], src_shared_base
	s_branch .LBB76_30
.LBB76_28:                              ;   in Loop: Header=BB76_30 Depth=1
	s_or_b64 exec, exec, s[30:31]
	v_mov_b32_e32 v27, s27
	flat_load_dword v26, v[26:27] glc
	s_waitcnt vmcnt(0)
.LBB76_29:                              ;   in Loop: Header=BB76_30 Depth=1
	s_or_b64 exec, exec, s[28:29]
	s_add_u32 s12, s12, 1
	s_addc_u32 s13, s13, 0
	s_cmp_eq_u64 s[12:13], s[2:3]
	v_add_u32_e32 v5, s16, v5
	s_cbranch_scc1 .LBB76_48
.LBB76_30:                              ; =>This Loop Header: Depth=1
                                        ;     Child Loop BB76_33 Depth 2
	v_mad_u64_u32 v[30:31], s[28:29], s12, v37, v[10:11]
	s_mul_i32 s19, s13, s7
	v_add_u32_e32 v31, s19, v31
	v_cmp_gt_i64_e32 vcc, s[22:23], v[30:31]
	s_and_saveexec_b64 s[28:29], vcc
	s_cbranch_execz .LBB76_29
; %bb.31:                               ;   in Loop: Header=BB76_30 Depth=1
	v_pk_mov_b32 v[32:33], s[24:25], s[24:25] op_sel:[0,1]
	v_mul_lo_u32 v29, v31, s24
	v_mul_lo_u32 v38, v30, s25
	v_mad_u64_u32 v[32:33], s[30:31], v30, s24, v[32:33]
	v_add3_u32 v33, v29, v33, v38
	v_mov_b32_e32 v28, s21
	v_cmp_gt_i64_e32 vcc, s[20:21], v[32:33]
	s_waitcnt lgkmcnt(0)
	v_mad_u64_u32 v[26:27], s[30:31], v30, s24, v[12:13]
	v_cndmask_b32_e32 v33, v28, v33, vcc
	v_mov_b32_e32 v28, s17
	v_add3_u32 v27, v29, v27, v38
	v_cndmask_b32_e32 v32, v28, v32, vcc
	v_add_co_u32_e32 v34, vcc, 64, v26
	v_addc_co_u32_e32 v35, vcc, 0, v27, vcc
	v_cmp_lt_i64_e32 vcc, v[34:35], v[32:33]
	v_lshlrev_b32_e32 v28, 2, v26
	s_and_saveexec_b64 s[30:31], vcc
	s_cbranch_execz .LBB76_34
; %bb.32:                               ;   in Loop: Header=BB76_30 Depth=1
	ds_read_b32 v31, v28
	s_mov_b64 s[34:35], 0
	v_mov_b32_e32 v27, v5
.LBB76_33:                              ;   Parent Loop BB76_30 Depth=1
                                        ; =>  This Inner Loop Header: Depth=2
	ds_read_b32 v39, v27
	v_add_co_u32_e32 v34, vcc, 64, v34
	v_addc_co_u32_e32 v35, vcc, 0, v35, vcc
	s_waitcnt lgkmcnt(1)
	v_max_f32_e32 v31, v31, v31
	v_cmp_ge_i64_e32 vcc, v[34:35], v[32:33]
	s_waitcnt lgkmcnt(0)
	v_max_f32_e32 v39, v39, v39
	v_add_u32_e32 v27, 0x100, v27
	s_or_b64 s[34:35], vcc, s[34:35]
	v_max_f32_e32 v31, v31, v39
	ds_write_b32 v28, v31
	s_andn2_b64 exec, exec, s[34:35]
	s_cbranch_execnz .LBB76_33
.LBB76_34:                              ;   in Loop: Header=BB76_30 Depth=1
	s_or_b64 exec, exec, s[30:31]
	v_mad_u64_u32 v[30:31], s[30:31], v30, s24, 0
	v_add3_u32 v27, v31, v38, v29
	v_sub_co_u32_e32 v30, vcc, v32, v30
	v_subb_co_u32_e32 v31, vcc, v33, v27, vcc
	v_cmp_gt_i64_e32 vcc, 64, v[30:31]
	v_cndmask_b32_e32 v31, 0, v31, vcc
	v_cndmask_b32_e32 v30, 64, v30, vcc
	v_cmp_lt_i64_e32 vcc, v[14:15], v[30:31]
	s_and_saveexec_b64 s[30:31], vcc
	s_cbranch_execnz .LBB76_46
; %bb.35:                               ;   in Loop: Header=BB76_30 Depth=1
	s_or_b64 exec, exec, s[30:31]
	v_cmp_lt_i64_e32 vcc, v[16:17], v[30:31]
	s_and_saveexec_b64 s[30:31], vcc
	s_cbranch_execnz .LBB76_47
.LBB76_36:                              ;   in Loop: Header=BB76_30 Depth=1
	s_or_b64 exec, exec, s[30:31]
	v_cmp_lt_i64_e32 vcc, v[18:19], v[30:31]
	s_and_saveexec_b64 s[30:31], vcc
	s_cbranch_execz .LBB76_38
.LBB76_37:                              ;   in Loop: Header=BB76_30 Depth=1
	v_mov_b32_e32 v29, s27
	v_add_u32_e32 v32, 32, v28
	v_mov_b32_e32 v33, s27
	flat_load_dword v27, v[28:29] glc
	s_waitcnt vmcnt(0)
	flat_load_dword v34, v[32:33] glc
	s_waitcnt vmcnt(0) lgkmcnt(0)
	v_max_f32_e32 v27, v27, v27
	v_max_f32_e32 v32, v34, v34
	;; [unrolled: 1-line block ×3, first 2 shown]
	flat_store_dword v[28:29], v27
	s_waitcnt vmcnt(0)
.LBB76_38:                              ;   in Loop: Header=BB76_30 Depth=1
	s_or_b64 exec, exec, s[30:31]
	v_cmp_ge_i64_e32 vcc, v[20:21], v[30:31]
	s_and_saveexec_b64 s[30:31], vcc
	s_xor_b64 s[30:31], exec, s[30:31]
; %bb.39:                               ;   in Loop: Header=BB76_30 Depth=1
                                        ; implicit-def: $vgpr28
; %bb.40:                               ;   in Loop: Header=BB76_30 Depth=1
	s_andn2_saveexec_b64 s[30:31], s[30:31]
	s_cbranch_execz .LBB76_42
; %bb.41:                               ;   in Loop: Header=BB76_30 Depth=1
	v_mov_b32_e32 v29, s27
	v_add_u32_e32 v32, 16, v28
	v_mov_b32_e32 v33, s27
	flat_load_dword v27, v[28:29] glc
	s_waitcnt vmcnt(0)
	flat_load_dword v34, v[32:33] glc
	s_waitcnt vmcnt(0) lgkmcnt(0)
	v_max_f32_e32 v27, v27, v27
	v_max_f32_e32 v32, v34, v34
	;; [unrolled: 1-line block ×3, first 2 shown]
	flat_store_dword v[28:29], v27
	s_waitcnt vmcnt(0)
.LBB76_42:                              ;   in Loop: Header=BB76_30 Depth=1
	s_or_b64 exec, exec, s[30:31]
	v_cmp_lt_i64_e32 vcc, v[22:23], v[30:31]
	v_lshlrev_b32_e32 v26, 2, v26
	s_and_saveexec_b64 s[30:31], vcc
	s_cbranch_execz .LBB76_44
; %bb.43:                               ;   in Loop: Header=BB76_30 Depth=1
	v_mov_b32_e32 v27, s27
	v_add_u32_e32 v28, 8, v26
	v_mov_b32_e32 v29, s27
	flat_load_dword v32, v[26:27] glc
	s_waitcnt vmcnt(0)
	flat_load_dword v33, v[28:29] glc
	s_waitcnt vmcnt(0) lgkmcnt(0)
	v_max_f32_e32 v28, v32, v32
	v_max_f32_e32 v29, v33, v33
	;; [unrolled: 1-line block ×3, first 2 shown]
	flat_store_dword v[26:27], v28
	s_waitcnt vmcnt(0)
.LBB76_44:                              ;   in Loop: Header=BB76_30 Depth=1
	s_or_b64 exec, exec, s[30:31]
	v_cmp_lt_i64_e32 vcc, v[24:25], v[30:31]
	s_and_saveexec_b64 s[30:31], vcc
	s_cbranch_execz .LBB76_28
; %bb.45:                               ;   in Loop: Header=BB76_30 Depth=1
	v_mov_b32_e32 v27, s27
	v_add_u32_e32 v28, 4, v26
	v_mov_b32_e32 v29, s27
	flat_load_dword v30, v[26:27] glc
	s_waitcnt vmcnt(0)
	flat_load_dword v31, v[28:29] glc
	s_waitcnt vmcnt(0) lgkmcnt(0)
	v_max_f32_e32 v28, v30, v30
	v_max_f32_e32 v29, v31, v31
	;; [unrolled: 1-line block ×3, first 2 shown]
	flat_store_dword v[26:27], v28
	s_waitcnt vmcnt(0)
	s_branch .LBB76_28
.LBB76_46:                              ;   in Loop: Header=BB76_30 Depth=1
	v_mov_b32_e32 v29, s27
	v_add_u32_e32 v32, 0x80, v28
	v_mov_b32_e32 v33, s27
	flat_load_dword v27, v[28:29] glc
	s_waitcnt vmcnt(0)
	flat_load_dword v34, v[32:33] glc
	s_waitcnt vmcnt(0) lgkmcnt(0)
	v_max_f32_e32 v27, v27, v27
	v_max_f32_e32 v32, v34, v34
	;; [unrolled: 1-line block ×3, first 2 shown]
	flat_store_dword v[28:29], v27
	s_waitcnt vmcnt(0)
	s_or_b64 exec, exec, s[30:31]
	v_cmp_lt_i64_e32 vcc, v[16:17], v[30:31]
	s_and_saveexec_b64 s[30:31], vcc
	s_cbranch_execz .LBB76_36
.LBB76_47:                              ;   in Loop: Header=BB76_30 Depth=1
	v_mov_b32_e32 v29, s27
	v_add_u32_e32 v32, 64, v28
	v_mov_b32_e32 v33, s27
	flat_load_dword v27, v[28:29] glc
	s_waitcnt vmcnt(0)
	flat_load_dword v34, v[32:33] glc
	s_waitcnt vmcnt(0) lgkmcnt(0)
	v_max_f32_e32 v27, v27, v27
	v_max_f32_e32 v32, v34, v34
	v_max_f32_e32 v27, v27, v32
	flat_store_dword v[28:29], v27
	s_waitcnt vmcnt(0)
	s_or_b64 exec, exec, s[30:31]
	v_cmp_lt_i64_e32 vcc, v[18:19], v[30:31]
	s_and_saveexec_b64 s[30:31], vcc
	s_cbranch_execnz .LBB76_37
	s_branch .LBB76_38
.LBB76_48:
	v_cmp_eq_u32_e32 vcc, 0, v4
	v_cmp_lt_i64_e64 s[2:3], v[6:7], v[8:9]
	s_and_b64 s[24:25], vcc, s[2:3]
	s_mul_i32 s7, s23, s6
	s_mul_hi_u32 s16, s22, s6
	s_mul_i32 s2, s22, s6
	s_waitcnt lgkmcnt(0)
	s_barrier
	s_and_saveexec_b64 s[12:13], s[24:25]
	s_cbranch_execz .LBB76_52
; %bb.49:
	s_load_dwordx2 s[4:5], s[4:5], 0x20
	ds_read_b32 v1, v1
	s_waitcnt lgkmcnt(0)
	s_cmp_eq_u64 s[4:5], 0
	s_cbranch_scc1 .LBB76_51
; %bb.50:
	s_load_dword s3, s[4:5], 0x0
	v_max_f32_e32 v1, v1, v1
	s_waitcnt lgkmcnt(0)
	v_max_f32_e64 v4, s3, s3
	v_min_f32_e32 v1, v1, v4
.LBB76_51:
	s_mov_b32 s3, 0x43600000
	v_div_scale_f32 v4, s[4:5], s3, s3, v1
	v_rcp_f32_e32 v5, v4
	v_div_scale_f32 v6, vcc, v1, s3, v1
	v_lshlrev_b64 v[2:3], 2, v[2:3]
	v_fma_f32 v7, -v4, v5, 1.0
	v_fmac_f32_e32 v5, v7, v5
	v_mul_f32_e32 v7, v6, v5
	v_fma_f32 v8, -v4, v7, v6
	v_fmac_f32_e32 v7, v8, v5
	v_fma_f32 v4, -v4, v7, v6
	v_div_fmas_f32 v4, v4, v5, v7
	v_div_fixup_f32 v1, v4, s3, v1
	s_add_i32 s3, s16, s7
	s_lshl_b64 s[4:5], s[2:3], 2
	s_add_u32 s3, s10, s4
	s_addc_u32 s4, s11, s5
	v_mov_b32_e32 v4, s4
	v_add_co_u32_e32 v2, vcc, s3, v2
	v_max_f32_e32 v1, 0x37124925, v1
	v_addc_co_u32_e32 v3, vcc, v4, v3, vcc
	global_store_dword v[2:3], v1, off
.LBB76_52:
	s_or_b64 exec, exec, s[12:13]
	s_barrier
	s_and_saveexec_b64 s[4:5], s[0:1]
	s_cbranch_execz .LBB76_189
; %bb.53:
	s_mul_i32 s0, s21, s6
	s_mul_hi_u32 s1, s17, s6
	s_add_i32 s1, s1, s0
	s_mul_i32 s0, s17, s6
	s_add_u32 s19, s8, s0
	s_addc_u32 s20, s9, s1
	s_add_i32 s3, s16, s7
	s_lshl_b64 s[0:1], s[2:3], 2
	s_add_u32 s0, s10, s0
	s_addc_u32 s1, s11, s1
	s_mul_i32 s21, s43, 3
	s_lshl_b32 s22, s43, 1
	s_mov_b64 s[2:3], 0
	v_mov_b32_e32 v1, 0
	v_mov_b32_e32 v10, s42
	;; [unrolled: 1-line block ×3, first 2 shown]
	s_movk_i32 s23, 0x7fff
	v_mov_b32_e32 v12, 0x7fc00000
	s_mov_b32 s24, 0x43800000
	s_mov_b32 s25, 0x3bffffff
	;; [unrolled: 1-line block ×4, first 2 shown]
	s_movk_i32 s28, 0x80
	s_mov_b32 s29, 0x4020c0c
	s_branch .LBB76_59
.LBB76_54:                              ;   in Loop: Header=BB76_59 Depth=1
	s_or_b64 exec, exec, s[16:17]
.LBB76_55:                              ;   in Loop: Header=BB76_59 Depth=1
	s_or_b64 exec, exec, s[10:11]
	v_lshlrev_b64 v[14:15], 2, v[0:1]
	v_mov_b32_e32 v0, s20
	v_add_co_u32_e32 v14, vcc, s19, v14
	v_addc_co_u32_e32 v15, vcc, v0, v15, vcc
	v_lshlrev_b32_e32 v0, 16, v6
	v_lshlrev_b32_e32 v3, 8, v8
	v_perm_b32 v0, v4, v0, s29
	v_and_b32_e32 v3, 0xff00, v3
	v_and_b32_e32 v4, 0xff, v9
	s_add_i32 s10, s43, s43
	v_or3_b32 v0, v0, v3, v4
	s_add_i32 s10, s10, s43
	global_store_dword v[14:15], v0, off
	v_add_u32_e32 v0, s10, v2
	v_cmp_le_u32_e32 vcc, s18, v0
	s_orn2_b64 s[10:11], vcc, exec
.LBB76_56:                              ;   in Loop: Header=BB76_59 Depth=1
	s_or_b64 exec, exec, s[8:9]
	s_orn2_b64 s[8:9], s[10:11], exec
.LBB76_57:                              ;   in Loop: Header=BB76_59 Depth=1
	s_or_b64 exec, exec, s[6:7]
	s_orn2_b64 s[6:7], s[8:9], exec
.LBB76_58:                              ;   in Loop: Header=BB76_59 Depth=1
	s_or_b64 exec, exec, s[4:5]
	s_and_b64 s[4:5], exec, s[6:7]
	s_or_b64 s[2:3], s[4:5], s[2:3]
	s_andn2_b64 exec, exec, s[2:3]
	s_cbranch_execz .LBB76_189
.LBB76_59:                              ; =>This Inner Loop Header: Depth=1
	v_lshlrev_b64 v[2:3], 3, v[0:1]
	v_add_co_u32_e32 v4, vcc, s33, v2
	v_addc_co_u32_e32 v5, vcc, v10, v3, vcc
	global_load_dwordx2 v[4:5], v[4:5], off
	v_add_co_u32_e32 v2, vcc, s14, v2
	v_addc_co_u32_e32 v3, vcc, v11, v3, vcc
	global_load_dwordx2 v[2:3], v[2:3], off
	v_lshrrev_b32_e32 v6, 3, v0
	v_and_b32_e32 v6, 0x7fffffc, v6
	global_load_dword v6, v6, s[0:1]
	s_waitcnt vmcnt(2)
	v_lshlrev_b32_e32 v7, 16, v4
	v_mul_f32_e32 v7, v36, v7
	v_bfe_u32 v9, v7, 16, 1
	v_add3_u32 v9, v7, v9, s23
	v_and_b32_e32 v9, 0xffff0000, v9
	v_cmp_o_f32_e32 vcc, v7, v7
	s_waitcnt vmcnt(1)
	v_lshlrev_b32_e32 v8, 16, v2
	v_cndmask_b32_e32 v7, v12, v9, vcc
	v_mul_f32_e32 v7, v7, v8
	v_bfe_u32 v8, v7, 16, 1
	v_add3_u32 v8, v7, v8, s23
	v_and_b32_e32 v8, 0xffff0000, v8
	v_cmp_o_f32_e32 vcc, v7, v7
	v_cndmask_b32_e32 v8, v12, v8, vcc
	s_waitcnt vmcnt(0)
	v_div_scale_f32 v9, s[4:5], v6, v6, v8
	v_rcp_f32_e32 v13, v9
	v_div_scale_f32 v14, vcc, v8, v6, v8
	v_mov_b32_e32 v7, 0x80
	v_fma_f32 v15, -v9, v13, 1.0
	v_fmac_f32_e32 v13, v15, v13
	v_mul_f32_e32 v15, v14, v13
	v_fma_f32 v16, -v9, v15, v14
	v_fmac_f32_e32 v15, v16, v13
	v_fma_f32 v9, -v9, v15, v14
	v_div_fmas_f32 v9, v9, v13, v15
	v_div_fixup_f32 v8, v9, v6, v8
	v_min_f32_e32 v8, 0x43600000, v8
	v_max_f32_e32 v9, 0xc3600000, v8
	v_and_b32_e32 v13, 0x7fffffff, v9
	v_cmp_gt_u32_e32 vcc, s24, v13
	v_mov_b32_e32 v8, 0x80
	s_and_saveexec_b64 s[4:5], vcc
	s_cbranch_execz .LBB76_65
; %bb.60:                               ;   in Loop: Header=BB76_59 Depth=1
	v_cmp_lt_u32_e32 vcc, s25, v13
	s_mov_b64 s[6:7], 0
                                        ; implicit-def: $vgpr13
	s_and_saveexec_b64 s[8:9], vcc
	s_xor_b64 s[8:9], exec, s[8:9]
	s_cbranch_execnz .LBB76_156
; %bb.61:                               ;   in Loop: Header=BB76_59 Depth=1
	s_or_saveexec_b64 s[8:9], s[8:9]
                                        ; implicit-def: $sgpr10
	s_xor_b64 exec, exec, s[8:9]
	s_cbranch_execnz .LBB76_157
.LBB76_62:                              ;   in Loop: Header=BB76_59 Depth=1
	s_or_b64 exec, exec, s[8:9]
	v_mov_b32_e32 v8, s10
	s_and_saveexec_b64 s[8:9], s[6:7]
.LBB76_63:                              ;   in Loop: Header=BB76_59 Depth=1
	v_lshrrev_b32_e32 v8, 24, v9
	v_and_or_b32 v8, v8, s28, v13
.LBB76_64:                              ;   in Loop: Header=BB76_59 Depth=1
	s_or_b64 exec, exec, s[8:9]
.LBB76_65:                              ;   in Loop: Header=BB76_59 Depth=1
	s_or_b64 exec, exec, s[4:5]
	v_and_b32_e32 v9, 0xffff0000, v4
	v_mul_f32_e32 v9, v36, v9
	v_bfe_u32 v14, v9, 16, 1
	v_add3_u32 v14, v9, v14, s23
	v_and_b32_e32 v14, 0xffff0000, v14
	v_cmp_o_f32_e32 vcc, v9, v9
	v_and_b32_e32 v13, 0xffff0000, v2
	v_cndmask_b32_e32 v9, v12, v14, vcc
	v_mul_f32_e32 v9, v9, v13
	v_bfe_u32 v13, v9, 16, 1
	v_add3_u32 v13, v9, v13, s23
	v_and_b32_e32 v13, 0xffff0000, v13
	v_cmp_o_f32_e32 vcc, v9, v9
	v_cndmask_b32_e32 v9, v12, v13, vcc
	v_div_scale_f32 v13, s[4:5], v6, v6, v9
	v_rcp_f32_e32 v14, v13
	v_fma_f32 v15, -v13, v14, 1.0
	v_fmac_f32_e32 v14, v15, v14
	v_div_scale_f32 v15, vcc, v9, v6, v9
	v_mul_f32_e32 v16, v15, v14
	v_fma_f32 v17, -v13, v16, v15
	v_fmac_f32_e32 v16, v17, v14
	v_fma_f32 v13, -v13, v16, v15
	v_div_fmas_f32 v13, v13, v14, v16
	v_div_fixup_f32 v9, v13, v6, v9
	v_min_f32_e32 v9, 0x43600000, v9
	v_max_f32_e32 v9, 0xc3600000, v9
	v_and_b32_e32 v13, 0x7fffffff, v9
	v_cmp_gt_u32_e32 vcc, s24, v13
	s_and_saveexec_b64 s[4:5], vcc
	s_cbranch_execz .LBB76_71
; %bb.66:                               ;   in Loop: Header=BB76_59 Depth=1
	v_cmp_lt_u32_e32 vcc, s25, v13
	s_mov_b64 s[6:7], 0
                                        ; implicit-def: $vgpr13
	s_and_saveexec_b64 s[8:9], vcc
	s_xor_b64 s[8:9], exec, s[8:9]
	s_cbranch_execnz .LBB76_158
; %bb.67:                               ;   in Loop: Header=BB76_59 Depth=1
	s_or_saveexec_b64 s[8:9], s[8:9]
                                        ; implicit-def: $sgpr10
	s_xor_b64 exec, exec, s[8:9]
	s_cbranch_execnz .LBB76_159
.LBB76_68:                              ;   in Loop: Header=BB76_59 Depth=1
	s_or_b64 exec, exec, s[8:9]
	v_mov_b32_e32 v7, s10
	s_and_saveexec_b64 s[8:9], s[6:7]
.LBB76_69:                              ;   in Loop: Header=BB76_59 Depth=1
	v_lshrrev_b32_e32 v7, 24, v9
	v_and_or_b32 v7, v7, s28, v13
.LBB76_70:                              ;   in Loop: Header=BB76_59 Depth=1
	s_or_b64 exec, exec, s[8:9]
.LBB76_71:                              ;   in Loop: Header=BB76_59 Depth=1
	s_or_b64 exec, exec, s[4:5]
	v_alignbit_b32 v4, v5, v4, 16
	v_and_b32_e32 v4, 0xffff0000, v4
	v_mul_f32_e32 v4, v36, v4
	v_bfe_u32 v9, v4, 16, 1
	v_add3_u32 v9, v4, v9, s23
	v_and_b32_e32 v9, 0xffff0000, v9
	v_cmp_o_f32_e32 vcc, v4, v4
	v_alignbit_b32 v2, v3, v2, 16
	v_cndmask_b32_e32 v4, v12, v9, vcc
	v_and_b32_e32 v2, 0xffff0000, v2
	v_mul_f32_e32 v2, v4, v2
	v_bfe_u32 v4, v2, 16, 1
	v_add3_u32 v4, v2, v4, s23
	v_and_b32_e32 v4, 0xffff0000, v4
	v_cmp_o_f32_e32 vcc, v2, v2
	v_cndmask_b32_e32 v2, v12, v4, vcc
	v_div_scale_f32 v4, s[4:5], v6, v6, v2
	v_rcp_f32_e32 v9, v4
	v_fma_f32 v13, -v4, v9, 1.0
	v_fmac_f32_e32 v9, v13, v9
	v_div_scale_f32 v13, vcc, v2, v6, v2
	v_mul_f32_e32 v14, v13, v9
	v_fma_f32 v15, -v4, v14, v13
	v_fmac_f32_e32 v14, v15, v9
	v_fma_f32 v4, -v4, v14, v13
	v_div_fmas_f32 v4, v4, v9, v14
	v_div_fixup_f32 v2, v4, v6, v2
	v_min_f32_e32 v2, 0x43600000, v2
	v_max_f32_e32 v9, 0xc3600000, v2
	v_and_b32_e32 v13, 0x7fffffff, v9
	v_cmp_gt_u32_e32 vcc, s24, v13
	v_mov_b32_e32 v2, 0x80
	v_mov_b32_e32 v4, 0x80
	s_and_saveexec_b64 s[4:5], vcc
	s_cbranch_execz .LBB76_77
; %bb.72:                               ;   in Loop: Header=BB76_59 Depth=1
	v_cmp_lt_u32_e32 vcc, s25, v13
	s_mov_b64 s[6:7], 0
                                        ; implicit-def: $vgpr13
	s_and_saveexec_b64 s[8:9], vcc
	s_xor_b64 s[8:9], exec, s[8:9]
	s_cbranch_execnz .LBB76_160
; %bb.73:                               ;   in Loop: Header=BB76_59 Depth=1
	s_or_saveexec_b64 s[8:9], s[8:9]
                                        ; implicit-def: $sgpr10
	s_xor_b64 exec, exec, s[8:9]
	s_cbranch_execnz .LBB76_161
.LBB76_74:                              ;   in Loop: Header=BB76_59 Depth=1
	s_or_b64 exec, exec, s[8:9]
	v_mov_b32_e32 v4, s10
	s_and_saveexec_b64 s[8:9], s[6:7]
.LBB76_75:                              ;   in Loop: Header=BB76_59 Depth=1
	v_lshrrev_b32_e32 v4, 24, v9
	v_and_or_b32 v4, v4, s28, v13
.LBB76_76:                              ;   in Loop: Header=BB76_59 Depth=1
	s_or_b64 exec, exec, s[8:9]
.LBB76_77:                              ;   in Loop: Header=BB76_59 Depth=1
	s_or_b64 exec, exec, s[4:5]
	v_and_b32_e32 v5, 0xffff0000, v5
	v_mul_f32_e32 v5, v36, v5
	v_bfe_u32 v9, v5, 16, 1
	v_add3_u32 v9, v5, v9, s23
	v_and_b32_e32 v9, 0xffff0000, v9
	v_cmp_o_f32_e32 vcc, v5, v5
	v_cndmask_b32_e32 v5, v12, v9, vcc
	v_and_b32_e32 v3, 0xffff0000, v3
	v_mul_f32_e32 v3, v5, v3
	v_bfe_u32 v5, v3, 16, 1
	v_add3_u32 v5, v3, v5, s23
	v_and_b32_e32 v5, 0xffff0000, v5
	v_cmp_o_f32_e32 vcc, v3, v3
	v_cndmask_b32_e32 v3, v12, v5, vcc
	v_div_scale_f32 v5, s[4:5], v6, v6, v3
	v_rcp_f32_e32 v9, v5
	v_fma_f32 v13, -v5, v9, 1.0
	v_fmac_f32_e32 v9, v13, v9
	v_div_scale_f32 v13, vcc, v3, v6, v3
	v_mul_f32_e32 v14, v13, v9
	v_fma_f32 v15, -v5, v14, v13
	v_fmac_f32_e32 v14, v15, v9
	v_fma_f32 v5, -v5, v14, v13
	v_div_fmas_f32 v5, v5, v9, v14
	v_div_fixup_f32 v3, v5, v6, v3
	v_min_f32_e32 v3, 0x43600000, v3
	v_max_f32_e32 v3, 0xc3600000, v3
	v_and_b32_e32 v5, 0x7fffffff, v3
	v_cmp_gt_u32_e32 vcc, s24, v5
	s_and_saveexec_b64 s[4:5], vcc
	s_cbranch_execz .LBB76_83
; %bb.78:                               ;   in Loop: Header=BB76_59 Depth=1
	v_cmp_lt_u32_e32 vcc, s25, v5
	s_mov_b64 s[6:7], 0
                                        ; implicit-def: $vgpr5
	s_and_saveexec_b64 s[8:9], vcc
	s_xor_b64 s[8:9], exec, s[8:9]
	s_cbranch_execnz .LBB76_162
; %bb.79:                               ;   in Loop: Header=BB76_59 Depth=1
	s_or_saveexec_b64 s[8:9], s[8:9]
                                        ; implicit-def: $sgpr10
	s_xor_b64 exec, exec, s[8:9]
	s_cbranch_execnz .LBB76_163
.LBB76_80:                              ;   in Loop: Header=BB76_59 Depth=1
	s_or_b64 exec, exec, s[8:9]
	v_mov_b32_e32 v2, s10
	s_and_saveexec_b64 s[8:9], s[6:7]
.LBB76_81:                              ;   in Loop: Header=BB76_59 Depth=1
	v_lshrrev_b32_e32 v2, 24, v3
	v_and_or_b32 v2, v2, s28, v5
.LBB76_82:                              ;   in Loop: Header=BB76_59 Depth=1
	s_or_b64 exec, exec, s[8:9]
.LBB76_83:                              ;   in Loop: Header=BB76_59 Depth=1
	s_or_b64 exec, exec, s[4:5]
	v_lshlrev_b64 v[14:15], 2, v[0:1]
	v_mov_b32_e32 v3, s20
	v_add_co_u32_e32 v14, vcc, s19, v14
	v_addc_co_u32_e32 v15, vcc, v3, v15, vcc
	v_lshlrev_b32_e32 v3, 16, v4
	v_perm_b32 v2, v2, v3, s29
	v_lshlrev_b32_e32 v3, 8, v7
	v_and_b32_e32 v3, 0xff00, v3
	v_and_b32_e32 v4, 0xff, v8
	v_or3_b32 v2, v2, v3, v4
	global_store_dword v[14:15], v2, off
	v_add_u32_e32 v2, s43, v0
	v_cmp_gt_u32_e32 vcc, s18, v2
	s_mov_b64 s[6:7], -1
	s_and_saveexec_b64 s[4:5], vcc
	s_cbranch_execz .LBB76_58
; %bb.84:                               ;   in Loop: Header=BB76_59 Depth=1
	v_mov_b32_e32 v3, v1
	v_lshlrev_b64 v[6:7], 3, v[2:3]
	v_mov_b32_e32 v5, s42
	v_add_co_u32_e32 v4, vcc, s33, v6
	v_addc_co_u32_e32 v5, vcc, v5, v7, vcc
	global_load_dwordx2 v[4:5], v[4:5], off
	v_mov_b32_e32 v8, s15
	v_add_co_u32_e32 v6, vcc, s14, v6
	v_addc_co_u32_e32 v7, vcc, v8, v7, vcc
	global_load_dwordx2 v[6:7], v[6:7], off
	v_lshrrev_b32_e32 v8, 3, v2
	v_and_b32_e32 v8, 0x7fffffc, v8
	global_load_dword v8, v8, s[0:1]
	s_waitcnt vmcnt(2)
	v_lshlrev_b32_e32 v9, 16, v4
	v_mul_f32_e32 v9, v36, v9
	v_bfe_u32 v14, v9, 16, 1
	v_add3_u32 v14, v9, v14, s23
	v_and_b32_e32 v14, 0xffff0000, v14
	v_cmp_o_f32_e32 vcc, v9, v9
	s_waitcnt vmcnt(1)
	v_lshlrev_b32_e32 v13, 16, v6
	v_cndmask_b32_e32 v9, v12, v14, vcc
	v_mul_f32_e32 v9, v9, v13
	v_bfe_u32 v13, v9, 16, 1
	v_add3_u32 v13, v9, v13, s23
	v_and_b32_e32 v13, 0xffff0000, v13
	v_cmp_o_f32_e32 vcc, v9, v9
	v_cndmask_b32_e32 v13, v12, v13, vcc
	s_waitcnt vmcnt(0)
	v_div_scale_f32 v14, s[6:7], v8, v8, v13
	v_rcp_f32_e32 v15, v14
	v_div_scale_f32 v16, vcc, v13, v8, v13
	v_mov_b32_e32 v9, 0x80
	v_fma_f32 v17, -v14, v15, 1.0
	v_fmac_f32_e32 v15, v17, v15
	v_mul_f32_e32 v17, v16, v15
	v_fma_f32 v18, -v14, v17, v16
	v_fmac_f32_e32 v17, v18, v15
	v_fma_f32 v14, -v14, v17, v16
	v_div_fmas_f32 v14, v14, v15, v17
	v_div_fixup_f32 v13, v14, v8, v13
	v_min_f32_e32 v13, 0x43600000, v13
	v_max_f32_e32 v14, 0xc3600000, v13
	v_and_b32_e32 v15, 0x7fffffff, v14
	v_cmp_gt_u32_e32 vcc, s24, v15
	v_mov_b32_e32 v13, 0x80
	s_and_saveexec_b64 s[6:7], vcc
	s_cbranch_execz .LBB76_90
; %bb.85:                               ;   in Loop: Header=BB76_59 Depth=1
	v_cmp_lt_u32_e32 vcc, s25, v15
	s_mov_b64 s[8:9], 0
                                        ; implicit-def: $vgpr15
	s_and_saveexec_b64 s[10:11], vcc
	s_xor_b64 s[10:11], exec, s[10:11]
	s_cbranch_execnz .LBB76_164
; %bb.86:                               ;   in Loop: Header=BB76_59 Depth=1
	s_or_saveexec_b64 s[10:11], s[10:11]
                                        ; implicit-def: $sgpr12
	s_xor_b64 exec, exec, s[10:11]
	s_cbranch_execnz .LBB76_165
.LBB76_87:                              ;   in Loop: Header=BB76_59 Depth=1
	s_or_b64 exec, exec, s[10:11]
	v_mov_b32_e32 v13, s12
	s_and_saveexec_b64 s[10:11], s[8:9]
.LBB76_88:                              ;   in Loop: Header=BB76_59 Depth=1
	v_lshrrev_b32_e32 v13, 24, v14
	v_and_or_b32 v13, v13, s28, v15
.LBB76_89:                              ;   in Loop: Header=BB76_59 Depth=1
	s_or_b64 exec, exec, s[10:11]
.LBB76_90:                              ;   in Loop: Header=BB76_59 Depth=1
	s_or_b64 exec, exec, s[6:7]
	v_and_b32_e32 v14, 0xffff0000, v4
	v_mul_f32_e32 v14, v36, v14
	v_bfe_u32 v16, v14, 16, 1
	v_add3_u32 v16, v14, v16, s23
	v_and_b32_e32 v16, 0xffff0000, v16
	v_cmp_o_f32_e32 vcc, v14, v14
	v_and_b32_e32 v15, 0xffff0000, v6
	v_cndmask_b32_e32 v14, v12, v16, vcc
	v_mul_f32_e32 v14, v14, v15
	v_bfe_u32 v15, v14, 16, 1
	v_add3_u32 v15, v14, v15, s23
	v_and_b32_e32 v15, 0xffff0000, v15
	v_cmp_o_f32_e32 vcc, v14, v14
	v_cndmask_b32_e32 v14, v12, v15, vcc
	v_div_scale_f32 v15, s[6:7], v8, v8, v14
	v_rcp_f32_e32 v16, v15
	v_fma_f32 v17, -v15, v16, 1.0
	v_fmac_f32_e32 v16, v17, v16
	v_div_scale_f32 v17, vcc, v14, v8, v14
	v_mul_f32_e32 v18, v17, v16
	v_fma_f32 v19, -v15, v18, v17
	v_fmac_f32_e32 v18, v19, v16
	v_fma_f32 v15, -v15, v18, v17
	v_div_fmas_f32 v15, v15, v16, v18
	v_div_fixup_f32 v14, v15, v8, v14
	v_min_f32_e32 v14, 0x43600000, v14
	v_max_f32_e32 v14, 0xc3600000, v14
	v_and_b32_e32 v15, 0x7fffffff, v14
	v_cmp_gt_u32_e32 vcc, s24, v15
	s_and_saveexec_b64 s[6:7], vcc
	s_cbranch_execz .LBB76_96
; %bb.91:                               ;   in Loop: Header=BB76_59 Depth=1
	v_cmp_lt_u32_e32 vcc, s25, v15
	s_mov_b64 s[8:9], 0
                                        ; implicit-def: $vgpr15
	s_and_saveexec_b64 s[10:11], vcc
	s_xor_b64 s[10:11], exec, s[10:11]
	s_cbranch_execnz .LBB76_166
; %bb.92:                               ;   in Loop: Header=BB76_59 Depth=1
	s_or_saveexec_b64 s[10:11], s[10:11]
                                        ; implicit-def: $sgpr12
	s_xor_b64 exec, exec, s[10:11]
	s_cbranch_execnz .LBB76_167
.LBB76_93:                              ;   in Loop: Header=BB76_59 Depth=1
	s_or_b64 exec, exec, s[10:11]
	v_mov_b32_e32 v9, s12
	s_and_saveexec_b64 s[10:11], s[8:9]
.LBB76_94:                              ;   in Loop: Header=BB76_59 Depth=1
	v_lshrrev_b32_e32 v9, 24, v14
	v_and_or_b32 v9, v9, s28, v15
.LBB76_95:                              ;   in Loop: Header=BB76_59 Depth=1
	s_or_b64 exec, exec, s[10:11]
.LBB76_96:                              ;   in Loop: Header=BB76_59 Depth=1
	s_or_b64 exec, exec, s[6:7]
	v_alignbit_b32 v4, v5, v4, 16
	v_and_b32_e32 v4, 0xffff0000, v4
	v_mul_f32_e32 v4, v36, v4
	v_bfe_u32 v14, v4, 16, 1
	v_add3_u32 v14, v4, v14, s23
	v_and_b32_e32 v14, 0xffff0000, v14
	v_cmp_o_f32_e32 vcc, v4, v4
	v_alignbit_b32 v6, v7, v6, 16
	v_cndmask_b32_e32 v4, v12, v14, vcc
	v_and_b32_e32 v6, 0xffff0000, v6
	v_mul_f32_e32 v4, v4, v6
	v_bfe_u32 v6, v4, 16, 1
	v_add3_u32 v6, v4, v6, s23
	v_and_b32_e32 v6, 0xffff0000, v6
	v_cmp_o_f32_e32 vcc, v4, v4
	v_cndmask_b32_e32 v4, v12, v6, vcc
	v_div_scale_f32 v6, s[6:7], v8, v8, v4
	v_rcp_f32_e32 v14, v6
	v_fma_f32 v15, -v6, v14, 1.0
	v_fmac_f32_e32 v14, v15, v14
	v_div_scale_f32 v15, vcc, v4, v8, v4
	v_mul_f32_e32 v16, v15, v14
	v_fma_f32 v17, -v6, v16, v15
	v_fmac_f32_e32 v16, v17, v14
	v_fma_f32 v6, -v6, v16, v15
	v_div_fmas_f32 v6, v6, v14, v16
	v_div_fixup_f32 v4, v6, v8, v4
	v_min_f32_e32 v4, 0x43600000, v4
	v_max_f32_e32 v14, 0xc3600000, v4
	v_and_b32_e32 v15, 0x7fffffff, v14
	v_cmp_gt_u32_e32 vcc, s24, v15
	v_mov_b32_e32 v4, 0x80
	v_mov_b32_e32 v6, 0x80
	s_and_saveexec_b64 s[6:7], vcc
	s_cbranch_execz .LBB76_102
; %bb.97:                               ;   in Loop: Header=BB76_59 Depth=1
	v_cmp_lt_u32_e32 vcc, s25, v15
	s_mov_b64 s[8:9], 0
                                        ; implicit-def: $vgpr15
	s_and_saveexec_b64 s[10:11], vcc
	s_xor_b64 s[10:11], exec, s[10:11]
	s_cbranch_execnz .LBB76_168
; %bb.98:                               ;   in Loop: Header=BB76_59 Depth=1
	s_or_saveexec_b64 s[10:11], s[10:11]
                                        ; implicit-def: $sgpr12
	s_xor_b64 exec, exec, s[10:11]
	s_cbranch_execnz .LBB76_169
.LBB76_99:                              ;   in Loop: Header=BB76_59 Depth=1
	s_or_b64 exec, exec, s[10:11]
	v_mov_b32_e32 v6, s12
	s_and_saveexec_b64 s[10:11], s[8:9]
.LBB76_100:                             ;   in Loop: Header=BB76_59 Depth=1
	v_lshrrev_b32_e32 v6, 24, v14
	v_and_or_b32 v6, v6, s28, v15
.LBB76_101:                             ;   in Loop: Header=BB76_59 Depth=1
	s_or_b64 exec, exec, s[10:11]
.LBB76_102:                             ;   in Loop: Header=BB76_59 Depth=1
	s_or_b64 exec, exec, s[6:7]
	v_and_b32_e32 v5, 0xffff0000, v5
	v_mul_f32_e32 v5, v36, v5
	v_bfe_u32 v14, v5, 16, 1
	v_add3_u32 v14, v5, v14, s23
	v_and_b32_e32 v14, 0xffff0000, v14
	v_cmp_o_f32_e32 vcc, v5, v5
	v_cndmask_b32_e32 v5, v12, v14, vcc
	v_and_b32_e32 v7, 0xffff0000, v7
	v_mul_f32_e32 v5, v5, v7
	v_bfe_u32 v7, v5, 16, 1
	v_add3_u32 v7, v5, v7, s23
	v_and_b32_e32 v7, 0xffff0000, v7
	v_cmp_o_f32_e32 vcc, v5, v5
	v_cndmask_b32_e32 v5, v12, v7, vcc
	v_div_scale_f32 v7, s[6:7], v8, v8, v5
	v_rcp_f32_e32 v14, v7
	v_fma_f32 v15, -v7, v14, 1.0
	v_fmac_f32_e32 v14, v15, v14
	v_div_scale_f32 v15, vcc, v5, v8, v5
	v_mul_f32_e32 v16, v15, v14
	v_fma_f32 v17, -v7, v16, v15
	v_fmac_f32_e32 v16, v17, v14
	v_fma_f32 v7, -v7, v16, v15
	v_div_fmas_f32 v7, v7, v14, v16
	v_div_fixup_f32 v5, v7, v8, v5
	v_min_f32_e32 v5, 0x43600000, v5
	v_max_f32_e32 v5, 0xc3600000, v5
	v_and_b32_e32 v7, 0x7fffffff, v5
	v_cmp_gt_u32_e32 vcc, s24, v7
	s_and_saveexec_b64 s[6:7], vcc
	s_cbranch_execz .LBB76_108
; %bb.103:                              ;   in Loop: Header=BB76_59 Depth=1
	v_cmp_lt_u32_e32 vcc, s25, v7
	s_mov_b64 s[8:9], 0
                                        ; implicit-def: $vgpr7
	s_and_saveexec_b64 s[10:11], vcc
	s_xor_b64 s[10:11], exec, s[10:11]
	s_cbranch_execnz .LBB76_170
; %bb.104:                              ;   in Loop: Header=BB76_59 Depth=1
	s_or_saveexec_b64 s[10:11], s[10:11]
                                        ; implicit-def: $sgpr12
	s_xor_b64 exec, exec, s[10:11]
	s_cbranch_execnz .LBB76_171
.LBB76_105:                             ;   in Loop: Header=BB76_59 Depth=1
	s_or_b64 exec, exec, s[10:11]
	v_mov_b32_e32 v4, s12
	s_and_saveexec_b64 s[10:11], s[8:9]
.LBB76_106:                             ;   in Loop: Header=BB76_59 Depth=1
	v_lshrrev_b32_e32 v4, 24, v5
	v_and_or_b32 v4, v4, s28, v7
.LBB76_107:                             ;   in Loop: Header=BB76_59 Depth=1
	s_or_b64 exec, exec, s[10:11]
.LBB76_108:                             ;   in Loop: Header=BB76_59 Depth=1
	s_or_b64 exec, exec, s[6:7]
	v_lshlrev_b64 v[14:15], 2, v[2:3]
	v_mov_b32_e32 v3, s20
	v_add_co_u32_e32 v14, vcc, s19, v14
	v_addc_co_u32_e32 v15, vcc, v3, v15, vcc
	v_lshlrev_b32_e32 v3, 16, v6
	v_perm_b32 v3, v4, v3, s29
	v_lshlrev_b32_e32 v4, 8, v9
	v_and_b32_e32 v4, 0xff00, v4
	v_and_b32_e32 v5, 0xff, v13
	v_or3_b32 v3, v3, v4, v5
	v_add_u32_e32 v4, s22, v0
	v_cmp_gt_u32_e32 vcc, s18, v4
	s_mov_b64 s[8:9], -1
	global_store_dword v[14:15], v3, off
	s_and_saveexec_b64 s[6:7], vcc
	s_cbranch_execz .LBB76_57
; %bb.109:                              ;   in Loop: Header=BB76_59 Depth=1
	v_mov_b32_e32 v5, v1
	v_lshlrev_b64 v[8:9], 3, v[4:5]
	v_mov_b32_e32 v3, s42
	v_add_co_u32_e32 v6, vcc, s33, v8
	v_addc_co_u32_e32 v7, vcc, v3, v9, vcc
	global_load_dwordx2 v[6:7], v[6:7], off
	v_mov_b32_e32 v3, s15
	v_add_co_u32_e32 v8, vcc, s14, v8
	v_addc_co_u32_e32 v9, vcc, v3, v9, vcc
	global_load_dwordx2 v[8:9], v[8:9], off
	v_lshrrev_b32_e32 v3, 3, v4
	v_and_b32_e32 v3, 0x7fffffc, v3
	global_load_dword v3, v3, s[0:1]
	s_waitcnt vmcnt(2)
	v_lshlrev_b32_e32 v13, 16, v6
	v_mul_f32_e32 v13, v36, v13
	v_bfe_u32 v15, v13, 16, 1
	v_add3_u32 v15, v13, v15, s23
	v_and_b32_e32 v15, 0xffff0000, v15
	v_cmp_o_f32_e32 vcc, v13, v13
	s_waitcnt vmcnt(1)
	v_lshlrev_b32_e32 v14, 16, v8
	v_cndmask_b32_e32 v13, v12, v15, vcc
	v_mul_f32_e32 v13, v13, v14
	v_bfe_u32 v14, v13, 16, 1
	v_add3_u32 v14, v13, v14, s23
	v_and_b32_e32 v14, 0xffff0000, v14
	v_cmp_o_f32_e32 vcc, v13, v13
	v_cndmask_b32_e32 v14, v12, v14, vcc
	s_waitcnt vmcnt(0)
	v_div_scale_f32 v15, s[8:9], v3, v3, v14
	v_rcp_f32_e32 v16, v15
	v_div_scale_f32 v17, vcc, v14, v3, v14
	v_mov_b32_e32 v13, 0x80
	v_fma_f32 v18, -v15, v16, 1.0
	v_fmac_f32_e32 v16, v18, v16
	v_mul_f32_e32 v18, v17, v16
	v_fma_f32 v19, -v15, v18, v17
	v_fmac_f32_e32 v18, v19, v16
	v_fma_f32 v15, -v15, v18, v17
	v_div_fmas_f32 v15, v15, v16, v18
	v_div_fixup_f32 v14, v15, v3, v14
	v_min_f32_e32 v14, 0x43600000, v14
	v_max_f32_e32 v15, 0xc3600000, v14
	v_and_b32_e32 v16, 0x7fffffff, v15
	v_cmp_gt_u32_e32 vcc, s24, v16
	v_mov_b32_e32 v14, 0x80
	s_and_saveexec_b64 s[8:9], vcc
	s_cbranch_execz .LBB76_115
; %bb.110:                              ;   in Loop: Header=BB76_59 Depth=1
	v_cmp_lt_u32_e32 vcc, s25, v16
	s_mov_b64 s[10:11], 0
                                        ; implicit-def: $vgpr16
	s_and_saveexec_b64 s[12:13], vcc
	s_xor_b64 s[12:13], exec, s[12:13]
	s_cbranch_execnz .LBB76_172
; %bb.111:                              ;   in Loop: Header=BB76_59 Depth=1
	s_or_saveexec_b64 s[12:13], s[12:13]
                                        ; implicit-def: $sgpr16
	s_xor_b64 exec, exec, s[12:13]
	s_cbranch_execnz .LBB76_173
.LBB76_112:                             ;   in Loop: Header=BB76_59 Depth=1
	s_or_b64 exec, exec, s[12:13]
	v_mov_b32_e32 v14, s16
	s_and_saveexec_b64 s[12:13], s[10:11]
.LBB76_113:                             ;   in Loop: Header=BB76_59 Depth=1
	v_lshrrev_b32_e32 v14, 24, v15
	v_and_or_b32 v14, v14, s28, v16
.LBB76_114:                             ;   in Loop: Header=BB76_59 Depth=1
	s_or_b64 exec, exec, s[12:13]
.LBB76_115:                             ;   in Loop: Header=BB76_59 Depth=1
	s_or_b64 exec, exec, s[8:9]
	v_and_b32_e32 v15, 0xffff0000, v6
	v_mul_f32_e32 v15, v36, v15
	v_bfe_u32 v17, v15, 16, 1
	v_add3_u32 v17, v15, v17, s23
	v_and_b32_e32 v17, 0xffff0000, v17
	v_cmp_o_f32_e32 vcc, v15, v15
	v_and_b32_e32 v16, 0xffff0000, v8
	v_cndmask_b32_e32 v15, v12, v17, vcc
	v_mul_f32_e32 v15, v15, v16
	v_bfe_u32 v16, v15, 16, 1
	v_add3_u32 v16, v15, v16, s23
	v_and_b32_e32 v16, 0xffff0000, v16
	v_cmp_o_f32_e32 vcc, v15, v15
	v_cndmask_b32_e32 v15, v12, v16, vcc
	v_div_scale_f32 v16, s[8:9], v3, v3, v15
	v_rcp_f32_e32 v17, v16
	v_fma_f32 v18, -v16, v17, 1.0
	v_fmac_f32_e32 v17, v18, v17
	v_div_scale_f32 v18, vcc, v15, v3, v15
	v_mul_f32_e32 v19, v18, v17
	v_fma_f32 v20, -v16, v19, v18
	v_fmac_f32_e32 v19, v20, v17
	v_fma_f32 v16, -v16, v19, v18
	v_div_fmas_f32 v16, v16, v17, v19
	v_div_fixup_f32 v15, v16, v3, v15
	v_min_f32_e32 v15, 0x43600000, v15
	v_max_f32_e32 v15, 0xc3600000, v15
	v_and_b32_e32 v16, 0x7fffffff, v15
	v_cmp_gt_u32_e32 vcc, s24, v16
	s_and_saveexec_b64 s[8:9], vcc
	s_cbranch_execz .LBB76_121
; %bb.116:                              ;   in Loop: Header=BB76_59 Depth=1
	v_cmp_lt_u32_e32 vcc, s25, v16
	s_mov_b64 s[10:11], 0
                                        ; implicit-def: $vgpr16
	s_and_saveexec_b64 s[12:13], vcc
	s_xor_b64 s[12:13], exec, s[12:13]
	s_cbranch_execnz .LBB76_174
; %bb.117:                              ;   in Loop: Header=BB76_59 Depth=1
	s_or_saveexec_b64 s[12:13], s[12:13]
                                        ; implicit-def: $sgpr16
	s_xor_b64 exec, exec, s[12:13]
	s_cbranch_execnz .LBB76_175
.LBB76_118:                             ;   in Loop: Header=BB76_59 Depth=1
	s_or_b64 exec, exec, s[12:13]
	v_mov_b32_e32 v13, s16
	s_and_saveexec_b64 s[12:13], s[10:11]
.LBB76_119:                             ;   in Loop: Header=BB76_59 Depth=1
	v_lshrrev_b32_e32 v13, 24, v15
	v_and_or_b32 v13, v13, s28, v16
.LBB76_120:                             ;   in Loop: Header=BB76_59 Depth=1
	s_or_b64 exec, exec, s[12:13]
.LBB76_121:                             ;   in Loop: Header=BB76_59 Depth=1
	s_or_b64 exec, exec, s[8:9]
	v_alignbit_b32 v6, v7, v6, 16
	v_and_b32_e32 v6, 0xffff0000, v6
	v_mul_f32_e32 v6, v36, v6
	v_bfe_u32 v15, v6, 16, 1
	v_add3_u32 v15, v6, v15, s23
	v_and_b32_e32 v15, 0xffff0000, v15
	v_cmp_o_f32_e32 vcc, v6, v6
	v_alignbit_b32 v8, v9, v8, 16
	v_cndmask_b32_e32 v6, v12, v15, vcc
	v_and_b32_e32 v8, 0xffff0000, v8
	v_mul_f32_e32 v6, v6, v8
	v_bfe_u32 v8, v6, 16, 1
	v_add3_u32 v8, v6, v8, s23
	v_and_b32_e32 v8, 0xffff0000, v8
	v_cmp_o_f32_e32 vcc, v6, v6
	v_cndmask_b32_e32 v6, v12, v8, vcc
	v_div_scale_f32 v8, s[8:9], v3, v3, v6
	v_rcp_f32_e32 v15, v8
	v_fma_f32 v16, -v8, v15, 1.0
	v_fmac_f32_e32 v15, v16, v15
	v_div_scale_f32 v16, vcc, v6, v3, v6
	v_mul_f32_e32 v17, v16, v15
	v_fma_f32 v18, -v8, v17, v16
	v_fmac_f32_e32 v17, v18, v15
	v_fma_f32 v8, -v8, v17, v16
	v_div_fmas_f32 v8, v8, v15, v17
	v_div_fixup_f32 v6, v8, v3, v6
	v_min_f32_e32 v6, 0x43600000, v6
	v_max_f32_e32 v15, 0xc3600000, v6
	v_and_b32_e32 v16, 0x7fffffff, v15
	v_cmp_gt_u32_e32 vcc, s24, v16
	v_mov_b32_e32 v6, 0x80
	v_mov_b32_e32 v8, 0x80
	s_and_saveexec_b64 s[8:9], vcc
	s_cbranch_execz .LBB76_127
; %bb.122:                              ;   in Loop: Header=BB76_59 Depth=1
	v_cmp_lt_u32_e32 vcc, s25, v16
	s_mov_b64 s[10:11], 0
                                        ; implicit-def: $vgpr16
	s_and_saveexec_b64 s[12:13], vcc
	s_xor_b64 s[12:13], exec, s[12:13]
	s_cbranch_execnz .LBB76_176
; %bb.123:                              ;   in Loop: Header=BB76_59 Depth=1
	s_or_saveexec_b64 s[12:13], s[12:13]
                                        ; implicit-def: $sgpr16
	s_xor_b64 exec, exec, s[12:13]
	s_cbranch_execnz .LBB76_177
.LBB76_124:                             ;   in Loop: Header=BB76_59 Depth=1
	s_or_b64 exec, exec, s[12:13]
	v_mov_b32_e32 v8, s16
	s_and_saveexec_b64 s[12:13], s[10:11]
.LBB76_125:                             ;   in Loop: Header=BB76_59 Depth=1
	v_lshrrev_b32_e32 v8, 24, v15
	v_and_or_b32 v8, v8, s28, v16
.LBB76_126:                             ;   in Loop: Header=BB76_59 Depth=1
	s_or_b64 exec, exec, s[12:13]
.LBB76_127:                             ;   in Loop: Header=BB76_59 Depth=1
	s_or_b64 exec, exec, s[8:9]
	v_and_b32_e32 v7, 0xffff0000, v7
	v_mul_f32_e32 v7, v36, v7
	v_bfe_u32 v15, v7, 16, 1
	v_add3_u32 v15, v7, v15, s23
	v_and_b32_e32 v15, 0xffff0000, v15
	v_cmp_o_f32_e32 vcc, v7, v7
	v_cndmask_b32_e32 v7, v12, v15, vcc
	v_and_b32_e32 v9, 0xffff0000, v9
	v_mul_f32_e32 v7, v7, v9
	v_bfe_u32 v9, v7, 16, 1
	v_add3_u32 v9, v7, v9, s23
	v_and_b32_e32 v9, 0xffff0000, v9
	v_cmp_o_f32_e32 vcc, v7, v7
	v_cndmask_b32_e32 v7, v12, v9, vcc
	v_div_scale_f32 v9, s[8:9], v3, v3, v7
	v_rcp_f32_e32 v15, v9
	v_fma_f32 v16, -v9, v15, 1.0
	v_fmac_f32_e32 v15, v16, v15
	v_div_scale_f32 v16, vcc, v7, v3, v7
	v_mul_f32_e32 v17, v16, v15
	v_fma_f32 v18, -v9, v17, v16
	v_fmac_f32_e32 v17, v18, v15
	v_fma_f32 v9, -v9, v17, v16
	v_div_fmas_f32 v9, v9, v15, v17
	v_div_fixup_f32 v3, v9, v3, v7
	v_min_f32_e32 v3, 0x43600000, v3
	v_max_f32_e32 v3, 0xc3600000, v3
	v_and_b32_e32 v7, 0x7fffffff, v3
	v_cmp_gt_u32_e32 vcc, s24, v7
	s_and_saveexec_b64 s[8:9], vcc
	s_cbranch_execz .LBB76_133
; %bb.128:                              ;   in Loop: Header=BB76_59 Depth=1
	v_cmp_lt_u32_e32 vcc, s25, v7
	s_mov_b64 s[10:11], 0
                                        ; implicit-def: $vgpr7
	s_and_saveexec_b64 s[12:13], vcc
	s_xor_b64 s[12:13], exec, s[12:13]
	s_cbranch_execnz .LBB76_178
; %bb.129:                              ;   in Loop: Header=BB76_59 Depth=1
	s_or_saveexec_b64 s[12:13], s[12:13]
                                        ; implicit-def: $sgpr16
	s_xor_b64 exec, exec, s[12:13]
	s_cbranch_execnz .LBB76_179
.LBB76_130:                             ;   in Loop: Header=BB76_59 Depth=1
	s_or_b64 exec, exec, s[12:13]
	v_mov_b32_e32 v6, s16
	s_and_saveexec_b64 s[12:13], s[10:11]
.LBB76_131:                             ;   in Loop: Header=BB76_59 Depth=1
	v_lshrrev_b32_e32 v3, 24, v3
	v_and_or_b32 v6, v3, s28, v7
.LBB76_132:                             ;   in Loop: Header=BB76_59 Depth=1
	s_or_b64 exec, exec, s[12:13]
.LBB76_133:                             ;   in Loop: Header=BB76_59 Depth=1
	s_or_b64 exec, exec, s[8:9]
	v_lshlrev_b64 v[4:5], 2, v[4:5]
	v_mov_b32_e32 v3, s20
	v_add_co_u32_e32 v4, vcc, s19, v4
	v_addc_co_u32_e32 v5, vcc, v3, v5, vcc
	v_lshlrev_b32_e32 v3, 16, v8
	v_perm_b32 v3, v6, v3, s29
	v_lshlrev_b32_e32 v6, 8, v13
	v_and_b32_e32 v6, 0xff00, v6
	v_and_b32_e32 v7, 0xff, v14
	v_add_u32_e32 v0, s21, v0
	v_or3_b32 v3, v3, v6, v7
	v_cmp_gt_u32_e32 vcc, s18, v0
	s_mov_b64 s[10:11], -1
	global_store_dword v[4:5], v3, off
	s_and_saveexec_b64 s[8:9], vcc
	s_cbranch_execz .LBB76_56
; %bb.134:                              ;   in Loop: Header=BB76_59 Depth=1
	v_lshlrev_b64 v[6:7], 3, v[0:1]
	v_mov_b32_e32 v3, s42
	v_add_co_u32_e32 v4, vcc, s33, v6
	v_addc_co_u32_e32 v5, vcc, v3, v7, vcc
	global_load_dwordx2 v[4:5], v[4:5], off
	v_mov_b32_e32 v3, s15
	v_add_co_u32_e32 v6, vcc, s14, v6
	v_addc_co_u32_e32 v7, vcc, v3, v7, vcc
	global_load_dwordx2 v[6:7], v[6:7], off
	v_lshrrev_b32_e32 v3, 3, v0
	v_and_b32_e32 v3, 0x7fffffc, v3
	global_load_dword v3, v3, s[0:1]
	s_waitcnt vmcnt(2)
	v_lshlrev_b32_e32 v8, 16, v4
	v_mul_f32_e32 v8, v36, v8
	v_bfe_u32 v13, v8, 16, 1
	v_add3_u32 v13, v8, v13, s23
	v_and_b32_e32 v13, 0xffff0000, v13
	v_cmp_o_f32_e32 vcc, v8, v8
	s_waitcnt vmcnt(1)
	v_lshlrev_b32_e32 v9, 16, v6
	v_cndmask_b32_e32 v8, v12, v13, vcc
	v_mul_f32_e32 v8, v8, v9
	v_bfe_u32 v9, v8, 16, 1
	v_add3_u32 v9, v8, v9, s23
	v_and_b32_e32 v9, 0xffff0000, v9
	v_cmp_o_f32_e32 vcc, v8, v8
	v_cndmask_b32_e32 v9, v12, v9, vcc
	s_waitcnt vmcnt(0)
	v_div_scale_f32 v13, s[10:11], v3, v3, v9
	v_rcp_f32_e32 v14, v13
	v_div_scale_f32 v15, vcc, v9, v3, v9
	v_mov_b32_e32 v8, 0x80
	v_fma_f32 v16, -v13, v14, 1.0
	v_fmac_f32_e32 v14, v16, v14
	v_mul_f32_e32 v16, v15, v14
	v_fma_f32 v17, -v13, v16, v15
	v_fmac_f32_e32 v16, v17, v14
	v_fma_f32 v13, -v13, v16, v15
	v_div_fmas_f32 v13, v13, v14, v16
	v_div_fixup_f32 v9, v13, v3, v9
	v_min_f32_e32 v9, 0x43600000, v9
	v_max_f32_e32 v13, 0xc3600000, v9
	v_and_b32_e32 v14, 0x7fffffff, v13
	v_cmp_gt_u32_e32 vcc, s24, v14
	v_mov_b32_e32 v9, 0x80
	s_and_saveexec_b64 s[10:11], vcc
	s_cbranch_execz .LBB76_140
; %bb.135:                              ;   in Loop: Header=BB76_59 Depth=1
	v_cmp_lt_u32_e32 vcc, s25, v14
	s_mov_b64 s[12:13], 0
                                        ; implicit-def: $vgpr14
	s_and_saveexec_b64 s[16:17], vcc
	s_xor_b64 s[16:17], exec, s[16:17]
	s_cbranch_execnz .LBB76_180
; %bb.136:                              ;   in Loop: Header=BB76_59 Depth=1
	s_or_saveexec_b64 s[16:17], s[16:17]
                                        ; implicit-def: $sgpr30
	s_xor_b64 exec, exec, s[16:17]
	s_cbranch_execnz .LBB76_181
.LBB76_137:                             ;   in Loop: Header=BB76_59 Depth=1
	s_or_b64 exec, exec, s[16:17]
	v_mov_b32_e32 v9, s30
	s_and_saveexec_b64 s[16:17], s[12:13]
.LBB76_138:                             ;   in Loop: Header=BB76_59 Depth=1
	v_lshrrev_b32_e32 v9, 24, v13
	v_and_or_b32 v9, v9, s28, v14
.LBB76_139:                             ;   in Loop: Header=BB76_59 Depth=1
	s_or_b64 exec, exec, s[16:17]
.LBB76_140:                             ;   in Loop: Header=BB76_59 Depth=1
	s_or_b64 exec, exec, s[10:11]
	v_and_b32_e32 v13, 0xffff0000, v4
	v_mul_f32_e32 v13, v36, v13
	v_bfe_u32 v15, v13, 16, 1
	v_add3_u32 v15, v13, v15, s23
	v_and_b32_e32 v15, 0xffff0000, v15
	v_cmp_o_f32_e32 vcc, v13, v13
	v_and_b32_e32 v14, 0xffff0000, v6
	v_cndmask_b32_e32 v13, v12, v15, vcc
	v_mul_f32_e32 v13, v13, v14
	v_bfe_u32 v14, v13, 16, 1
	v_add3_u32 v14, v13, v14, s23
	v_and_b32_e32 v14, 0xffff0000, v14
	v_cmp_o_f32_e32 vcc, v13, v13
	v_cndmask_b32_e32 v13, v12, v14, vcc
	v_div_scale_f32 v14, s[10:11], v3, v3, v13
	v_rcp_f32_e32 v15, v14
	v_fma_f32 v16, -v14, v15, 1.0
	v_fmac_f32_e32 v15, v16, v15
	v_div_scale_f32 v16, vcc, v13, v3, v13
	v_mul_f32_e32 v17, v16, v15
	v_fma_f32 v18, -v14, v17, v16
	v_fmac_f32_e32 v17, v18, v15
	v_fma_f32 v14, -v14, v17, v16
	v_div_fmas_f32 v14, v14, v15, v17
	v_div_fixup_f32 v13, v14, v3, v13
	v_min_f32_e32 v13, 0x43600000, v13
	v_max_f32_e32 v13, 0xc3600000, v13
	v_and_b32_e32 v14, 0x7fffffff, v13
	v_cmp_gt_u32_e32 vcc, s24, v14
	s_and_saveexec_b64 s[10:11], vcc
	s_cbranch_execz .LBB76_146
; %bb.141:                              ;   in Loop: Header=BB76_59 Depth=1
	v_cmp_lt_u32_e32 vcc, s25, v14
	s_mov_b64 s[12:13], 0
                                        ; implicit-def: $vgpr14
	s_and_saveexec_b64 s[16:17], vcc
	s_xor_b64 s[16:17], exec, s[16:17]
	s_cbranch_execnz .LBB76_182
; %bb.142:                              ;   in Loop: Header=BB76_59 Depth=1
	s_or_saveexec_b64 s[16:17], s[16:17]
                                        ; implicit-def: $sgpr30
	s_xor_b64 exec, exec, s[16:17]
	s_cbranch_execnz .LBB76_183
.LBB76_143:                             ;   in Loop: Header=BB76_59 Depth=1
	s_or_b64 exec, exec, s[16:17]
	v_mov_b32_e32 v8, s30
	s_and_saveexec_b64 s[16:17], s[12:13]
.LBB76_144:                             ;   in Loop: Header=BB76_59 Depth=1
	v_lshrrev_b32_e32 v8, 24, v13
	v_and_or_b32 v8, v8, s28, v14
.LBB76_145:                             ;   in Loop: Header=BB76_59 Depth=1
	s_or_b64 exec, exec, s[16:17]
.LBB76_146:                             ;   in Loop: Header=BB76_59 Depth=1
	s_or_b64 exec, exec, s[10:11]
	v_alignbit_b32 v4, v5, v4, 16
	v_and_b32_e32 v4, 0xffff0000, v4
	v_mul_f32_e32 v4, v36, v4
	v_bfe_u32 v13, v4, 16, 1
	v_add3_u32 v13, v4, v13, s23
	v_and_b32_e32 v13, 0xffff0000, v13
	v_cmp_o_f32_e32 vcc, v4, v4
	v_alignbit_b32 v6, v7, v6, 16
	v_cndmask_b32_e32 v4, v12, v13, vcc
	v_and_b32_e32 v6, 0xffff0000, v6
	v_mul_f32_e32 v4, v4, v6
	v_bfe_u32 v6, v4, 16, 1
	v_add3_u32 v6, v4, v6, s23
	v_and_b32_e32 v6, 0xffff0000, v6
	v_cmp_o_f32_e32 vcc, v4, v4
	v_cndmask_b32_e32 v4, v12, v6, vcc
	v_div_scale_f32 v6, s[10:11], v3, v3, v4
	v_rcp_f32_e32 v13, v6
	v_fma_f32 v14, -v6, v13, 1.0
	v_fmac_f32_e32 v13, v14, v13
	v_div_scale_f32 v14, vcc, v4, v3, v4
	v_mul_f32_e32 v15, v14, v13
	v_fma_f32 v16, -v6, v15, v14
	v_fmac_f32_e32 v15, v16, v13
	v_fma_f32 v6, -v6, v15, v14
	v_div_fmas_f32 v6, v6, v13, v15
	v_div_fixup_f32 v4, v6, v3, v4
	v_min_f32_e32 v4, 0x43600000, v4
	v_max_f32_e32 v13, 0xc3600000, v4
	v_and_b32_e32 v14, 0x7fffffff, v13
	v_cmp_gt_u32_e32 vcc, s24, v14
	v_mov_b32_e32 v4, 0x80
	v_mov_b32_e32 v6, 0x80
	s_and_saveexec_b64 s[10:11], vcc
	s_cbranch_execz .LBB76_152
; %bb.147:                              ;   in Loop: Header=BB76_59 Depth=1
	v_cmp_lt_u32_e32 vcc, s25, v14
	s_mov_b64 s[12:13], 0
                                        ; implicit-def: $vgpr14
	s_and_saveexec_b64 s[16:17], vcc
	s_xor_b64 s[16:17], exec, s[16:17]
	s_cbranch_execnz .LBB76_184
; %bb.148:                              ;   in Loop: Header=BB76_59 Depth=1
	s_or_saveexec_b64 s[16:17], s[16:17]
                                        ; implicit-def: $sgpr30
	s_xor_b64 exec, exec, s[16:17]
	s_cbranch_execnz .LBB76_185
.LBB76_149:                             ;   in Loop: Header=BB76_59 Depth=1
	s_or_b64 exec, exec, s[16:17]
	v_mov_b32_e32 v6, s30
	s_and_saveexec_b64 s[16:17], s[12:13]
.LBB76_150:                             ;   in Loop: Header=BB76_59 Depth=1
	v_lshrrev_b32_e32 v6, 24, v13
	v_and_or_b32 v6, v6, s28, v14
.LBB76_151:                             ;   in Loop: Header=BB76_59 Depth=1
	s_or_b64 exec, exec, s[16:17]
.LBB76_152:                             ;   in Loop: Header=BB76_59 Depth=1
	s_or_b64 exec, exec, s[10:11]
	v_and_b32_e32 v5, 0xffff0000, v5
	v_mul_f32_e32 v5, v36, v5
	v_bfe_u32 v13, v5, 16, 1
	v_add3_u32 v13, v5, v13, s23
	v_and_b32_e32 v13, 0xffff0000, v13
	v_cmp_o_f32_e32 vcc, v5, v5
	v_cndmask_b32_e32 v5, v12, v13, vcc
	v_and_b32_e32 v7, 0xffff0000, v7
	v_mul_f32_e32 v5, v5, v7
	v_bfe_u32 v7, v5, 16, 1
	v_add3_u32 v7, v5, v7, s23
	v_and_b32_e32 v7, 0xffff0000, v7
	v_cmp_o_f32_e32 vcc, v5, v5
	v_cndmask_b32_e32 v5, v12, v7, vcc
	v_div_scale_f32 v7, s[10:11], v3, v3, v5
	v_rcp_f32_e32 v13, v7
	v_fma_f32 v14, -v7, v13, 1.0
	v_fmac_f32_e32 v13, v14, v13
	v_div_scale_f32 v14, vcc, v5, v3, v5
	v_mul_f32_e32 v15, v14, v13
	v_fma_f32 v16, -v7, v15, v14
	v_fmac_f32_e32 v15, v16, v13
	v_fma_f32 v7, -v7, v15, v14
	v_div_fmas_f32 v7, v7, v13, v15
	v_div_fixup_f32 v3, v7, v3, v5
	v_min_f32_e32 v3, 0x43600000, v3
	v_max_f32_e32 v3, 0xc3600000, v3
	v_and_b32_e32 v5, 0x7fffffff, v3
	v_cmp_gt_u32_e32 vcc, s24, v5
	s_and_saveexec_b64 s[10:11], vcc
	s_cbranch_execz .LBB76_55
; %bb.153:                              ;   in Loop: Header=BB76_59 Depth=1
	v_cmp_lt_u32_e32 vcc, s25, v5
	s_mov_b64 s[12:13], 0
                                        ; implicit-def: $vgpr5
	s_and_saveexec_b64 s[16:17], vcc
	s_xor_b64 s[16:17], exec, s[16:17]
	s_cbranch_execnz .LBB76_186
; %bb.154:                              ;   in Loop: Header=BB76_59 Depth=1
	s_or_saveexec_b64 s[16:17], s[16:17]
                                        ; implicit-def: $sgpr30
	s_xor_b64 exec, exec, s[16:17]
	s_cbranch_execnz .LBB76_187
.LBB76_155:                             ;   in Loop: Header=BB76_59 Depth=1
	s_or_b64 exec, exec, s[16:17]
	v_mov_b32_e32 v4, s30
	s_and_saveexec_b64 s[16:17], s[12:13]
	s_cbranch_execz .LBB76_54
	s_branch .LBB76_188
.LBB76_156:                             ;   in Loop: Header=BB76_59 Depth=1
	v_bfe_u32 v8, v9, 20, 1
	v_add3_u32 v8, v9, v8, s26
	s_mov_b64 s[6:7], exec
	v_lshrrev_b32_e32 v13, 20, v8
	s_or_saveexec_b64 s[8:9], s[8:9]
                                        ; implicit-def: $sgpr10
	s_xor_b64 exec, exec, s[8:9]
	s_cbranch_execz .LBB76_62
.LBB76_157:                             ;   in Loop: Header=BB76_59 Depth=1
	v_add_f32_e64 v8, |v9|, s27
	v_and_b32_e32 v13, 0xff, v8
	v_cmp_ne_u32_e32 vcc, 0, v13
	s_andn2_b64 s[6:7], s[6:7], exec
	s_and_b64 s[12:13], vcc, exec
	s_mov_b32 s10, 0
	s_or_b64 s[6:7], s[6:7], s[12:13]
	s_or_b64 exec, exec, s[8:9]
	v_mov_b32_e32 v8, s10
	s_and_saveexec_b64 s[8:9], s[6:7]
	s_cbranch_execnz .LBB76_63
	s_branch .LBB76_64
.LBB76_158:                             ;   in Loop: Header=BB76_59 Depth=1
	v_bfe_u32 v7, v9, 20, 1
	v_add3_u32 v7, v9, v7, s26
	s_mov_b64 s[6:7], exec
	v_lshrrev_b32_e32 v13, 20, v7
	s_or_saveexec_b64 s[8:9], s[8:9]
                                        ; implicit-def: $sgpr10
	s_xor_b64 exec, exec, s[8:9]
	s_cbranch_execz .LBB76_68
.LBB76_159:                             ;   in Loop: Header=BB76_59 Depth=1
	v_add_f32_e64 v7, |v9|, s27
	v_and_b32_e32 v13, 0xff, v7
	v_cmp_ne_u32_e32 vcc, 0, v13
	s_andn2_b64 s[6:7], s[6:7], exec
	s_and_b64 s[12:13], vcc, exec
	s_mov_b32 s10, 0
	s_or_b64 s[6:7], s[6:7], s[12:13]
	s_or_b64 exec, exec, s[8:9]
	v_mov_b32_e32 v7, s10
	s_and_saveexec_b64 s[8:9], s[6:7]
	s_cbranch_execnz .LBB76_69
	s_branch .LBB76_70
.LBB76_160:                             ;   in Loop: Header=BB76_59 Depth=1
	v_bfe_u32 v4, v9, 20, 1
	v_add3_u32 v4, v9, v4, s26
	s_mov_b64 s[6:7], exec
	v_lshrrev_b32_e32 v13, 20, v4
	s_or_saveexec_b64 s[8:9], s[8:9]
                                        ; implicit-def: $sgpr10
	s_xor_b64 exec, exec, s[8:9]
	s_cbranch_execz .LBB76_74
.LBB76_161:                             ;   in Loop: Header=BB76_59 Depth=1
	v_add_f32_e64 v4, |v9|, s27
	v_and_b32_e32 v13, 0xff, v4
	v_cmp_ne_u32_e32 vcc, 0, v13
	s_andn2_b64 s[6:7], s[6:7], exec
	s_and_b64 s[12:13], vcc, exec
	s_mov_b32 s10, 0
	s_or_b64 s[6:7], s[6:7], s[12:13]
	s_or_b64 exec, exec, s[8:9]
	v_mov_b32_e32 v4, s10
	s_and_saveexec_b64 s[8:9], s[6:7]
	s_cbranch_execnz .LBB76_75
	s_branch .LBB76_76
.LBB76_162:                             ;   in Loop: Header=BB76_59 Depth=1
	v_bfe_u32 v2, v3, 20, 1
	v_add3_u32 v2, v3, v2, s26
	s_mov_b64 s[6:7], exec
	v_lshrrev_b32_e32 v5, 20, v2
	s_or_saveexec_b64 s[8:9], s[8:9]
                                        ; implicit-def: $sgpr10
	s_xor_b64 exec, exec, s[8:9]
	s_cbranch_execz .LBB76_80
.LBB76_163:                             ;   in Loop: Header=BB76_59 Depth=1
	v_add_f32_e64 v2, |v3|, s27
	v_and_b32_e32 v5, 0xff, v2
	v_cmp_ne_u32_e32 vcc, 0, v5
	s_andn2_b64 s[6:7], s[6:7], exec
	s_and_b64 s[12:13], vcc, exec
	s_mov_b32 s10, 0
	s_or_b64 s[6:7], s[6:7], s[12:13]
	s_or_b64 exec, exec, s[8:9]
	v_mov_b32_e32 v2, s10
	s_and_saveexec_b64 s[8:9], s[6:7]
	s_cbranch_execnz .LBB76_81
	s_branch .LBB76_82
.LBB76_164:                             ;   in Loop: Header=BB76_59 Depth=1
	v_bfe_u32 v13, v14, 20, 1
	v_add3_u32 v13, v14, v13, s26
	s_mov_b64 s[8:9], exec
	v_lshrrev_b32_e32 v15, 20, v13
	s_or_saveexec_b64 s[10:11], s[10:11]
                                        ; implicit-def: $sgpr12
	s_xor_b64 exec, exec, s[10:11]
	s_cbranch_execz .LBB76_87
.LBB76_165:                             ;   in Loop: Header=BB76_59 Depth=1
	v_add_f32_e64 v13, |v14|, s27
	v_and_b32_e32 v15, 0xff, v13
	v_cmp_ne_u32_e32 vcc, 0, v15
	s_andn2_b64 s[8:9], s[8:9], exec
	s_and_b64 s[16:17], vcc, exec
	s_mov_b32 s12, 0
	s_or_b64 s[8:9], s[8:9], s[16:17]
	s_or_b64 exec, exec, s[10:11]
	v_mov_b32_e32 v13, s12
	s_and_saveexec_b64 s[10:11], s[8:9]
	s_cbranch_execnz .LBB76_88
	s_branch .LBB76_89
.LBB76_166:                             ;   in Loop: Header=BB76_59 Depth=1
	v_bfe_u32 v9, v14, 20, 1
	v_add3_u32 v9, v14, v9, s26
	s_mov_b64 s[8:9], exec
	v_lshrrev_b32_e32 v15, 20, v9
	s_or_saveexec_b64 s[10:11], s[10:11]
                                        ; implicit-def: $sgpr12
	s_xor_b64 exec, exec, s[10:11]
	s_cbranch_execz .LBB76_93
.LBB76_167:                             ;   in Loop: Header=BB76_59 Depth=1
	v_add_f32_e64 v9, |v14|, s27
	v_and_b32_e32 v15, 0xff, v9
	v_cmp_ne_u32_e32 vcc, 0, v15
	s_andn2_b64 s[8:9], s[8:9], exec
	s_and_b64 s[16:17], vcc, exec
	s_mov_b32 s12, 0
	s_or_b64 s[8:9], s[8:9], s[16:17]
	s_or_b64 exec, exec, s[10:11]
	v_mov_b32_e32 v9, s12
	s_and_saveexec_b64 s[10:11], s[8:9]
	s_cbranch_execnz .LBB76_94
	s_branch .LBB76_95
.LBB76_168:                             ;   in Loop: Header=BB76_59 Depth=1
	v_bfe_u32 v6, v14, 20, 1
	v_add3_u32 v6, v14, v6, s26
	s_mov_b64 s[8:9], exec
	v_lshrrev_b32_e32 v15, 20, v6
	s_or_saveexec_b64 s[10:11], s[10:11]
                                        ; implicit-def: $sgpr12
	s_xor_b64 exec, exec, s[10:11]
	s_cbranch_execz .LBB76_99
.LBB76_169:                             ;   in Loop: Header=BB76_59 Depth=1
	v_add_f32_e64 v6, |v14|, s27
	v_and_b32_e32 v15, 0xff, v6
	v_cmp_ne_u32_e32 vcc, 0, v15
	s_andn2_b64 s[8:9], s[8:9], exec
	s_and_b64 s[16:17], vcc, exec
	s_mov_b32 s12, 0
	s_or_b64 s[8:9], s[8:9], s[16:17]
	s_or_b64 exec, exec, s[10:11]
	v_mov_b32_e32 v6, s12
	s_and_saveexec_b64 s[10:11], s[8:9]
	s_cbranch_execnz .LBB76_100
	s_branch .LBB76_101
.LBB76_170:                             ;   in Loop: Header=BB76_59 Depth=1
	v_bfe_u32 v4, v5, 20, 1
	v_add3_u32 v4, v5, v4, s26
	s_mov_b64 s[8:9], exec
	v_lshrrev_b32_e32 v7, 20, v4
	s_or_saveexec_b64 s[10:11], s[10:11]
                                        ; implicit-def: $sgpr12
	s_xor_b64 exec, exec, s[10:11]
	s_cbranch_execz .LBB76_105
.LBB76_171:                             ;   in Loop: Header=BB76_59 Depth=1
	v_add_f32_e64 v4, |v5|, s27
	v_and_b32_e32 v7, 0xff, v4
	v_cmp_ne_u32_e32 vcc, 0, v7
	s_andn2_b64 s[8:9], s[8:9], exec
	s_and_b64 s[16:17], vcc, exec
	s_mov_b32 s12, 0
	s_or_b64 s[8:9], s[8:9], s[16:17]
	s_or_b64 exec, exec, s[10:11]
	v_mov_b32_e32 v4, s12
	s_and_saveexec_b64 s[10:11], s[8:9]
	s_cbranch_execnz .LBB76_106
	s_branch .LBB76_107
.LBB76_172:                             ;   in Loop: Header=BB76_59 Depth=1
	v_bfe_u32 v14, v15, 20, 1
	v_add3_u32 v14, v15, v14, s26
	s_mov_b64 s[10:11], exec
	v_lshrrev_b32_e32 v16, 20, v14
	s_or_saveexec_b64 s[12:13], s[12:13]
                                        ; implicit-def: $sgpr16
	s_xor_b64 exec, exec, s[12:13]
	s_cbranch_execz .LBB76_112
.LBB76_173:                             ;   in Loop: Header=BB76_59 Depth=1
	v_add_f32_e64 v14, |v15|, s27
	v_and_b32_e32 v16, 0xff, v14
	v_cmp_ne_u32_e32 vcc, 0, v16
	s_andn2_b64 s[10:11], s[10:11], exec
	s_and_b64 s[30:31], vcc, exec
	s_mov_b32 s16, 0
	s_or_b64 s[10:11], s[10:11], s[30:31]
	s_or_b64 exec, exec, s[12:13]
	v_mov_b32_e32 v14, s16
	s_and_saveexec_b64 s[12:13], s[10:11]
	s_cbranch_execnz .LBB76_113
	s_branch .LBB76_114
.LBB76_174:                             ;   in Loop: Header=BB76_59 Depth=1
	v_bfe_u32 v13, v15, 20, 1
	v_add3_u32 v13, v15, v13, s26
	s_mov_b64 s[10:11], exec
	v_lshrrev_b32_e32 v16, 20, v13
	s_or_saveexec_b64 s[12:13], s[12:13]
                                        ; implicit-def: $sgpr16
	s_xor_b64 exec, exec, s[12:13]
	s_cbranch_execz .LBB76_118
.LBB76_175:                             ;   in Loop: Header=BB76_59 Depth=1
	v_add_f32_e64 v13, |v15|, s27
	v_and_b32_e32 v16, 0xff, v13
	v_cmp_ne_u32_e32 vcc, 0, v16
	s_andn2_b64 s[10:11], s[10:11], exec
	s_and_b64 s[30:31], vcc, exec
	s_mov_b32 s16, 0
	s_or_b64 s[10:11], s[10:11], s[30:31]
	s_or_b64 exec, exec, s[12:13]
	v_mov_b32_e32 v13, s16
	s_and_saveexec_b64 s[12:13], s[10:11]
	s_cbranch_execnz .LBB76_119
	s_branch .LBB76_120
.LBB76_176:                             ;   in Loop: Header=BB76_59 Depth=1
	v_bfe_u32 v8, v15, 20, 1
	v_add3_u32 v8, v15, v8, s26
	s_mov_b64 s[10:11], exec
	v_lshrrev_b32_e32 v16, 20, v8
	s_or_saveexec_b64 s[12:13], s[12:13]
                                        ; implicit-def: $sgpr16
	s_xor_b64 exec, exec, s[12:13]
	s_cbranch_execz .LBB76_124
.LBB76_177:                             ;   in Loop: Header=BB76_59 Depth=1
	v_add_f32_e64 v8, |v15|, s27
	v_and_b32_e32 v16, 0xff, v8
	v_cmp_ne_u32_e32 vcc, 0, v16
	s_andn2_b64 s[10:11], s[10:11], exec
	s_and_b64 s[30:31], vcc, exec
	s_mov_b32 s16, 0
	s_or_b64 s[10:11], s[10:11], s[30:31]
	s_or_b64 exec, exec, s[12:13]
	v_mov_b32_e32 v8, s16
	s_and_saveexec_b64 s[12:13], s[10:11]
	s_cbranch_execnz .LBB76_125
	s_branch .LBB76_126
.LBB76_178:                             ;   in Loop: Header=BB76_59 Depth=1
	v_bfe_u32 v6, v3, 20, 1
	v_add3_u32 v6, v3, v6, s26
	s_mov_b64 s[10:11], exec
	v_lshrrev_b32_e32 v7, 20, v6
	s_or_saveexec_b64 s[12:13], s[12:13]
                                        ; implicit-def: $sgpr16
	s_xor_b64 exec, exec, s[12:13]
	s_cbranch_execz .LBB76_130
.LBB76_179:                             ;   in Loop: Header=BB76_59 Depth=1
	v_add_f32_e64 v6, |v3|, s27
	v_and_b32_e32 v7, 0xff, v6
	v_cmp_ne_u32_e32 vcc, 0, v7
	s_andn2_b64 s[10:11], s[10:11], exec
	s_and_b64 s[30:31], vcc, exec
	s_mov_b32 s16, 0
	s_or_b64 s[10:11], s[10:11], s[30:31]
	s_or_b64 exec, exec, s[12:13]
	v_mov_b32_e32 v6, s16
	s_and_saveexec_b64 s[12:13], s[10:11]
	s_cbranch_execnz .LBB76_131
	s_branch .LBB76_132
.LBB76_180:                             ;   in Loop: Header=BB76_59 Depth=1
	v_bfe_u32 v9, v13, 20, 1
	v_add3_u32 v9, v13, v9, s26
	s_mov_b64 s[12:13], exec
	v_lshrrev_b32_e32 v14, 20, v9
	s_or_saveexec_b64 s[16:17], s[16:17]
                                        ; implicit-def: $sgpr30
	s_xor_b64 exec, exec, s[16:17]
	s_cbranch_execz .LBB76_137
.LBB76_181:                             ;   in Loop: Header=BB76_59 Depth=1
	v_add_f32_e64 v9, |v13|, s27
	v_and_b32_e32 v14, 0xff, v9
	v_cmp_ne_u32_e32 vcc, 0, v14
	s_andn2_b64 s[12:13], s[12:13], exec
	s_and_b64 s[34:35], vcc, exec
	s_mov_b32 s30, 0
	s_or_b64 s[12:13], s[12:13], s[34:35]
	s_or_b64 exec, exec, s[16:17]
	v_mov_b32_e32 v9, s30
	s_and_saveexec_b64 s[16:17], s[12:13]
	s_cbranch_execnz .LBB76_138
	s_branch .LBB76_139
.LBB76_182:                             ;   in Loop: Header=BB76_59 Depth=1
	v_bfe_u32 v8, v13, 20, 1
	v_add3_u32 v8, v13, v8, s26
	s_mov_b64 s[12:13], exec
	v_lshrrev_b32_e32 v14, 20, v8
	s_or_saveexec_b64 s[16:17], s[16:17]
                                        ; implicit-def: $sgpr30
	s_xor_b64 exec, exec, s[16:17]
	s_cbranch_execz .LBB76_143
.LBB76_183:                             ;   in Loop: Header=BB76_59 Depth=1
	v_add_f32_e64 v8, |v13|, s27
	v_and_b32_e32 v14, 0xff, v8
	v_cmp_ne_u32_e32 vcc, 0, v14
	s_andn2_b64 s[12:13], s[12:13], exec
	s_and_b64 s[34:35], vcc, exec
	s_mov_b32 s30, 0
	s_or_b64 s[12:13], s[12:13], s[34:35]
	s_or_b64 exec, exec, s[16:17]
	v_mov_b32_e32 v8, s30
	s_and_saveexec_b64 s[16:17], s[12:13]
	s_cbranch_execnz .LBB76_144
	s_branch .LBB76_145
.LBB76_184:                             ;   in Loop: Header=BB76_59 Depth=1
	v_bfe_u32 v6, v13, 20, 1
	v_add3_u32 v6, v13, v6, s26
	s_mov_b64 s[12:13], exec
	v_lshrrev_b32_e32 v14, 20, v6
	s_or_saveexec_b64 s[16:17], s[16:17]
                                        ; implicit-def: $sgpr30
	s_xor_b64 exec, exec, s[16:17]
	s_cbranch_execz .LBB76_149
.LBB76_185:                             ;   in Loop: Header=BB76_59 Depth=1
	v_add_f32_e64 v6, |v13|, s27
	v_and_b32_e32 v14, 0xff, v6
	v_cmp_ne_u32_e32 vcc, 0, v14
	s_andn2_b64 s[12:13], s[12:13], exec
	s_and_b64 s[34:35], vcc, exec
	s_mov_b32 s30, 0
	s_or_b64 s[12:13], s[12:13], s[34:35]
	s_or_b64 exec, exec, s[16:17]
	v_mov_b32_e32 v6, s30
	s_and_saveexec_b64 s[16:17], s[12:13]
	s_cbranch_execnz .LBB76_150
	s_branch .LBB76_151
.LBB76_186:                             ;   in Loop: Header=BB76_59 Depth=1
	v_bfe_u32 v4, v3, 20, 1
	v_add3_u32 v4, v3, v4, s26
	s_mov_b64 s[12:13], exec
	v_lshrrev_b32_e32 v5, 20, v4
	s_or_saveexec_b64 s[16:17], s[16:17]
                                        ; implicit-def: $sgpr30
	s_xor_b64 exec, exec, s[16:17]
	s_cbranch_execz .LBB76_155
.LBB76_187:                             ;   in Loop: Header=BB76_59 Depth=1
	v_add_f32_e64 v4, |v3|, s27
	v_and_b32_e32 v5, 0xff, v4
	v_cmp_ne_u32_e32 vcc, 0, v5
	s_andn2_b64 s[12:13], s[12:13], exec
	s_and_b64 s[34:35], vcc, exec
	s_mov_b32 s30, 0
	s_or_b64 s[12:13], s[12:13], s[34:35]
	s_or_b64 exec, exec, s[16:17]
	v_mov_b32_e32 v4, s30
	s_and_saveexec_b64 s[16:17], s[12:13]
	s_cbranch_execz .LBB76_54
.LBB76_188:                             ;   in Loop: Header=BB76_59 Depth=1
	v_lshrrev_b32_e32 v3, 24, v3
	v_and_or_b32 v4, v3, s28, v5
	s_branch .LBB76_54
.LBB76_189:
	s_endpgm
	.section	.rodata,"a",@progbits
	.p2align	6, 0x0
	.amdhsa_kernel _ZN4vllm31rms_norm_per_block_quant_kernelIN3c108BFloat16ENS1_15Float8_e4m3fnuzELb0ELb0ELi128EEEvPT0_PfPKT_S9_PKffiiPS7_l
		.amdhsa_group_segment_fixed_size 4164
		.amdhsa_private_segment_fixed_size 0
		.amdhsa_kernarg_size 328
		.amdhsa_user_sgpr_count 6
		.amdhsa_user_sgpr_private_segment_buffer 1
		.amdhsa_user_sgpr_dispatch_ptr 0
		.amdhsa_user_sgpr_queue_ptr 0
		.amdhsa_user_sgpr_kernarg_segment_ptr 1
		.amdhsa_user_sgpr_dispatch_id 0
		.amdhsa_user_sgpr_flat_scratch_init 0
		.amdhsa_user_sgpr_kernarg_preload_length 0
		.amdhsa_user_sgpr_kernarg_preload_offset 0
		.amdhsa_user_sgpr_private_segment_size 0
		.amdhsa_uses_dynamic_stack 0
		.amdhsa_system_sgpr_private_segment_wavefront_offset 0
		.amdhsa_system_sgpr_workgroup_id_x 1
		.amdhsa_system_sgpr_workgroup_id_y 0
		.amdhsa_system_sgpr_workgroup_id_z 0
		.amdhsa_system_sgpr_workgroup_info 0
		.amdhsa_system_vgpr_workitem_id 0
		.amdhsa_next_free_vgpr 48
		.amdhsa_next_free_sgpr 44
		.amdhsa_accum_offset 48
		.amdhsa_reserve_vcc 1
		.amdhsa_reserve_flat_scratch 0
		.amdhsa_float_round_mode_32 0
		.amdhsa_float_round_mode_16_64 0
		.amdhsa_float_denorm_mode_32 3
		.amdhsa_float_denorm_mode_16_64 3
		.amdhsa_dx10_clamp 1
		.amdhsa_ieee_mode 1
		.amdhsa_fp16_overflow 0
		.amdhsa_tg_split 0
		.amdhsa_exception_fp_ieee_invalid_op 0
		.amdhsa_exception_fp_denorm_src 0
		.amdhsa_exception_fp_ieee_div_zero 0
		.amdhsa_exception_fp_ieee_overflow 0
		.amdhsa_exception_fp_ieee_underflow 0
		.amdhsa_exception_fp_ieee_inexact 0
		.amdhsa_exception_int_div_zero 0
	.end_amdhsa_kernel
	.section	.text._ZN4vllm31rms_norm_per_block_quant_kernelIN3c108BFloat16ENS1_15Float8_e4m3fnuzELb0ELb0ELi128EEEvPT0_PfPKT_S9_PKffiiPS7_l,"axG",@progbits,_ZN4vllm31rms_norm_per_block_quant_kernelIN3c108BFloat16ENS1_15Float8_e4m3fnuzELb0ELb0ELi128EEEvPT0_PfPKT_S9_PKffiiPS7_l,comdat
.Lfunc_end76:
	.size	_ZN4vllm31rms_norm_per_block_quant_kernelIN3c108BFloat16ENS1_15Float8_e4m3fnuzELb0ELb0ELi128EEEvPT0_PfPKT_S9_PKffiiPS7_l, .Lfunc_end76-_ZN4vllm31rms_norm_per_block_quant_kernelIN3c108BFloat16ENS1_15Float8_e4m3fnuzELb0ELb0ELi128EEEvPT0_PfPKT_S9_PKffiiPS7_l
                                        ; -- End function
	.section	.AMDGPU.csdata,"",@progbits
; Kernel info:
; codeLenInByte = 12136
; NumSgprs: 48
; NumVgprs: 48
; NumAgprs: 0
; TotalNumVgprs: 48
; ScratchSize: 0
; MemoryBound: 0
; FloatMode: 240
; IeeeMode: 1
; LDSByteSize: 4164 bytes/workgroup (compile time only)
; SGPRBlocks: 5
; VGPRBlocks: 5
; NumSGPRsForWavesPerEU: 48
; NumVGPRsForWavesPerEU: 48
; AccumOffset: 48
; Occupancy: 8
; WaveLimiterHint : 0
; COMPUTE_PGM_RSRC2:SCRATCH_EN: 0
; COMPUTE_PGM_RSRC2:USER_SGPR: 6
; COMPUTE_PGM_RSRC2:TRAP_HANDLER: 0
; COMPUTE_PGM_RSRC2:TGID_X_EN: 1
; COMPUTE_PGM_RSRC2:TGID_Y_EN: 0
; COMPUTE_PGM_RSRC2:TGID_Z_EN: 0
; COMPUTE_PGM_RSRC2:TIDIG_COMP_CNT: 0
; COMPUTE_PGM_RSRC3_GFX90A:ACCUM_OFFSET: 11
; COMPUTE_PGM_RSRC3_GFX90A:TG_SPLIT: 0
	.section	.text._ZN4vllm31rms_norm_per_block_quant_kernelIN3c108BFloat16EaLb0ELb0ELi128EEEvPT0_PfPKT_S8_PKffiiPS6_l,"axG",@progbits,_ZN4vllm31rms_norm_per_block_quant_kernelIN3c108BFloat16EaLb0ELb0ELi128EEEvPT0_PfPKT_S8_PKffiiPS6_l,comdat
	.protected	_ZN4vllm31rms_norm_per_block_quant_kernelIN3c108BFloat16EaLb0ELb0ELi128EEEvPT0_PfPKT_S8_PKffiiPS6_l ; -- Begin function _ZN4vllm31rms_norm_per_block_quant_kernelIN3c108BFloat16EaLb0ELb0ELi128EEEvPT0_PfPKT_S8_PKffiiPS6_l
	.globl	_ZN4vllm31rms_norm_per_block_quant_kernelIN3c108BFloat16EaLb0ELb0ELi128EEEvPT0_PfPKT_S8_PKffiiPS6_l
	.p2align	8
	.type	_ZN4vllm31rms_norm_per_block_quant_kernelIN3c108BFloat16EaLb0ELb0ELi128EEEvPT0_PfPKT_S8_PKffiiPS6_l,@function
_ZN4vllm31rms_norm_per_block_quant_kernelIN3c108BFloat16EaLb0ELb0ELi128EEEvPT0_PfPKT_S8_PKffiiPS6_l: ; @_ZN4vllm31rms_norm_per_block_quant_kernelIN3c108BFloat16EaLb0ELb0ELi128EEEvPT0_PfPKT_S8_PKffiiPS6_l
; %bb.0:
	s_load_dwordx4 s[16:19], s[4:5], 0x28
	s_load_dwordx8 s[8:15], s[4:5], 0x0
	v_mov_b32_e32 v1, 0
	s_waitcnt lgkmcnt(0)
	s_ashr_i32 s0, s18, 31
	s_mul_hi_u32 s1, s18, s6
	s_mul_i32 s0, s0, s6
	s_add_i32 s1, s1, s0
	s_mul_i32 s0, s18, s6
	s_lshl_b64 s[28:29], s[0:1], 1
	s_add_u32 s33, s12, s28
	s_addc_u32 s42, s13, s29
	s_ashr_i32 s18, s17, 2
	s_add_u32 s2, s4, 0x48
	s_mov_b32 s20, s17
	v_cmp_gt_u32_e64 s[0:1], s18, v0
	s_addc_u32 s3, s5, 0
	s_and_saveexec_b64 s[22:23], s[0:1]
	s_cbranch_execz .LBB77_10
; %bb.1:
	s_load_dword s7, s[2:3], 0x0
	v_mov_b32_e32 v3, 0
	v_mov_b32_e32 v9, s42
	;; [unrolled: 1-line block ×3, first 2 shown]
                                        ; implicit-def: $sgpr26_sgpr27
	s_waitcnt lgkmcnt(0)
	s_cmp_lt_u32 s6, s7
	s_cselect_b32 s7, 12, 18
	s_add_u32 s24, s2, s7
	s_addc_u32 s25, s3, 0
	global_load_ushort v8, v3, s[24:25]
	s_mov_b64 s[24:25], 0
	s_waitcnt vmcnt(0)
	v_add_u32_e32 v1, v8, v8
	v_mul_lo_u32 v10, v8, 3
	v_lshlrev_b32_e32 v11, 1, v8
	v_add_u32_e32 v12, v1, v8
	v_mov_b32_e32 v1, v3
	s_branch .LBB77_5
.LBB77_2:                               ;   in Loop: Header=BB77_5 Depth=1
	s_or_b64 exec, exec, s[36:37]
	s_orn2_b64 s[36:37], s[38:39], exec
.LBB77_3:                               ;   in Loop: Header=BB77_5 Depth=1
	s_or_b64 exec, exec, s[34:35]
	s_andn2_b64 s[26:27], s[26:27], exec
	s_and_b64 s[34:35], s[36:37], exec
	s_or_b64 s[26:27], s[26:27], s[34:35]
.LBB77_4:                               ;   in Loop: Header=BB77_5 Depth=1
	s_or_b64 exec, exec, s[30:31]
	s_and_b64 s[30:31], exec, s[26:27]
	s_or_b64 s[24:25], s[30:31], s[24:25]
	s_andn2_b64 exec, exec, s[24:25]
	s_cbranch_execz .LBB77_9
.LBB77_5:                               ; =>This Inner Loop Header: Depth=1
	v_lshlrev_b64 v[4:5], 3, v[2:3]
	v_add_co_u32_e32 v4, vcc, s33, v4
	v_addc_co_u32_e32 v5, vcc, v9, v5, vcc
	global_load_dwordx2 v[6:7], v[4:5], off
	v_add_u32_e32 v4, v2, v8
	v_cmp_gt_u32_e32 vcc, s18, v4
	s_or_b64 s[26:27], s[26:27], exec
	s_waitcnt vmcnt(0)
	v_lshlrev_b32_e32 v13, 16, v6
	v_and_b32_e32 v5, 0xffff0000, v6
	v_alignbit_b32 v6, v7, v6, 16
	v_fmac_f32_e32 v1, v13, v13
	v_and_b32_e32 v6, 0xffff0000, v6
	v_fmac_f32_e32 v1, v5, v5
	v_and_b32_e32 v7, 0xffff0000, v7
	v_fmac_f32_e32 v1, v6, v6
	v_fmac_f32_e32 v1, v7, v7
	s_and_saveexec_b64 s[30:31], vcc
	s_cbranch_execz .LBB77_4
; %bb.6:                                ;   in Loop: Header=BB77_5 Depth=1
	v_mov_b32_e32 v5, v3
	v_lshlrev_b64 v[6:7], 3, v[4:5]
	v_add_co_u32_e32 v6, vcc, s33, v6
	v_addc_co_u32_e32 v7, vcc, v9, v7, vcc
	global_load_dwordx2 v[14:15], v[6:7], off
	v_add_u32_e32 v6, v11, v2
	v_cmp_gt_u32_e32 vcc, s18, v6
	s_mov_b64 s[36:37], -1
	s_waitcnt vmcnt(0)
	v_lshlrev_b32_e32 v7, 16, v14
	v_and_b32_e32 v5, 0xffff0000, v14
	v_alignbit_b32 v13, v15, v14, 16
	v_fmac_f32_e32 v1, v7, v7
	v_and_b32_e32 v13, 0xffff0000, v13
	v_fmac_f32_e32 v1, v5, v5
	v_and_b32_e32 v14, 0xffff0000, v15
	v_fmac_f32_e32 v1, v13, v13
	v_fmac_f32_e32 v1, v14, v14
	s_and_saveexec_b64 s[34:35], vcc
	s_cbranch_execz .LBB77_3
; %bb.7:                                ;   in Loop: Header=BB77_5 Depth=1
	v_mov_b32_e32 v7, v3
	v_lshlrev_b64 v[6:7], 3, v[6:7]
	v_add_co_u32_e32 v6, vcc, s33, v6
	v_addc_co_u32_e32 v7, vcc, v9, v7, vcc
	global_load_dwordx2 v[6:7], v[6:7], off
	v_add_u32_e32 v2, v10, v2
	v_cmp_gt_u32_e32 vcc, s18, v2
	s_mov_b64 s[38:39], -1
	s_waitcnt vmcnt(0)
	v_lshlrev_b32_e32 v13, 16, v6
	v_and_b32_e32 v5, 0xffff0000, v6
	v_alignbit_b32 v6, v7, v6, 16
	v_fmac_f32_e32 v1, v13, v13
	v_and_b32_e32 v6, 0xffff0000, v6
	v_fmac_f32_e32 v1, v5, v5
	v_and_b32_e32 v7, 0xffff0000, v7
	v_fmac_f32_e32 v1, v6, v6
	v_fmac_f32_e32 v1, v7, v7
	s_and_saveexec_b64 s[36:37], vcc
	s_xor_b64 s[36:37], exec, s[36:37]
	s_cbranch_execz .LBB77_2
; %bb.8:                                ;   in Loop: Header=BB77_5 Depth=1
	v_lshlrev_b64 v[6:7], 3, v[2:3]
	v_add_co_u32_e32 v6, vcc, s33, v6
	v_addc_co_u32_e32 v7, vcc, v9, v7, vcc
	global_load_dwordx2 v[6:7], v[6:7], off
	v_add_u32_e32 v2, v12, v4
	v_cmp_le_u32_e32 vcc, s18, v2
	s_orn2_b64 s[38:39], vcc, exec
	s_waitcnt vmcnt(0)
	v_lshlrev_b32_e32 v5, 16, v6
	v_and_b32_e32 v4, 0xffff0000, v6
	v_alignbit_b32 v6, v7, v6, 16
	v_fmac_f32_e32 v1, v5, v5
	v_and_b32_e32 v6, 0xffff0000, v6
	v_fmac_f32_e32 v1, v4, v4
	v_and_b32_e32 v7, 0xffff0000, v7
	v_fmac_f32_e32 v1, v6, v6
	v_fmac_f32_e32 v1, v7, v7
	s_branch .LBB77_2
.LBB77_9:
	s_or_b64 exec, exec, s[24:25]
.LBB77_10:
	s_or_b64 exec, exec, s[22:23]
	v_mbcnt_lo_u32_b32 v2, -1, 0
	v_mbcnt_hi_u32_b32 v2, -1, v2
	v_and_b32_e32 v3, 63, v2
	v_cmp_ne_u32_e32 vcc, 63, v3
	s_load_dword s2, s[2:3], 0xc
	v_addc_co_u32_e32 v4, vcc, 0, v2, vcc
	v_lshlrev_b32_e32 v4, 2, v4
	ds_bpermute_b32 v4, v4, v1
	s_waitcnt lgkmcnt(0)
	s_and_b32 s43, s2, 0xffff
	v_and_b32_e32 v5, 0x3c0, v0
	v_sub_u32_e64 v5, s43, v5 clamp
	v_add_u32_e32 v6, 1, v2
	v_add_f32_e32 v4, v1, v4
	v_cmp_lt_u32_e32 vcc, v6, v5
	v_cndmask_b32_e32 v1, v1, v4, vcc
	v_cmp_gt_u32_e32 vcc, 62, v3
	v_cndmask_b32_e64 v4, 0, 1, vcc
	v_lshlrev_b32_e32 v4, 1, v4
	v_add_lshl_u32 v4, v4, v2, 2
	ds_bpermute_b32 v4, v4, v1
	v_add_u32_e32 v6, 2, v2
	v_cmp_lt_u32_e32 vcc, v6, v5
	v_add_u32_e32 v6, 4, v2
	s_waitcnt lgkmcnt(0)
	v_add_f32_e32 v4, v1, v4
	v_cndmask_b32_e32 v1, v1, v4, vcc
	v_cmp_gt_u32_e32 vcc, 60, v3
	v_cndmask_b32_e64 v4, 0, 1, vcc
	v_lshlrev_b32_e32 v4, 2, v4
	v_add_lshl_u32 v4, v4, v2, 2
	ds_bpermute_b32 v4, v4, v1
	v_cmp_lt_u32_e32 vcc, v6, v5
	v_add_u32_e32 v6, 8, v2
	s_waitcnt lgkmcnt(0)
	v_add_f32_e32 v4, v1, v4
	v_cndmask_b32_e32 v1, v1, v4, vcc
	v_cmp_gt_u32_e32 vcc, 56, v3
	v_cndmask_b32_e64 v4, 0, 1, vcc
	v_lshlrev_b32_e32 v4, 3, v4
	v_add_lshl_u32 v4, v4, v2, 2
	ds_bpermute_b32 v4, v4, v1
	;; [unrolled: 10-line block ×3, first 2 shown]
	v_cmp_lt_u32_e32 vcc, v6, v5
	s_waitcnt lgkmcnt(0)
	v_add_f32_e32 v4, v1, v4
	v_cndmask_b32_e32 v1, v1, v4, vcc
	v_cmp_gt_u32_e32 vcc, 32, v3
	v_cndmask_b32_e64 v3, 0, 1, vcc
	v_lshlrev_b32_e32 v3, 5, v3
	v_add_lshl_u32 v3, v3, v2, 2
	ds_bpermute_b32 v3, v3, v1
	v_add_u32_e32 v4, 32, v2
	v_cmp_lt_u32_e32 vcc, v4, v5
	s_waitcnt lgkmcnt(0)
	v_add_f32_e32 v3, v1, v3
	v_cndmask_b32_e32 v1, v1, v3, vcc
	v_cmp_eq_u32_e32 vcc, 0, v2
	s_and_saveexec_b64 s[2:3], vcc
	s_cbranch_execz .LBB77_12
; %bb.11:
	v_lshrrev_b32_e32 v3, 4, v0
	v_and_b32_e32 v3, 60, v3
	ds_write_b32 v3, v1 offset:4096
.LBB77_12:
	s_or_b64 exec, exec, s[2:3]
	v_cmp_gt_u32_e32 vcc, 16, v0
	s_waitcnt lgkmcnt(0)
	s_barrier
	s_and_saveexec_b64 s[22:23], vcc
	s_cbranch_execz .LBB77_14
; %bb.13:
	v_lshlrev_b32_e32 v1, 2, v2
	ds_read_b32 v1, v1 offset:4096
	v_and_b32_e32 v3, 15, v2
	v_cmp_ne_u32_e32 vcc, 15, v3
	v_addc_co_u32_e32 v4, vcc, 0, v2, vcc
	v_lshlrev_b32_e32 v4, 2, v4
	s_waitcnt lgkmcnt(0)
	ds_bpermute_b32 v4, v4, v1
	s_add_i32 s2, s43, 63
	s_lshr_b32 s7, s2, 6
	v_add_u32_e32 v5, 1, v3
	v_cmp_gt_u32_e64 s[2:3], 14, v3
	v_cmp_gt_u32_e32 vcc, s7, v5
	v_cndmask_b32_e64 v5, 0, 1, s[2:3]
	s_waitcnt lgkmcnt(0)
	v_add_f32_e32 v4, v1, v4
	v_lshlrev_b32_e32 v5, 1, v5
	v_cndmask_b32_e32 v4, v1, v4, vcc
	v_add_lshl_u32 v5, v5, v2, 2
	ds_bpermute_b32 v5, v5, v4
	v_add_u32_e32 v6, 2, v3
	v_cmp_gt_u32_e64 s[2:3], s7, v6
	v_add_u32_e32 v6, 4, v3
	s_waitcnt lgkmcnt(0)
	v_add_f32_e32 v5, v4, v5
	v_cndmask_b32_e64 v4, v4, v5, s[2:3]
	v_cmp_gt_u32_e64 s[2:3], 12, v3
	v_cndmask_b32_e64 v5, 0, 1, s[2:3]
	v_lshlrev_b32_e32 v5, 2, v5
	v_add_lshl_u32 v5, v5, v2, 2
	ds_bpermute_b32 v5, v5, v4
	v_cmp_gt_u32_e64 s[2:3], s7, v6
	s_waitcnt lgkmcnt(0)
	v_add_f32_e32 v5, v4, v5
	v_cndmask_b32_e64 v4, v4, v5, s[2:3]
	v_cmp_gt_u32_e64 s[2:3], 8, v3
	v_cndmask_b32_e64 v5, 0, 1, s[2:3]
	v_lshlrev_b32_e32 v5, 3, v5
	v_add_lshl_u32 v2, v5, v2, 2
	ds_bpermute_b32 v2, v2, v4
	v_add_u32_e32 v3, 8, v3
	v_cmp_gt_u32_e64 s[2:3], s7, v3
	s_waitcnt lgkmcnt(0)
	v_add_f32_e32 v2, v4, v2
	v_cndmask_b32_e64 v2, v4, v2, s[2:3]
	v_cndmask_b32_e32 v1, v1, v2, vcc
.LBB77_14:
	s_or_b64 exec, exec, s[22:23]
	v_cmp_eq_u32_e32 vcc, 0, v0
	s_and_saveexec_b64 s[2:3], vcc
	s_cbranch_execz .LBB77_16
; %bb.15:
	v_cvt_f32_i32_e32 v2, s17
	s_mov_b32 s7, 0x800000
	v_div_scale_f32 v3, s[22:23], v2, v2, v1
	v_rcp_f32_e32 v4, v3
	v_div_scale_f32 v5, vcc, v1, v2, v1
	v_fma_f32 v6, -v3, v4, 1.0
	v_fmac_f32_e32 v4, v6, v4
	v_mul_f32_e32 v6, v5, v4
	v_fma_f32 v7, -v3, v6, v5
	v_fmac_f32_e32 v6, v7, v4
	v_fma_f32 v3, -v3, v6, v5
	v_div_fmas_f32 v3, v3, v4, v6
	v_div_fixup_f32 v1, v3, v2, v1
	v_add_f32_e32 v1, s16, v1
	v_mul_f32_e32 v2, 0x4b800000, v1
	v_cmp_gt_f32_e32 vcc, s7, v1
	v_cndmask_b32_e32 v1, v1, v2, vcc
	v_rsq_f32_e32 v1, v1
	v_mul_f32_e32 v2, 0x45800000, v1
	v_cndmask_b32_e32 v1, v1, v2, vcc
	v_mov_b32_e32 v2, 0
	ds_write_b32 v2, v1 offset:4160
.LBB77_16:
	s_or_b64 exec, exec, s[2:3]
	s_ashr_i32 s21, s17, 31
	s_lshr_b32 s2, s21, 25
	s_add_i32 s2, s17, s2
	s_ashr_i32 s22, s2, 7
	s_abs_i32 s3, s22
	v_cvt_f32_u32_e32 v1, s3
	s_sub_i32 s7, 0, s3
	s_ashr_i32 s2, s2, 31
	v_mov_b32_e32 v5, 0
	v_rcp_iflag_f32_e32 v1, v1
	s_waitcnt lgkmcnt(0)
	s_barrier
	v_mul_f32_e32 v1, 0x4f7ffffe, v1
	v_cvt_u32_f32_e32 v1, v1
	ds_read_b32 v36, v5 offset:4160
	v_readfirstlane_b32 s16, v1
	s_mul_i32 s7, s7, s16
	s_mul_hi_u32 s7, s16, s7
	s_add_i32 s16, s16, s7
	s_mul_hi_u32 s7, s43, s16
	s_mul_i32 s16, s7, s3
	s_sub_i32 s16, s43, s16
	s_add_i32 s19, s7, 1
	s_sub_i32 s23, s16, s3
	s_cmp_ge_u32 s16, s3
	s_cselect_b32 s7, s19, s7
	s_cselect_b32 s16, s23, s16
	s_add_i32 s19, s7, 1
	s_cmp_ge_u32 s16, s3
	s_cselect_b32 s3, s19, s7
	s_xor_b32 s3, s3, s2
	s_sub_i32 s24, s3, s2
	s_abs_i32 s2, s24
	v_cvt_f32_u32_e32 v1, s2
	s_sub_i32 s3, 0, s2
	s_ashr_i32 s25, s24, 31
	s_ashr_i32 s19, s18, 31
	v_rcp_iflag_f32_e32 v1, v1
	v_mul_f32_e32 v1, 0x4f7ffffe, v1
	v_cvt_u32_f32_e32 v1, v1
	v_mul_lo_u32 v2, s3, v1
	v_mul_hi_u32 v2, v1, v2
	v_add_u32_e32 v1, v1, v2
	v_mul_hi_u32 v1, v0, v1
	v_mul_lo_u32 v2, v1, s2
	v_sub_u32_e32 v2, v0, v2
	v_add_u32_e32 v3, 1, v1
	v_cmp_le_u32_e32 vcc, s2, v2
	v_cndmask_b32_e32 v1, v1, v3, vcc
	v_subrev_u32_e32 v3, s2, v2
	v_cndmask_b32_e32 v2, v2, v3, vcc
	v_add_u32_e32 v3, 1, v1
	v_cmp_le_u32_e32 vcc, s2, v2
	v_cndmask_b32_e32 v1, v1, v3, vcc
	v_xor_b32_e32 v1, s25, v1
	v_subrev_u32_e32 v2, s25, v1
	v_mul_lo_u32 v1, v2, s24
	v_ashrrev_i32_e32 v3, 31, v2
	v_sub_u32_e32 v4, v0, v1
	v_lshlrev_b64 v[8:9], 5, v[2:3]
	v_add_co_u32_e32 v6, vcc, v8, v4
	v_addc_co_u32_e32 v7, vcc, 0, v9, vcc
	v_add_co_u32_e32 v8, vcc, 32, v8
	v_addc_co_u32_e32 v9, vcc, 0, v9, vcc
	v_mov_b32_e32 v1, s19
	v_cmp_gt_i64_e32 vcc, s[18:19], v[8:9]
	v_cndmask_b32_e32 v9, v1, v9, vcc
	v_mov_b32_e32 v1, s18
	v_cndmask_b32_e32 v8, v1, v8, vcc
	v_ashrrev_i32_e32 v11, 31, v8
	v_mov_b32_e32 v10, v8
	v_cmp_lt_i64_e32 vcc, v[6:7], v[10:11]
	s_and_saveexec_b64 s[26:27], vcc
	s_cbranch_execz .LBB77_26
; %bb.17:
	v_lshlrev_b64 v[28:29], 8, v[2:3]
	s_mul_i32 s16, s24, 24
	v_lshlrev_b64 v[12:13], 3, v[4:5]
	v_mov_b32_e32 v1, s29
	v_add_co_u32_e32 v5, vcc, s28, v28
	s_mul_hi_i32 s7, s24, 24
	s_add_u32 s2, s12, s16
	v_addc_co_u32_e32 v19, vcc, v1, v29, vcc
	s_addc_u32 s3, s13, s7
	v_mov_b32_e32 v1, s3
	v_add_co_u32_e32 v14, vcc, s2, v5
	s_lshl_b64 s[28:29], s[24:25], 5
	s_lshl_b64 s[2:3], s[24:25], 4
	s_add_u32 s19, s12, s2
	v_addc_co_u32_e32 v1, vcc, v1, v19, vcc
	s_addc_u32 s23, s13, s3
	s_lshl_b64 s[30:31], s[24:25], 3
	v_mov_b32_e32 v15, s23
	v_add_co_u32_e32 v16, vcc, s19, v5
	s_add_u32 s19, s12, s30
	v_addc_co_u32_e32 v15, vcc, v15, v19, vcc
	s_addc_u32 s23, s13, s31
	v_mov_b32_e32 v17, s23
	v_add_co_u32_e32 v18, vcc, s19, v5
	v_addc_co_u32_e32 v17, vcc, v17, v19, vcc
	v_mov_b32_e32 v21, s13
	v_add_co_u32_e32 v20, vcc, s12, v5
	s_add_u32 s12, s14, s16
	v_addc_co_u32_e32 v19, vcc, v21, v19, vcc
	s_addc_u32 s7, s15, s7
	v_mov_b32_e32 v5, s7
	v_add_co_u32_e32 v22, vcc, s12, v28
	s_add_u32 s2, s14, s2
	v_addc_co_u32_e32 v21, vcc, v5, v29, vcc
	s_addc_u32 s3, s15, s3
	;; [unrolled: 5-line block ×3, first 2 shown]
	v_mov_b32_e32 v5, s3
	v_add_co_u32_e32 v26, vcc, s2, v28
	v_addc_co_u32_e32 v25, vcc, v5, v29, vcc
	v_mov_b32_e32 v5, s15
	v_add_co_u32_e32 v28, vcc, s14, v28
	v_addc_co_u32_e32 v27, vcc, v5, v29, vcc
	s_mul_hi_i32 s7, s24, 3
	s_mul_i32 s16, s24, 3
	s_lshl_b64 s[30:31], s[24:25], 1
	s_mov_b64 s[12:13], 0
	v_mov_b32_e32 v5, 0
	s_movk_i32 s19, 0x7fff
	v_mov_b32_e32 v29, 0x7fc00000
	v_mov_b32_e32 v34, s25
	v_pk_mov_b32 v[30:31], v[6:7], v[6:7] op_sel:[0,1]
                                        ; implicit-def: $sgpr34_sgpr35
	s_branch .LBB77_21
.LBB77_18:                              ;   in Loop: Header=BB77_21 Depth=1
	s_or_b64 exec, exec, s[2:3]
	s_orn2_b64 s[2:3], s[40:41], exec
.LBB77_19:                              ;   in Loop: Header=BB77_21 Depth=1
	s_or_b64 exec, exec, s[38:39]
	s_andn2_b64 s[34:35], s[34:35], exec
	s_and_b64 s[2:3], s[2:3], exec
	s_or_b64 s[34:35], s[34:35], s[2:3]
.LBB77_20:                              ;   in Loop: Header=BB77_21 Depth=1
	s_or_b64 exec, exec, s[36:37]
	s_and_b64 s[2:3], exec, s[34:35]
	s_or_b64 s[12:13], s[2:3], s[12:13]
	s_andn2_b64 exec, exec, s[12:13]
	s_cbranch_execz .LBB77_25
.LBB77_21:                              ; =>This Inner Loop Header: Depth=1
	v_add_co_u32_e32 v32, vcc, v20, v12
	v_addc_co_u32_e32 v33, vcc, v19, v13, vcc
	global_load_dwordx2 v[38:39], v[32:33], off
	v_add_co_u32_e32 v32, vcc, v28, v12
	v_addc_co_u32_e32 v33, vcc, v27, v13, vcc
	global_load_dwordx2 v[40:41], v[32:33], off
	v_add_co_u32_e32 v32, vcc, s24, v30
	v_addc_co_u32_e32 v33, vcc, v31, v34, vcc
	v_cmp_lt_i64_e32 vcc, v[32:33], v[10:11]
	s_or_b64 s[34:35], s[34:35], exec
	s_waitcnt vmcnt(1)
	v_lshlrev_b32_e32 v42, 16, v38
	v_and_b32_e32 v35, 0xffff0000, v38
	s_waitcnt lgkmcnt(0)
	v_mul_f32_e32 v42, v36, v42
	v_alignbit_b32 v38, v39, v38, 16
	v_and_b32_e32 v39, 0xffff0000, v39
	v_mul_f32_e32 v35, v36, v35
	v_bfe_u32 v44, v42, 16, 1
	v_mul_f32_e32 v39, v36, v39
	v_bfe_u32 v45, v35, 16, 1
	v_add3_u32 v44, v42, v44, s19
	v_and_b32_e32 v38, 0xffff0000, v38
	v_bfe_u32 v46, v39, 16, 1
	v_add3_u32 v45, v35, v45, s19
	v_and_b32_e32 v44, 0xffff0000, v44
	v_cmp_o_f32_e64 s[2:3], v42, v42
	v_mul_f32_e32 v38, v36, v38
	v_add3_u32 v46, v39, v46, s19
	v_and_b32_e32 v45, 0xffff0000, v45
	v_cndmask_b32_e64 v42, v29, v44, s[2:3]
	v_cmp_o_f32_e64 s[2:3], v35, v35
	s_waitcnt vmcnt(0)
	v_lshlrev_b32_e32 v43, 16, v40
	v_bfe_u32 v47, v38, 16, 1
	v_and_b32_e32 v46, 0xffff0000, v46
	v_cndmask_b32_e64 v35, v29, v45, s[2:3]
	v_cmp_o_f32_e64 s[2:3], v39, v39
	v_and_b32_e32 v37, 0xffff0000, v40
	v_alignbit_b32 v40, v41, v40, 16
	v_and_b32_e32 v41, 0xffff0000, v41
	v_add3_u32 v47, v38, v47, s19
	v_cndmask_b32_e64 v39, v29, v46, s[2:3]
	v_mul_f32_e32 v42, v42, v43
	v_and_b32_e32 v44, 0xffff0000, v47
	v_mul_f32_e32 v35, v35, v37
	v_cmp_o_f32_e64 s[2:3], v38, v38
	v_mul_f32_e32 v38, v39, v41
	v_bfe_u32 v39, v42, 16, 1
	v_and_b32_e32 v40, 0xffff0000, v40
	v_cndmask_b32_e64 v37, v29, v44, s[2:3]
	v_bfe_u32 v41, v35, 16, 1
	v_add3_u32 v39, v42, v39, s19
	v_mul_f32_e32 v37, v37, v40
	v_bfe_u32 v40, v38, 16, 1
	v_add3_u32 v41, v35, v41, s19
	v_and_b32_e32 v39, 0xffff0000, v39
	v_cmp_o_f32_e64 s[2:3], v42, v42
	v_bfe_u32 v43, v37, 16, 1
	v_add3_u32 v40, v38, v40, s19
	v_and_b32_e32 v41, 0xffff0000, v41
	v_cndmask_b32_e64 v39, v29, |v39|, s[2:3]
	v_cmp_o_f32_e64 s[2:3], v35, v35
	v_add3_u32 v43, v37, v43, s19
	v_and_b32_e32 v40, 0xffff0000, v40
	v_cndmask_b32_e64 v35, v29, |v41|, s[2:3]
	v_cmp_o_f32_e64 s[2:3], v38, v38
	v_and_b32_e32 v41, 0xffff0000, v43
	v_cndmask_b32_e64 v38, v29, |v40|, s[2:3]
	v_cmp_o_f32_e64 s[2:3], v37, v37
	v_max3_f32 v5, v5, v39, v35
	v_cndmask_b32_e64 v35, v29, |v41|, s[2:3]
	v_max3_f32 v5, v5, v35, v38
	s_and_saveexec_b64 s[36:37], vcc
	s_cbranch_execz .LBB77_20
; %bb.22:                               ;   in Loop: Header=BB77_21 Depth=1
	v_add_co_u32_e32 v38, vcc, v18, v12
	v_addc_co_u32_e32 v39, vcc, v17, v13, vcc
	global_load_dwordx2 v[38:39], v[38:39], off
	v_add_co_u32_e32 v40, vcc, v26, v12
	v_addc_co_u32_e32 v41, vcc, v25, v13, vcc
	global_load_dwordx2 v[40:41], v[40:41], off
	v_mov_b32_e32 v35, s31
	v_add_co_u32_e32 v42, vcc, s30, v30
	v_addc_co_u32_e32 v43, vcc, v35, v31, vcc
	v_cmp_lt_i64_e32 vcc, v[42:43], v[10:11]
	s_waitcnt vmcnt(1)
	v_lshlrev_b32_e32 v42, 16, v38
	v_and_b32_e32 v35, 0xffff0000, v38
	v_mul_f32_e32 v42, v36, v42
	v_alignbit_b32 v38, v39, v38, 16
	v_and_b32_e32 v39, 0xffff0000, v39
	v_mul_f32_e32 v35, v36, v35
	v_bfe_u32 v44, v42, 16, 1
	v_mul_f32_e32 v39, v36, v39
	v_bfe_u32 v45, v35, 16, 1
	v_add3_u32 v44, v42, v44, s19
	v_and_b32_e32 v38, 0xffff0000, v38
	v_bfe_u32 v46, v39, 16, 1
	v_add3_u32 v45, v35, v45, s19
	v_and_b32_e32 v44, 0xffff0000, v44
	v_cmp_o_f32_e64 s[2:3], v42, v42
	v_mul_f32_e32 v38, v36, v38
	v_add3_u32 v46, v39, v46, s19
	v_and_b32_e32 v45, 0xffff0000, v45
	v_cndmask_b32_e64 v42, v29, v44, s[2:3]
	v_cmp_o_f32_e64 s[2:3], v35, v35
	s_waitcnt vmcnt(0)
	v_lshlrev_b32_e32 v43, 16, v40
	v_bfe_u32 v47, v38, 16, 1
	v_and_b32_e32 v46, 0xffff0000, v46
	v_cndmask_b32_e64 v35, v29, v45, s[2:3]
	v_cmp_o_f32_e64 s[2:3], v39, v39
	v_and_b32_e32 v37, 0xffff0000, v40
	v_alignbit_b32 v40, v41, v40, 16
	v_and_b32_e32 v41, 0xffff0000, v41
	v_add3_u32 v47, v38, v47, s19
	v_cndmask_b32_e64 v39, v29, v46, s[2:3]
	v_mul_f32_e32 v42, v42, v43
	v_and_b32_e32 v44, 0xffff0000, v47
	v_mul_f32_e32 v35, v35, v37
	v_cmp_o_f32_e64 s[2:3], v38, v38
	v_mul_f32_e32 v38, v39, v41
	v_bfe_u32 v39, v42, 16, 1
	v_and_b32_e32 v40, 0xffff0000, v40
	v_cndmask_b32_e64 v37, v29, v44, s[2:3]
	v_bfe_u32 v41, v35, 16, 1
	v_add3_u32 v39, v42, v39, s19
	v_mul_f32_e32 v37, v37, v40
	v_bfe_u32 v40, v38, 16, 1
	v_add3_u32 v41, v35, v41, s19
	v_and_b32_e32 v39, 0xffff0000, v39
	v_cmp_o_f32_e64 s[2:3], v42, v42
	v_bfe_u32 v43, v37, 16, 1
	v_add3_u32 v40, v38, v40, s19
	v_and_b32_e32 v41, 0xffff0000, v41
	v_cndmask_b32_e64 v39, v29, |v39|, s[2:3]
	v_cmp_o_f32_e64 s[2:3], v35, v35
	v_add3_u32 v43, v37, v43, s19
	v_and_b32_e32 v40, 0xffff0000, v40
	v_cndmask_b32_e64 v35, v29, |v41|, s[2:3]
	v_cmp_o_f32_e64 s[2:3], v38, v38
	v_and_b32_e32 v41, 0xffff0000, v43
	v_cndmask_b32_e64 v38, v29, |v40|, s[2:3]
	v_cmp_o_f32_e64 s[2:3], v37, v37
	v_max3_f32 v5, v5, v39, v35
	v_cndmask_b32_e64 v35, v29, |v41|, s[2:3]
	v_max3_f32 v5, v5, v35, v38
	s_mov_b64 s[2:3], -1
	s_and_saveexec_b64 s[38:39], vcc
	s_cbranch_execz .LBB77_19
; %bb.23:                               ;   in Loop: Header=BB77_21 Depth=1
	v_add_co_u32_e32 v38, vcc, v16, v12
	v_addc_co_u32_e32 v39, vcc, v15, v13, vcc
	global_load_dwordx2 v[38:39], v[38:39], off
	v_add_co_u32_e32 v40, vcc, v24, v12
	v_addc_co_u32_e32 v41, vcc, v23, v13, vcc
	global_load_dwordx2 v[40:41], v[40:41], off
	v_mov_b32_e32 v35, s7
	v_add_co_u32_e32 v30, vcc, s16, v30
	v_addc_co_u32_e32 v31, vcc, v35, v31, vcc
	v_cmp_lt_i64_e32 vcc, v[30:31], v[10:11]
	s_mov_b64 s[40:41], -1
	s_waitcnt vmcnt(1)
	v_lshlrev_b32_e32 v35, 16, v38
	v_and_b32_e32 v30, 0xffff0000, v38
	v_mul_f32_e32 v35, v36, v35
	v_alignbit_b32 v37, v39, v38, 16
	v_and_b32_e32 v38, 0xffff0000, v39
	v_mul_f32_e32 v30, v36, v30
	v_bfe_u32 v42, v35, 16, 1
	v_mul_f32_e32 v38, v36, v38
	v_bfe_u32 v43, v30, 16, 1
	v_add3_u32 v42, v35, v42, s19
	v_and_b32_e32 v37, 0xffff0000, v37
	v_bfe_u32 v44, v38, 16, 1
	v_add3_u32 v43, v30, v43, s19
	v_and_b32_e32 v42, 0xffff0000, v42
	v_cmp_o_f32_e64 s[2:3], v35, v35
	v_mul_f32_e32 v37, v36, v37
	v_add3_u32 v44, v38, v44, s19
	v_and_b32_e32 v43, 0xffff0000, v43
	v_cndmask_b32_e64 v35, v29, v42, s[2:3]
	v_cmp_o_f32_e64 s[2:3], v30, v30
	s_waitcnt vmcnt(0)
	v_lshlrev_b32_e32 v39, 16, v40
	v_bfe_u32 v45, v37, 16, 1
	v_and_b32_e32 v44, 0xffff0000, v44
	v_cndmask_b32_e64 v30, v29, v43, s[2:3]
	v_cmp_o_f32_e64 s[2:3], v38, v38
	v_and_b32_e32 v31, 0xffff0000, v40
	v_alignbit_b32 v40, v41, v40, 16
	v_and_b32_e32 v41, 0xffff0000, v41
	v_add3_u32 v45, v37, v45, s19
	v_cndmask_b32_e64 v38, v29, v44, s[2:3]
	v_mul_f32_e32 v35, v35, v39
	v_and_b32_e32 v42, 0xffff0000, v45
	v_mul_f32_e32 v30, v30, v31
	v_cmp_o_f32_e64 s[2:3], v37, v37
	v_mul_f32_e32 v37, v38, v41
	v_bfe_u32 v38, v35, 16, 1
	v_and_b32_e32 v40, 0xffff0000, v40
	v_cndmask_b32_e64 v31, v29, v42, s[2:3]
	v_bfe_u32 v39, v30, 16, 1
	v_add3_u32 v38, v35, v38, s19
	v_mul_f32_e32 v31, v31, v40
	v_bfe_u32 v40, v37, 16, 1
	v_add3_u32 v39, v30, v39, s19
	v_and_b32_e32 v38, 0xffff0000, v38
	v_cmp_o_f32_e64 s[2:3], v35, v35
	v_bfe_u32 v41, v31, 16, 1
	v_add3_u32 v40, v37, v40, s19
	v_and_b32_e32 v39, 0xffff0000, v39
	v_cndmask_b32_e64 v35, v29, |v38|, s[2:3]
	v_cmp_o_f32_e64 s[2:3], v30, v30
	v_add3_u32 v41, v31, v41, s19
	v_and_b32_e32 v40, 0xffff0000, v40
	v_cndmask_b32_e64 v30, v29, |v39|, s[2:3]
	v_cmp_o_f32_e64 s[2:3], v37, v37
	v_and_b32_e32 v38, 0xffff0000, v41
	v_cndmask_b32_e64 v37, v29, |v40|, s[2:3]
	v_cmp_o_f32_e64 s[2:3], v31, v31
	v_max3_f32 v5, v5, v35, v30
	v_cndmask_b32_e64 v30, v29, |v38|, s[2:3]
	v_max3_f32 v5, v5, v30, v37
                                        ; implicit-def: $vgpr30_vgpr31
	s_and_saveexec_b64 s[2:3], vcc
	s_xor_b64 s[2:3], exec, s[2:3]
	s_cbranch_execz .LBB77_18
; %bb.24:                               ;   in Loop: Header=BB77_21 Depth=1
	v_add_co_u32_e32 v30, vcc, v14, v12
	v_addc_co_u32_e32 v31, vcc, v1, v13, vcc
	global_load_dwordx2 v[38:39], v[30:31], off
	v_add_co_u32_e32 v30, vcc, v22, v12
	v_addc_co_u32_e32 v31, vcc, v21, v13, vcc
	global_load_dwordx2 v[40:41], v[30:31], off
	v_mov_b32_e32 v35, s29
	v_add_co_u32_e32 v14, vcc, s28, v14
	v_addc_co_u32_e32 v1, vcc, v1, v35, vcc
	v_add_co_u32_e32 v16, vcc, s28, v16
	s_add_u32 s23, s24, s24
	v_addc_co_u32_e32 v15, vcc, v15, v35, vcc
	s_addc_u32 s40, s25, s25
	v_add_co_u32_e32 v18, vcc, s28, v18
	v_addc_co_u32_e32 v17, vcc, v17, v35, vcc
	s_add_u32 s23, s23, s24
	s_addc_u32 s40, s40, s25
	v_add_co_u32_e32 v30, vcc, s23, v32
	v_mov_b32_e32 v31, s40
	v_addc_co_u32_e32 v31, vcc, v31, v33, vcc
	s_waitcnt vmcnt(1)
	v_lshlrev_b32_e32 v37, 16, v38
	v_and_b32_e32 v32, 0xffff0000, v38
	v_mul_f32_e32 v37, v36, v37
	v_alignbit_b32 v38, v39, v38, 16
	v_and_b32_e32 v39, 0xffff0000, v39
	v_mul_f32_e32 v32, v36, v32
	v_bfe_u32 v43, v37, 16, 1
	v_mul_f32_e32 v39, v36, v39
	v_bfe_u32 v44, v32, 16, 1
	v_add3_u32 v43, v37, v43, s19
	v_and_b32_e32 v38, 0xffff0000, v38
	v_bfe_u32 v45, v39, 16, 1
	v_add3_u32 v44, v32, v44, s19
	v_and_b32_e32 v43, 0xffff0000, v43
	v_cmp_o_f32_e32 vcc, v37, v37
	v_mul_f32_e32 v38, v36, v38
	v_add3_u32 v45, v39, v45, s19
	v_and_b32_e32 v44, 0xffff0000, v44
	v_cndmask_b32_e32 v37, v29, v43, vcc
	v_cmp_o_f32_e32 vcc, v32, v32
	s_waitcnt vmcnt(0)
	v_lshlrev_b32_e32 v42, 16, v40
	v_bfe_u32 v46, v38, 16, 1
	v_and_b32_e32 v45, 0xffff0000, v45
	v_cndmask_b32_e32 v32, v29, v44, vcc
	v_cmp_o_f32_e32 vcc, v39, v39
	v_and_b32_e32 v33, 0xffff0000, v40
	v_alignbit_b32 v40, v41, v40, 16
	v_and_b32_e32 v41, 0xffff0000, v41
	v_add3_u32 v46, v38, v46, s19
	v_cndmask_b32_e32 v39, v29, v45, vcc
	v_mul_f32_e32 v37, v37, v42
	v_and_b32_e32 v43, 0xffff0000, v46
	v_mul_f32_e32 v32, v32, v33
	v_cmp_o_f32_e32 vcc, v38, v38
	v_mul_f32_e32 v38, v39, v41
	v_bfe_u32 v39, v37, 16, 1
	v_and_b32_e32 v40, 0xffff0000, v40
	v_cndmask_b32_e32 v33, v29, v43, vcc
	v_bfe_u32 v41, v32, 16, 1
	v_add3_u32 v39, v37, v39, s19
	v_mul_f32_e32 v33, v33, v40
	v_bfe_u32 v40, v38, 16, 1
	v_add3_u32 v41, v32, v41, s19
	v_and_b32_e32 v39, 0xffff0000, v39
	v_cmp_o_f32_e32 vcc, v37, v37
	v_bfe_u32 v42, v33, 16, 1
	v_add3_u32 v40, v38, v40, s19
	v_and_b32_e32 v41, 0xffff0000, v41
	v_cndmask_b32_e64 v37, v29, |v39|, vcc
	v_cmp_o_f32_e32 vcc, v32, v32
	v_add3_u32 v42, v33, v42, s19
	v_and_b32_e32 v40, 0xffff0000, v40
	v_cndmask_b32_e64 v32, v29, |v41|, vcc
	v_cmp_o_f32_e32 vcc, v38, v38
	v_and_b32_e32 v39, 0xffff0000, v42
	v_cndmask_b32_e64 v38, v29, |v40|, vcc
	v_cmp_o_f32_e32 vcc, v33, v33
	v_max3_f32 v5, v5, v37, v32
	v_cndmask_b32_e64 v32, v29, |v39|, vcc
	v_add_co_u32_e32 v20, vcc, s28, v20
	v_addc_co_u32_e32 v19, vcc, v19, v35, vcc
	v_add_co_u32_e32 v22, vcc, s28, v22
	v_addc_co_u32_e32 v21, vcc, v21, v35, vcc
	;; [unrolled: 2-line block ×5, first 2 shown]
	v_cmp_ge_i64_e32 vcc, v[30:31], v[10:11]
	v_max3_f32 v5, v5, v32, v38
	s_orn2_b64 s[40:41], vcc, exec
	s_branch .LBB77_18
.LBB77_25:
	s_or_b64 exec, exec, s[12:13]
.LBB77_26:
	s_or_b64 exec, exec, s[26:27]
	s_lshr_b32 s7, s43, 6
	v_cvt_f32_u32_e32 v10, s7
	v_lshlrev_b32_e32 v1, 2, v0
	ds_write_b32 v1, v5
	s_sub_i32 s12, 0, s7
	v_rcp_iflag_f32_e32 v5, v10
	s_add_i32 s2, s22, s7
	s_add_i32 s2, s2, -1
	s_ashr_i32 s3, s2, 31
	v_mul_f32_e32 v5, 0x4f7ffffe, v5
	v_cvt_u32_f32_e32 v5, v5
	s_abs_i32 s2, s2
	s_ashr_i32 s23, s22, 31
	s_waitcnt lgkmcnt(0)
	v_readfirstlane_b32 s13, v5
	s_mul_i32 s12, s12, s13
	s_mul_hi_u32 s12, s13, s12
	s_add_i32 s13, s13, s12
	s_mul_hi_u32 s12, s2, s13
	s_mul_i32 s13, s12, s7
	s_sub_i32 s2, s2, s13
	s_add_i32 s13, s12, 1
	s_sub_i32 s16, s2, s7
	s_cmp_ge_u32 s2, s7
	s_cselect_b32 s12, s13, s12
	s_cselect_b32 s2, s16, s2
	s_add_i32 s13, s12, 1
	s_cmp_ge_u32 s2, s7
	s_cselect_b32 s2, s13, s12
	s_xor_b32 s2, s2, s3
	s_sub_i32 s2, s2, s3
	s_ashr_i32 s3, s2, 31
	v_cmp_lt_i64_e64 s[12:13], s[2:3], 1
	s_and_b64 vcc, exec, s[12:13]
	s_barrier
	s_cbranch_vccnz .LBB77_48
; %bb.27:
	v_and_b32_e32 v12, 63, v0
	v_add_co_u32_e32 v14, vcc, 32, v12
	v_addc_co_u32_e64 v15, s[12:13], 0, 0, vcc
	v_add_co_u32_e32 v16, vcc, 16, v12
	v_addc_co_u32_e64 v17, s[12:13], 0, 0, vcc
	;; [unrolled: 2-line block ×4, first 2 shown]
	v_add_co_u32_e32 v22, vcc, 2, v12
	v_lshrrev_b32_e32 v10, 6, v0
	v_addc_co_u32_e64 v23, s[12:13], 0, 0, vcc
	v_add_co_u32_e32 v24, vcc, 1, v12
	v_addc_co_u32_e64 v25, s[12:13], 0, 0, vcc
	v_mul_lo_u32 v5, s24, v10
	v_lshlrev_b32_e32 v5, 2, v5
	v_lshlrev_b32_e32 v26, 2, v12
	s_movk_i32 s12, 0x100
	v_mov_b32_e32 v11, 0
	v_add3_u32 v5, v5, v26, s12
	s_mul_i32 s12, s24, s7
	v_mov_b32_e32 v13, v11
	s_lshl_b32 s16, s12, 2
	s_mov_b64 s[12:13], 0
	v_mov_b32_e32 v37, s7
	s_mov_b64 s[26:27], src_shared_base
	s_branch .LBB77_30
.LBB77_28:                              ;   in Loop: Header=BB77_30 Depth=1
	s_or_b64 exec, exec, s[30:31]
	v_mov_b32_e32 v27, s27
	flat_load_dword v26, v[26:27] glc
	s_waitcnt vmcnt(0)
.LBB77_29:                              ;   in Loop: Header=BB77_30 Depth=1
	s_or_b64 exec, exec, s[28:29]
	s_add_u32 s12, s12, 1
	s_addc_u32 s13, s13, 0
	s_cmp_eq_u64 s[12:13], s[2:3]
	v_add_u32_e32 v5, s16, v5
	s_cbranch_scc1 .LBB77_48
.LBB77_30:                              ; =>This Loop Header: Depth=1
                                        ;     Child Loop BB77_33 Depth 2
	v_mad_u64_u32 v[30:31], s[28:29], s12, v37, v[10:11]
	s_mul_i32 s19, s13, s7
	v_add_u32_e32 v31, s19, v31
	v_cmp_gt_i64_e32 vcc, s[22:23], v[30:31]
	s_and_saveexec_b64 s[28:29], vcc
	s_cbranch_execz .LBB77_29
; %bb.31:                               ;   in Loop: Header=BB77_30 Depth=1
	v_pk_mov_b32 v[32:33], s[24:25], s[24:25] op_sel:[0,1]
	v_mul_lo_u32 v29, v31, s24
	v_mul_lo_u32 v38, v30, s25
	v_mad_u64_u32 v[32:33], s[30:31], v30, s24, v[32:33]
	v_add3_u32 v33, v29, v33, v38
	v_mov_b32_e32 v28, s21
	v_cmp_gt_i64_e32 vcc, s[20:21], v[32:33]
	s_waitcnt lgkmcnt(0)
	v_mad_u64_u32 v[26:27], s[30:31], v30, s24, v[12:13]
	v_cndmask_b32_e32 v33, v28, v33, vcc
	v_mov_b32_e32 v28, s17
	v_add3_u32 v27, v29, v27, v38
	v_cndmask_b32_e32 v32, v28, v32, vcc
	v_add_co_u32_e32 v34, vcc, 64, v26
	v_addc_co_u32_e32 v35, vcc, 0, v27, vcc
	v_cmp_lt_i64_e32 vcc, v[34:35], v[32:33]
	v_lshlrev_b32_e32 v28, 2, v26
	s_and_saveexec_b64 s[30:31], vcc
	s_cbranch_execz .LBB77_34
; %bb.32:                               ;   in Loop: Header=BB77_30 Depth=1
	ds_read_b32 v31, v28
	s_mov_b64 s[34:35], 0
	v_mov_b32_e32 v27, v5
.LBB77_33:                              ;   Parent Loop BB77_30 Depth=1
                                        ; =>  This Inner Loop Header: Depth=2
	ds_read_b32 v39, v27
	v_add_co_u32_e32 v34, vcc, 64, v34
	v_addc_co_u32_e32 v35, vcc, 0, v35, vcc
	s_waitcnt lgkmcnt(1)
	v_max_f32_e32 v31, v31, v31
	v_cmp_ge_i64_e32 vcc, v[34:35], v[32:33]
	s_waitcnt lgkmcnt(0)
	v_max_f32_e32 v39, v39, v39
	v_add_u32_e32 v27, 0x100, v27
	s_or_b64 s[34:35], vcc, s[34:35]
	v_max_f32_e32 v31, v31, v39
	ds_write_b32 v28, v31
	s_andn2_b64 exec, exec, s[34:35]
	s_cbranch_execnz .LBB77_33
.LBB77_34:                              ;   in Loop: Header=BB77_30 Depth=1
	s_or_b64 exec, exec, s[30:31]
	v_mad_u64_u32 v[30:31], s[30:31], v30, s24, 0
	v_add3_u32 v27, v31, v38, v29
	v_sub_co_u32_e32 v30, vcc, v32, v30
	v_subb_co_u32_e32 v31, vcc, v33, v27, vcc
	v_cmp_gt_i64_e32 vcc, 64, v[30:31]
	v_cndmask_b32_e32 v31, 0, v31, vcc
	v_cndmask_b32_e32 v30, 64, v30, vcc
	v_cmp_lt_i64_e32 vcc, v[14:15], v[30:31]
	s_and_saveexec_b64 s[30:31], vcc
	s_cbranch_execnz .LBB77_46
; %bb.35:                               ;   in Loop: Header=BB77_30 Depth=1
	s_or_b64 exec, exec, s[30:31]
	v_cmp_lt_i64_e32 vcc, v[16:17], v[30:31]
	s_and_saveexec_b64 s[30:31], vcc
	s_cbranch_execnz .LBB77_47
.LBB77_36:                              ;   in Loop: Header=BB77_30 Depth=1
	s_or_b64 exec, exec, s[30:31]
	v_cmp_lt_i64_e32 vcc, v[18:19], v[30:31]
	s_and_saveexec_b64 s[30:31], vcc
	s_cbranch_execz .LBB77_38
.LBB77_37:                              ;   in Loop: Header=BB77_30 Depth=1
	v_mov_b32_e32 v29, s27
	v_add_u32_e32 v32, 32, v28
	v_mov_b32_e32 v33, s27
	flat_load_dword v27, v[28:29] glc
	s_waitcnt vmcnt(0)
	flat_load_dword v34, v[32:33] glc
	s_waitcnt vmcnt(0) lgkmcnt(0)
	v_max_f32_e32 v27, v27, v27
	v_max_f32_e32 v32, v34, v34
	;; [unrolled: 1-line block ×3, first 2 shown]
	flat_store_dword v[28:29], v27
	s_waitcnt vmcnt(0)
.LBB77_38:                              ;   in Loop: Header=BB77_30 Depth=1
	s_or_b64 exec, exec, s[30:31]
	v_cmp_ge_i64_e32 vcc, v[20:21], v[30:31]
	s_and_saveexec_b64 s[30:31], vcc
	s_xor_b64 s[30:31], exec, s[30:31]
; %bb.39:                               ;   in Loop: Header=BB77_30 Depth=1
                                        ; implicit-def: $vgpr28
; %bb.40:                               ;   in Loop: Header=BB77_30 Depth=1
	s_andn2_saveexec_b64 s[30:31], s[30:31]
	s_cbranch_execz .LBB77_42
; %bb.41:                               ;   in Loop: Header=BB77_30 Depth=1
	v_mov_b32_e32 v29, s27
	v_add_u32_e32 v32, 16, v28
	v_mov_b32_e32 v33, s27
	flat_load_dword v27, v[28:29] glc
	s_waitcnt vmcnt(0)
	flat_load_dword v34, v[32:33] glc
	s_waitcnt vmcnt(0) lgkmcnt(0)
	v_max_f32_e32 v27, v27, v27
	v_max_f32_e32 v32, v34, v34
	;; [unrolled: 1-line block ×3, first 2 shown]
	flat_store_dword v[28:29], v27
	s_waitcnt vmcnt(0)
.LBB77_42:                              ;   in Loop: Header=BB77_30 Depth=1
	s_or_b64 exec, exec, s[30:31]
	v_cmp_lt_i64_e32 vcc, v[22:23], v[30:31]
	v_lshlrev_b32_e32 v26, 2, v26
	s_and_saveexec_b64 s[30:31], vcc
	s_cbranch_execz .LBB77_44
; %bb.43:                               ;   in Loop: Header=BB77_30 Depth=1
	v_mov_b32_e32 v27, s27
	v_add_u32_e32 v28, 8, v26
	v_mov_b32_e32 v29, s27
	flat_load_dword v32, v[26:27] glc
	s_waitcnt vmcnt(0)
	flat_load_dword v33, v[28:29] glc
	s_waitcnt vmcnt(0) lgkmcnt(0)
	v_max_f32_e32 v28, v32, v32
	v_max_f32_e32 v29, v33, v33
	v_max_f32_e32 v28, v28, v29
	flat_store_dword v[26:27], v28
	s_waitcnt vmcnt(0)
.LBB77_44:                              ;   in Loop: Header=BB77_30 Depth=1
	s_or_b64 exec, exec, s[30:31]
	v_cmp_lt_i64_e32 vcc, v[24:25], v[30:31]
	s_and_saveexec_b64 s[30:31], vcc
	s_cbranch_execz .LBB77_28
; %bb.45:                               ;   in Loop: Header=BB77_30 Depth=1
	v_mov_b32_e32 v27, s27
	v_add_u32_e32 v28, 4, v26
	v_mov_b32_e32 v29, s27
	flat_load_dword v30, v[26:27] glc
	s_waitcnt vmcnt(0)
	flat_load_dword v31, v[28:29] glc
	s_waitcnt vmcnt(0) lgkmcnt(0)
	v_max_f32_e32 v28, v30, v30
	v_max_f32_e32 v29, v31, v31
	;; [unrolled: 1-line block ×3, first 2 shown]
	flat_store_dword v[26:27], v28
	s_waitcnt vmcnt(0)
	s_branch .LBB77_28
.LBB77_46:                              ;   in Loop: Header=BB77_30 Depth=1
	v_mov_b32_e32 v29, s27
	v_add_u32_e32 v32, 0x80, v28
	v_mov_b32_e32 v33, s27
	flat_load_dword v27, v[28:29] glc
	s_waitcnt vmcnt(0)
	flat_load_dword v34, v[32:33] glc
	s_waitcnt vmcnt(0) lgkmcnt(0)
	v_max_f32_e32 v27, v27, v27
	v_max_f32_e32 v32, v34, v34
	;; [unrolled: 1-line block ×3, first 2 shown]
	flat_store_dword v[28:29], v27
	s_waitcnt vmcnt(0)
	s_or_b64 exec, exec, s[30:31]
	v_cmp_lt_i64_e32 vcc, v[16:17], v[30:31]
	s_and_saveexec_b64 s[30:31], vcc
	s_cbranch_execz .LBB77_36
.LBB77_47:                              ;   in Loop: Header=BB77_30 Depth=1
	v_mov_b32_e32 v29, s27
	v_add_u32_e32 v32, 64, v28
	v_mov_b32_e32 v33, s27
	flat_load_dword v27, v[28:29] glc
	s_waitcnt vmcnt(0)
	flat_load_dword v34, v[32:33] glc
	s_waitcnt vmcnt(0) lgkmcnt(0)
	v_max_f32_e32 v27, v27, v27
	v_max_f32_e32 v32, v34, v34
	;; [unrolled: 1-line block ×3, first 2 shown]
	flat_store_dword v[28:29], v27
	s_waitcnt vmcnt(0)
	s_or_b64 exec, exec, s[30:31]
	v_cmp_lt_i64_e32 vcc, v[18:19], v[30:31]
	s_and_saveexec_b64 s[30:31], vcc
	s_cbranch_execnz .LBB77_37
	s_branch .LBB77_38
.LBB77_48:
	v_cmp_eq_u32_e32 vcc, 0, v4
	v_cmp_lt_i64_e64 s[2:3], v[6:7], v[8:9]
	s_and_b64 s[24:25], vcc, s[2:3]
	s_mul_i32 s7, s23, s6
	s_mul_hi_u32 s19, s22, s6
	s_mul_i32 s2, s22, s6
	s_waitcnt lgkmcnt(0)
	s_barrier
	s_and_saveexec_b64 s[12:13], s[24:25]
	s_cbranch_execz .LBB77_52
; %bb.49:
	s_load_dwordx2 s[4:5], s[4:5], 0x20
	ds_read_b32 v1, v1
	s_waitcnt lgkmcnt(0)
	s_cmp_eq_u64 s[4:5], 0
	s_cbranch_scc1 .LBB77_51
; %bb.50:
	s_load_dword s3, s[4:5], 0x0
	v_max_f32_e32 v1, v1, v1
	s_waitcnt lgkmcnt(0)
	v_max_f32_e64 v4, s3, s3
	v_min_f32_e32 v1, v1, v4
.LBB77_51:
	s_mov_b32 s3, 0x42fe0000
	v_div_scale_f32 v4, s[4:5], s3, s3, v1
	v_rcp_f32_e32 v5, v4
	v_div_scale_f32 v6, vcc, v1, s3, v1
	v_lshlrev_b64 v[2:3], 2, v[2:3]
	v_fma_f32 v7, -v4, v5, 1.0
	v_fmac_f32_e32 v5, v7, v5
	v_mul_f32_e32 v7, v6, v5
	v_fma_f32 v8, -v4, v7, v6
	v_fmac_f32_e32 v7, v8, v5
	v_fma_f32 v4, -v4, v7, v6
	v_div_fmas_f32 v4, v4, v5, v7
	v_div_fixup_f32 v1, v4, s3, v1
	s_add_i32 s3, s19, s7
	s_lshl_b64 s[4:5], s[2:3], 2
	s_add_u32 s3, s10, s4
	s_addc_u32 s4, s11, s5
	v_mov_b32_e32 v4, s4
	v_add_co_u32_e32 v2, vcc, s3, v2
	v_max_f32_e32 v1, 0x34000000, v1
	v_addc_co_u32_e32 v3, vcc, v4, v3, vcc
	global_store_dword v[2:3], v1, off
.LBB77_52:
	s_or_b64 exec, exec, s[12:13]
	s_barrier
	s_and_saveexec_b64 s[4:5], s[0:1]
	s_cbranch_execz .LBB77_61
; %bb.53:
	s_mul_i32 s0, s21, s6
	s_mul_hi_u32 s1, s17, s6
	s_add_i32 s1, s1, s0
	s_mul_i32 s0, s17, s6
	s_add_u32 s16, s8, s0
	s_addc_u32 s17, s9, s1
	s_add_i32 s3, s19, s7
	s_lshl_b64 s[0:1], s[2:3], 2
	s_add_u32 s2, s10, s0
	s_addc_u32 s3, s11, s1
	s_add_i32 s24, s43, s43
	s_mul_i32 s19, s43, 3
	s_lshl_b32 s20, s43, 1
	s_mov_b64 s[4:5], 0
	v_mov_b32_e32 v1, 0
	v_mov_b32_e32 v6, s42
	;; [unrolled: 1-line block ×3, first 2 shown]
	s_movk_i32 s21, 0x7fff
	v_mov_b32_e32 v8, 0x7fc00000
	s_mov_b32 s22, 0x42fe0000
	v_mov_b32_e32 v9, 0x42fe0000
	s_mov_b32 s23, 0xc3000000
	v_mov_b32_e32 v10, 0xc3000000
	v_mov_b32_e32 v11, s17
	s_add_i32 s24, s24, s43
	v_mov_b32_e32 v12, 8
                                        ; implicit-def: $sgpr6_sgpr7
	s_branch .LBB77_57
.LBB77_54:                              ;   in Loop: Header=BB77_57 Depth=1
	s_or_b64 exec, exec, s[12:13]
	s_orn2_b64 s[0:1], s[0:1], exec
.LBB77_55:                              ;   in Loop: Header=BB77_57 Depth=1
	s_or_b64 exec, exec, s[10:11]
	s_andn2_b64 s[6:7], s[6:7], exec
	s_and_b64 s[0:1], s[0:1], exec
	s_or_b64 s[6:7], s[6:7], s[0:1]
.LBB77_56:                              ;   in Loop: Header=BB77_57 Depth=1
	s_or_b64 exec, exec, s[8:9]
	s_and_b64 s[0:1], exec, s[6:7]
	s_or_b64 s[4:5], s[0:1], s[4:5]
	s_andn2_b64 exec, exec, s[4:5]
	s_cbranch_execz .LBB77_61
.LBB77_57:                              ; =>This Inner Loop Header: Depth=1
	v_lshlrev_b64 v[2:3], 3, v[0:1]
	v_add_co_u32_e32 v4, vcc, s33, v2
	v_addc_co_u32_e32 v5, vcc, v6, v3, vcc
	v_lshrrev_b32_e32 v13, 3, v0
	v_add_co_u32_e32 v2, vcc, s14, v2
	global_load_dwordx2 v[4:5], v[4:5], off
	v_and_b32_e32 v13, 0x7fffffc, v13
	v_addc_co_u32_e32 v3, vcc, v7, v3, vcc
	global_load_dword v13, v13, s[2:3]
	v_lshlrev_b64 v[14:15], 2, v[0:1]
	global_load_dwordx2 v[2:3], v[2:3], off
	v_add_co_u32_e32 v14, vcc, s16, v14
	v_addc_co_u32_e32 v15, vcc, v11, v15, vcc
	s_or_b64 s[6:7], s[6:7], exec
	s_waitcnt vmcnt(2)
	v_lshlrev_b32_e32 v17, 16, v4
	v_and_b32_e32 v16, 0xffff0000, v4
	v_alignbit_b32 v18, v5, v4, 16
	v_and_b32_e32 v19, 0xffff0000, v5
	s_waitcnt vmcnt(1)
	v_div_scale_f32 v20, s[0:1], v13, v13, 1.0
	s_waitcnt vmcnt(0)
	v_alignbit_b32 v23, v3, v2, 16
	v_and_b32_e32 v4, 0xffff0000, v3
	v_mul_f32_e32 v3, v36, v17
	v_lshlrev_b32_e32 v22, 16, v2
	v_and_b32_e32 v5, 0xffff0000, v2
	v_and_b32_e32 v2, 0xffff0000, v18
	v_rcp_f32_e32 v18, v20
	v_mul_f32_e32 v16, v36, v16
	v_and_b32_e32 v17, 0xffff0000, v23
	v_bfe_u32 v23, v3, 16, 1
	v_mul_f32_e32 v19, v36, v19
	v_bfe_u32 v24, v16, 16, 1
	v_add3_u32 v23, v3, v23, s21
	v_mul_f32_e32 v25, v36, v2
	v_bfe_u32 v2, v19, 16, 1
	v_add3_u32 v24, v16, v24, s21
	v_and_b32_e32 v23, 0xffff0000, v23
	v_cmp_o_f32_e64 s[0:1], v3, v3
	v_add3_u32 v2, v19, v2, s21
	v_and_b32_e32 v24, 0xffff0000, v24
	v_cndmask_b32_e64 v23, v8, v23, s[0:1]
	v_cmp_o_f32_e64 s[0:1], v16, v16
	v_bfe_u32 v26, v25, 16, 1
	v_and_b32_e32 v2, 0xffff0000, v2
	v_fma_f32 v27, -v20, v18, 1.0
	v_cndmask_b32_e64 v3, v8, v24, s[0:1]
	v_cmp_o_f32_e64 s[0:1], v19, v19
	v_div_scale_f32 v21, vcc, 1.0, v13, 1.0
	v_add3_u32 v26, v25, v26, s21
	v_cndmask_b32_e64 v2, v8, v2, s[0:1]
	v_fmac_f32_e32 v18, v27, v18
	v_and_b32_e32 v26, 0xffff0000, v26
	v_cmp_o_f32_e64 s[0:1], v25, v25
	v_pk_mul_f32 v[2:3], v[2:3], v[4:5]
	v_mul_f32_e32 v4, v21, v18
	v_mul_f32_e32 v16, v23, v22
	v_cndmask_b32_e64 v19, v8, v26, s[0:1]
	v_fma_f32 v23, -v20, v4, v21
	v_bfe_u32 v5, v16, 16, 1
	v_mul_f32_e32 v17, v19, v17
	v_fmac_f32_e32 v4, v23, v18
	v_add3_u32 v5, v16, v5, s21
	v_bfe_u32 v24, v17, 16, 1
	v_fma_f32 v20, -v20, v4, v21
	v_and_b32_e32 v5, 0xffff0000, v5
	v_add3_u32 v23, v17, v24, s21
	v_cmp_o_f32_e64 s[0:1], v16, v16
	v_div_fmas_f32 v4, v20, v18, v4
	v_cndmask_b32_e64 v5, v8, v5, s[0:1]
	v_and_b32_e32 v16, 0xffff0000, v23
	v_cmp_o_f32_e32 vcc, v17, v17
	v_div_fixup_f32 v4, v4, v13, 1.0
	v_cndmask_b32_e32 v16, v8, v16, vcc
	v_mul_f32_e32 v5, v4, v5
	v_mul_f32_e32 v13, v4, v16
	v_rndne_f32_e32 v5, v5
	v_rndne_f32_e32 v13, v13
	v_cmp_nlt_f32_e32 vcc, s22, v5
	v_cndmask_b32_e32 v16, v9, v5, vcc
	v_cmp_nlt_f32_e32 vcc, s22, v13
	v_cndmask_b32_e32 v17, v9, v13, vcc
	v_cmp_ngt_f32_e32 vcc, s23, v5
	v_bfe_u32 v22, v3, 16, 1
	v_cndmask_b32_e32 v5, v10, v16, vcc
	v_bfe_u32 v19, v2, 16, 1
	v_add3_u32 v22, v3, v22, s21
	v_cmp_ngt_f32_e32 vcc, s23, v13
	v_cvt_i32_f32_e32 v5, v5
	v_add3_u32 v19, v2, v19, s21
	v_and_b32_e32 v22, 0xffff0000, v22
	v_cndmask_b32_e32 v13, v10, v17, vcc
	v_cmp_o_f32_e32 vcc, v3, v3
	v_and_b32_e32 v19, 0xffff0000, v19
	v_cndmask_b32_e32 v3, v8, v22, vcc
	v_cmp_o_f32_e32 vcc, v2, v2
	v_cndmask_b32_e32 v2, v8, v19, vcc
	v_pk_mul_f32 v[2:3], v[4:5], v[2:3] op_sel_hi:[0,1]
	v_rndne_f32_e32 v2, v2
	v_rndne_f32_e32 v3, v3
	v_cmp_nlt_f32_e32 vcc, s22, v2
	v_cndmask_b32_e32 v4, v9, v2, vcc
	v_cmp_nlt_f32_e32 vcc, s22, v3
	v_cndmask_b32_e32 v16, v9, v3, vcc
	v_cmp_ngt_f32_e32 vcc, s23, v3
	v_cvt_i32_f32_e32 v13, v13
	v_cndmask_b32_e32 v3, v10, v16, vcc
	v_cmp_ngt_f32_e32 vcc, s23, v2
	v_cndmask_b32_e32 v2, v10, v4, vcc
	v_cvt_i32_f32_e32 v3, v3
	v_cvt_i32_f32_e32 v2, v2
	v_and_b32_e32 v4, 0xff, v13
	v_lshlrev_b32_e32 v4, 16, v4
	v_lshlrev_b32_sdwa v3, v12, v3 dst_sel:DWORD dst_unused:UNUSED_PAD src0_sel:DWORD src1_sel:BYTE_0
	v_lshl_or_b32 v2, v2, 24, v4
	v_and_b32_e32 v4, 0xff, v5
	v_or3_b32 v2, v2, v3, v4
	global_store_dword v[14:15], v2, off
	v_add_u32_e32 v2, s43, v0
	v_cmp_gt_u32_e32 vcc, s18, v2
	s_and_saveexec_b64 s[8:9], vcc
	s_cbranch_execz .LBB77_56
; %bb.58:                               ;   in Loop: Header=BB77_57 Depth=1
	v_mov_b32_e32 v3, v1
	v_lshlrev_b64 v[4:5], 3, v[2:3]
	v_add_co_u32_e32 v14, vcc, s33, v4
	v_lshrrev_b32_e32 v13, 3, v2
	v_addc_co_u32_e32 v15, vcc, v6, v5, vcc
	v_and_b32_e32 v13, 0x7fffffc, v13
	v_add_co_u32_e32 v4, vcc, s14, v4
	global_load_dword v13, v13, s[2:3]
	v_addc_co_u32_e32 v5, vcc, v7, v5, vcc
	global_load_dwordx2 v[14:15], v[14:15], off
	v_lshlrev_b64 v[16:17], 2, v[2:3]
	global_load_dwordx2 v[4:5], v[4:5], off
	v_add_co_u32_e32 v16, vcc, s16, v16
	v_addc_co_u32_e32 v17, vcc, v11, v17, vcc
	s_waitcnt vmcnt(2)
	v_div_scale_f32 v3, s[0:1], v13, v13, 1.0
	v_rcp_f32_e32 v23, v3
	s_waitcnt vmcnt(1)
	v_lshlrev_b32_e32 v20, 16, v14
	v_and_b32_e32 v19, 0xffff0000, v14
	v_alignbit_b32 v21, v15, v14, 16
	v_and_b32_e32 v22, 0xffff0000, v15
	s_waitcnt vmcnt(0)
	v_alignbit_b32 v25, v5, v4, 16
	v_and_b32_e32 v14, 0xffff0000, v5
	v_mul_f32_e32 v5, v36, v20
	v_lshlrev_b32_e32 v24, 16, v4
	v_and_b32_e32 v15, 0xffff0000, v4
	v_and_b32_e32 v4, 0xffff0000, v21
	v_mul_f32_e32 v19, v36, v19
	v_mul_f32_e32 v21, v36, v22
	v_bfe_u32 v22, v5, 16, 1
	v_and_b32_e32 v20, 0xffff0000, v25
	v_bfe_u32 v25, v19, 16, 1
	v_add3_u32 v22, v5, v22, s21
	v_mul_f32_e32 v26, v36, v4
	v_bfe_u32 v4, v21, 16, 1
	v_add3_u32 v25, v19, v25, s21
	v_and_b32_e32 v22, 0xffff0000, v22
	v_cmp_o_f32_e64 s[0:1], v5, v5
	v_bfe_u32 v27, v26, 16, 1
	v_add3_u32 v4, v21, v4, s21
	v_fma_f32 v28, -v3, v23, 1.0
	v_and_b32_e32 v25, 0xffff0000, v25
	v_cndmask_b32_e64 v22, v8, v22, s[0:1]
	v_cmp_o_f32_e64 s[0:1], v19, v19
	v_div_scale_f32 v18, vcc, 1.0, v13, 1.0
	v_add3_u32 v27, v26, v27, s21
	v_and_b32_e32 v4, 0xffff0000, v4
	v_fmac_f32_e32 v23, v28, v23
	v_cndmask_b32_e64 v5, v8, v25, s[0:1]
	v_cmp_o_f32_e64 s[0:1], v21, v21
	v_and_b32_e32 v27, 0xffff0000, v27
	v_cndmask_b32_e64 v4, v8, v4, s[0:1]
	v_mul_f32_e32 v19, v18, v23
	v_cmp_o_f32_e64 s[0:1], v26, v26
	v_mul_f32_e32 v21, v22, v24
	v_cndmask_b32_e64 v22, v8, v27, s[0:1]
	v_pk_mul_f32 v[4:5], v[4:5], v[14:15]
	v_fma_f32 v14, -v3, v19, v18
	v_bfe_u32 v15, v21, 16, 1
	v_mul_f32_e32 v20, v22, v20
	v_fmac_f32_e32 v19, v14, v23
	v_add3_u32 v14, v21, v15, s21
	v_bfe_u32 v15, v20, 16, 1
	v_fma_f32 v3, -v3, v19, v18
	v_and_b32_e32 v14, 0xffff0000, v14
	v_add3_u32 v15, v20, v15, s21
	v_div_fmas_f32 v3, v3, v23, v19
	v_cmp_o_f32_e32 vcc, v21, v21
	v_cndmask_b32_e32 v19, v8, v14, vcc
	v_and_b32_e32 v15, 0xffff0000, v15
	v_div_fixup_f32 v14, v3, v13, 1.0
	v_cmp_o_f32_e32 vcc, v20, v20
	v_cndmask_b32_e32 v3, v8, v15, vcc
	v_mul_f32_e32 v13, v14, v19
	v_mul_f32_e32 v3, v14, v3
	v_rndne_f32_e32 v13, v13
	v_rndne_f32_e32 v3, v3
	v_cmp_nlt_f32_e32 vcc, s22, v13
	v_cndmask_b32_e32 v15, v9, v13, vcc
	v_cmp_nlt_f32_e32 vcc, s22, v3
	v_bfe_u32 v24, v5, 16, 1
	v_cndmask_b32_e32 v19, v9, v3, vcc
	v_cmp_ngt_f32_e32 vcc, s23, v13
	v_bfe_u32 v22, v4, 16, 1
	v_add3_u32 v24, v5, v24, s21
	v_cndmask_b32_e32 v13, v10, v15, vcc
	v_cmp_ngt_f32_e32 vcc, s23, v3
	v_add3_u32 v22, v4, v22, s21
	v_cndmask_b32_e32 v3, v10, v19, vcc
	v_and_b32_e32 v15, 0xffff0000, v24
	v_cmp_o_f32_e32 vcc, v5, v5
	v_and_b32_e32 v18, 0xffff0000, v22
	v_cndmask_b32_e32 v5, v8, v15, vcc
	v_cmp_o_f32_e32 vcc, v4, v4
	v_cndmask_b32_e32 v4, v8, v18, vcc
	v_pk_mul_f32 v[4:5], v[14:15], v[4:5] op_sel_hi:[0,1]
	v_rndne_f32_e32 v4, v4
	v_rndne_f32_e32 v5, v5
	v_cmp_nlt_f32_e32 vcc, s22, v4
	v_cndmask_b32_e32 v14, v9, v4, vcc
	v_cmp_nlt_f32_e32 vcc, s22, v5
	v_cndmask_b32_e32 v15, v9, v5, vcc
	v_cmp_ngt_f32_e32 vcc, s23, v5
	v_cvt_i32_f32_e32 v3, v3
	v_cndmask_b32_e32 v5, v10, v15, vcc
	v_cmp_ngt_f32_e32 vcc, s23, v4
	v_cndmask_b32_e32 v4, v10, v14, vcc
	v_cvt_i32_f32_e32 v13, v13
	v_cvt_i32_f32_e32 v5, v5
	;; [unrolled: 1-line block ×3, first 2 shown]
	v_and_b32_e32 v3, 0xff, v3
	v_lshlrev_b32_e32 v3, 16, v3
	v_lshlrev_b32_sdwa v5, v12, v5 dst_sel:DWORD dst_unused:UNUSED_PAD src0_sel:DWORD src1_sel:BYTE_0
	v_lshl_or_b32 v3, v4, 24, v3
	v_and_b32_e32 v4, 0xff, v13
	v_or3_b32 v3, v3, v5, v4
	v_add_u32_e32 v4, s20, v0
	v_cmp_gt_u32_e32 vcc, s18, v4
	s_mov_b64 s[0:1], -1
	global_store_dword v[16:17], v3, off
	s_and_saveexec_b64 s[10:11], vcc
	s_cbranch_execz .LBB77_55
; %bb.59:                               ;   in Loop: Header=BB77_57 Depth=1
	v_mov_b32_e32 v5, v1
	v_lshlrev_b64 v[14:15], 3, v[4:5]
	v_mov_b32_e32 v3, s42
	v_add_co_u32_e32 v16, vcc, s33, v14
	v_lshrrev_b32_e32 v13, 3, v4
	v_addc_co_u32_e32 v17, vcc, v3, v15, vcc
	v_and_b32_e32 v13, 0x7fffffc, v13
	v_mov_b32_e32 v3, s15
	v_add_co_u32_e32 v14, vcc, s14, v14
	global_load_dword v13, v13, s[2:3]
	v_addc_co_u32_e32 v15, vcc, v3, v15, vcc
	global_load_dwordx2 v[16:17], v[16:17], off
	v_lshlrev_b64 v[4:5], 2, v[4:5]
	global_load_dwordx2 v[14:15], v[14:15], off
	v_mov_b32_e32 v3, s17
	v_add_co_u32_e32 v4, vcc, s16, v4
	v_addc_co_u32_e32 v5, vcc, v3, v5, vcc
	v_add_u32_e32 v0, s19, v0
	s_waitcnt vmcnt(2)
	v_div_scale_f32 v3, s[0:1], v13, v13, 1.0
	v_rcp_f32_e32 v23, v3
	s_waitcnt vmcnt(1)
	v_lshlrev_b32_e32 v20, 16, v16
	v_and_b32_e32 v19, 0xffff0000, v16
	v_alignbit_b32 v21, v17, v16, 16
	v_and_b32_e32 v22, 0xffff0000, v17
	s_waitcnt vmcnt(0)
	v_alignbit_b32 v25, v15, v14, 16
	v_and_b32_e32 v16, 0xffff0000, v15
	v_mul_f32_e32 v15, v36, v20
	v_lshlrev_b32_e32 v24, 16, v14
	v_and_b32_e32 v17, 0xffff0000, v14
	v_and_b32_e32 v14, 0xffff0000, v21
	v_mul_f32_e32 v19, v36, v19
	v_mul_f32_e32 v21, v36, v22
	v_bfe_u32 v22, v15, 16, 1
	v_and_b32_e32 v20, 0xffff0000, v25
	v_bfe_u32 v25, v19, 16, 1
	v_add3_u32 v22, v15, v22, s21
	v_mul_f32_e32 v26, v36, v14
	v_bfe_u32 v14, v21, 16, 1
	v_add3_u32 v25, v19, v25, s21
	v_and_b32_e32 v22, 0xffff0000, v22
	v_cmp_o_f32_e64 s[0:1], v15, v15
	v_bfe_u32 v27, v26, 16, 1
	v_add3_u32 v14, v21, v14, s21
	v_fma_f32 v28, -v3, v23, 1.0
	v_and_b32_e32 v25, 0xffff0000, v25
	v_cndmask_b32_e64 v22, v8, v22, s[0:1]
	v_cmp_o_f32_e64 s[0:1], v19, v19
	v_div_scale_f32 v18, vcc, 1.0, v13, 1.0
	v_add3_u32 v27, v26, v27, s21
	v_and_b32_e32 v14, 0xffff0000, v14
	v_fmac_f32_e32 v23, v28, v23
	v_cndmask_b32_e64 v15, v8, v25, s[0:1]
	v_cmp_o_f32_e64 s[0:1], v21, v21
	v_and_b32_e32 v27, 0xffff0000, v27
	v_cndmask_b32_e64 v14, v8, v14, s[0:1]
	v_mul_f32_e32 v19, v18, v23
	v_cmp_o_f32_e64 s[0:1], v26, v26
	v_mul_f32_e32 v21, v22, v24
	v_cndmask_b32_e64 v22, v8, v27, s[0:1]
	v_pk_mul_f32 v[14:15], v[14:15], v[16:17]
	v_fma_f32 v16, -v3, v19, v18
	v_bfe_u32 v17, v21, 16, 1
	v_mul_f32_e32 v20, v22, v20
	v_fmac_f32_e32 v19, v16, v23
	v_add3_u32 v16, v21, v17, s21
	v_bfe_u32 v17, v20, 16, 1
	v_fma_f32 v3, -v3, v19, v18
	v_and_b32_e32 v16, 0xffff0000, v16
	v_add3_u32 v17, v20, v17, s21
	v_div_fmas_f32 v3, v3, v23, v19
	v_cmp_o_f32_e32 vcc, v21, v21
	v_cndmask_b32_e32 v18, v8, v16, vcc
	v_and_b32_e32 v17, 0xffff0000, v17
	v_div_fixup_f32 v16, v3, v13, 1.0
	v_cmp_o_f32_e32 vcc, v20, v20
	v_cndmask_b32_e32 v3, v8, v17, vcc
	v_mul_f32_e32 v13, v16, v18
	v_mul_f32_e32 v3, v16, v3
	v_rndne_f32_e32 v13, v13
	v_rndne_f32_e32 v3, v3
	v_cmp_nlt_f32_e32 vcc, s22, v13
	v_cndmask_b32_e32 v17, v9, v13, vcc
	v_cmp_nlt_f32_e32 vcc, s22, v3
	v_bfe_u32 v24, v15, 16, 1
	v_cndmask_b32_e32 v18, v9, v3, vcc
	v_cmp_ngt_f32_e32 vcc, s23, v13
	v_bfe_u32 v22, v14, 16, 1
	v_cndmask_b32_e32 v13, v10, v17, vcc
	v_cmp_ngt_f32_e32 vcc, s23, v3
	v_add3_u32 v17, v15, v24, s21
	v_cndmask_b32_e32 v3, v10, v18, vcc
	v_add3_u32 v18, v14, v22, s21
	v_and_b32_e32 v17, 0xffff0000, v17
	v_cmp_o_f32_e32 vcc, v15, v15
	v_and_b32_e32 v18, 0xffff0000, v18
	v_cndmask_b32_e32 v15, v8, v17, vcc
	v_cmp_o_f32_e32 vcc, v14, v14
	v_cndmask_b32_e32 v14, v8, v18, vcc
	v_pk_mul_f32 v[14:15], v[16:17], v[14:15] op_sel_hi:[0,1]
	v_rndne_f32_e32 v14, v14
	v_rndne_f32_e32 v15, v15
	v_cmp_nlt_f32_e32 vcc, s22, v14
	v_cndmask_b32_e32 v16, v9, v14, vcc
	v_cmp_nlt_f32_e32 vcc, s22, v15
	v_cndmask_b32_e32 v17, v9, v15, vcc
	v_cmp_ngt_f32_e32 vcc, s23, v15
	v_cvt_i32_f32_e32 v3, v3
	v_cndmask_b32_e32 v15, v10, v17, vcc
	v_cmp_ngt_f32_e32 vcc, s23, v14
	v_cndmask_b32_e32 v14, v10, v16, vcc
	v_cvt_i32_f32_e32 v13, v13
	v_cvt_i32_f32_e32 v15, v15
	;; [unrolled: 1-line block ×3, first 2 shown]
	v_and_b32_e32 v3, 0xff, v3
	v_lshlrev_b32_e32 v3, 16, v3
	v_lshlrev_b32_sdwa v15, v12, v15 dst_sel:DWORD dst_unused:UNUSED_PAD src0_sel:DWORD src1_sel:BYTE_0
	v_lshl_or_b32 v3, v14, 24, v3
	v_and_b32_e32 v13, 0xff, v13
	v_or3_b32 v3, v3, v15, v13
	v_cmp_gt_u32_e32 vcc, s18, v0
	s_mov_b64 s[0:1], -1
	global_store_dword v[4:5], v3, off
	s_and_saveexec_b64 s[12:13], vcc
	s_cbranch_execz .LBB77_54
; %bb.60:                               ;   in Loop: Header=BB77_57 Depth=1
	v_lshlrev_b64 v[4:5], 3, v[0:1]
	v_mov_b32_e32 v3, s42
	v_add_co_u32_e32 v14, vcc, s33, v4
	v_addc_co_u32_e32 v15, vcc, v3, v5, vcc
	v_lshrrev_b32_e32 v13, 3, v0
	global_load_dwordx2 v[14:15], v[14:15], off
	v_mov_b32_e32 v3, s15
	v_and_b32_e32 v13, 0x7fffffc, v13
	v_add_co_u32_e32 v4, vcc, s14, v4
	global_load_dword v13, v13, s[2:3]
	v_addc_co_u32_e32 v5, vcc, v3, v5, vcc
	global_load_dwordx2 v[4:5], v[4:5], off
	v_lshlrev_b64 v[16:17], 2, v[0:1]
	v_mov_b32_e32 v0, s17
	v_add_co_u32_e32 v16, vcc, s16, v16
	v_addc_co_u32_e32 v17, vcc, v0, v17, vcc
	s_waitcnt vmcnt(2)
	v_lshlrev_b32_e32 v3, 16, v14
	v_and_b32_e32 v0, 0xffff0000, v14
	v_alignbit_b32 v18, v15, v14, 16
	v_mul_f32_e32 v3, v36, v3
	v_and_b32_e32 v19, 0xffff0000, v15
	s_waitcnt vmcnt(1)
	v_div_scale_f32 v20, s[0:1], v13, v13, 1.0
	v_mul_f32_e32 v0, v36, v0
	s_waitcnt vmcnt(0)
	v_lshlrev_b32_e32 v22, 16, v4
	v_alignbit_b32 v23, v5, v4, 16
	v_and_b32_e32 v15, 0xffff0000, v4
	v_and_b32_e32 v14, 0xffff0000, v5
	;; [unrolled: 1-line block ×3, first 2 shown]
	v_rcp_f32_e32 v18, v20
	v_bfe_u32 v5, v3, 16, 1
	v_mul_f32_e32 v19, v36, v19
	v_bfe_u32 v24, v0, 16, 1
	v_add3_u32 v5, v3, v5, s21
	v_mul_f32_e32 v25, v36, v4
	v_bfe_u32 v4, v19, 16, 1
	v_add3_u32 v24, v0, v24, s21
	v_and_b32_e32 v5, 0xffff0000, v5
	v_cmp_o_f32_e64 s[0:1], v3, v3
	v_bfe_u32 v26, v25, 16, 1
	v_add3_u32 v4, v19, v4, s21
	v_and_b32_e32 v24, 0xffff0000, v24
	v_cndmask_b32_e64 v3, v8, v5, s[0:1]
	v_cmp_o_f32_e64 s[0:1], v0, v0
	v_add3_u32 v26, v25, v26, s21
	v_and_b32_e32 v4, 0xffff0000, v4
	v_fma_f32 v27, -v20, v18, 1.0
	v_cndmask_b32_e64 v5, v8, v24, s[0:1]
	v_cmp_o_f32_e64 s[0:1], v19, v19
	v_div_scale_f32 v21, vcc, 1.0, v13, 1.0
	v_and_b32_e32 v26, 0xffff0000, v26
	v_cndmask_b32_e64 v4, v8, v4, s[0:1]
	v_fmac_f32_e32 v18, v27, v18
	v_cmp_o_f32_e64 s[0:1], v25, v25
	v_and_b32_e32 v23, 0xffff0000, v23
	v_mul_f32_e32 v0, v3, v22
	v_cndmask_b32_e64 v3, v8, v26, s[0:1]
	v_pk_mul_f32 v[4:5], v[4:5], v[14:15]
	v_mul_f32_e32 v14, v21, v18
	v_mul_f32_e32 v3, v3, v23
	v_fma_f32 v23, -v20, v14, v21
	v_bfe_u32 v15, v0, 16, 1
	v_bfe_u32 v24, v3, 16, 1
	v_fmac_f32_e32 v14, v23, v18
	v_add3_u32 v15, v0, v15, s21
	v_add3_u32 v23, v3, v24, s21
	v_fma_f32 v20, -v20, v14, v21
	v_and_b32_e32 v15, 0xffff0000, v15
	v_cmp_o_f32_e64 s[0:1], v0, v0
	v_and_b32_e32 v0, 0xffff0000, v23
	v_div_fmas_f32 v14, v20, v18, v14
	v_cmp_o_f32_e32 vcc, v3, v3
	v_cndmask_b32_e64 v15, v8, v15, s[0:1]
	v_cndmask_b32_e32 v3, v8, v0, vcc
	v_div_fixup_f32 v0, v14, v13, 1.0
	v_mul_f32_e32 v13, v0, v15
	v_mul_f32_e32 v3, v0, v3
	v_rndne_f32_e32 v13, v13
	v_rndne_f32_e32 v3, v3
	v_cmp_nlt_f32_e32 vcc, s22, v13
	v_cndmask_b32_e32 v14, v9, v13, vcc
	v_cmp_nlt_f32_e32 vcc, s22, v3
	v_bfe_u32 v22, v5, 16, 1
	v_cndmask_b32_e32 v15, v9, v3, vcc
	v_cmp_ngt_f32_e32 vcc, s23, v13
	v_bfe_u32 v19, v4, 16, 1
	v_add3_u32 v22, v5, v22, s21
	v_cndmask_b32_e32 v13, v10, v14, vcc
	v_cmp_ngt_f32_e32 vcc, s23, v3
	v_cndmask_b32_e32 v3, v10, v15, vcc
	v_add3_u32 v14, v4, v19, s21
	v_and_b32_e32 v15, 0xffff0000, v22
	v_cmp_o_f32_e32 vcc, v5, v5
	v_and_b32_e32 v14, 0xffff0000, v14
	v_cndmask_b32_e32 v5, v8, v15, vcc
	v_cmp_o_f32_e32 vcc, v4, v4
	v_cndmask_b32_e32 v4, v8, v14, vcc
	v_pk_mul_f32 v[4:5], v[0:1], v[4:5] op_sel_hi:[0,1]
	v_rndne_f32_e32 v4, v4
	v_rndne_f32_e32 v0, v5
	v_cmp_nlt_f32_e32 vcc, s22, v4
	v_cndmask_b32_e32 v5, v9, v4, vcc
	v_cmp_nlt_f32_e32 vcc, s22, v0
	v_cndmask_b32_e32 v14, v9, v0, vcc
	v_cmp_ngt_f32_e32 vcc, s23, v0
	v_cvt_i32_f32_e32 v3, v3
	v_cndmask_b32_e32 v0, v10, v14, vcc
	v_cmp_ngt_f32_e32 vcc, s23, v4
	v_cndmask_b32_e32 v4, v10, v5, vcc
	v_cvt_i32_f32_e32 v13, v13
	v_cvt_i32_f32_e32 v0, v0
	;; [unrolled: 1-line block ×3, first 2 shown]
	v_and_b32_e32 v3, 0xff, v3
	v_lshlrev_b32_e32 v3, 16, v3
	v_lshlrev_b32_sdwa v0, v12, v0 dst_sel:DWORD dst_unused:UNUSED_PAD src0_sel:DWORD src1_sel:BYTE_0
	v_lshl_or_b32 v3, v4, 24, v3
	v_and_b32_e32 v4, 0xff, v13
	v_or3_b32 v0, v3, v0, v4
	global_store_dword v[16:17], v0, off
	v_add_u32_e32 v0, s24, v2
	v_cmp_le_u32_e32 vcc, s18, v0
	s_orn2_b64 s[0:1], vcc, exec
	s_branch .LBB77_54
.LBB77_61:
	s_endpgm
	.section	.rodata,"a",@progbits
	.p2align	6, 0x0
	.amdhsa_kernel _ZN4vllm31rms_norm_per_block_quant_kernelIN3c108BFloat16EaLb0ELb0ELi128EEEvPT0_PfPKT_S8_PKffiiPS6_l
		.amdhsa_group_segment_fixed_size 4164
		.amdhsa_private_segment_fixed_size 0
		.amdhsa_kernarg_size 328
		.amdhsa_user_sgpr_count 6
		.amdhsa_user_sgpr_private_segment_buffer 1
		.amdhsa_user_sgpr_dispatch_ptr 0
		.amdhsa_user_sgpr_queue_ptr 0
		.amdhsa_user_sgpr_kernarg_segment_ptr 1
		.amdhsa_user_sgpr_dispatch_id 0
		.amdhsa_user_sgpr_flat_scratch_init 0
		.amdhsa_user_sgpr_kernarg_preload_length 0
		.amdhsa_user_sgpr_kernarg_preload_offset 0
		.amdhsa_user_sgpr_private_segment_size 0
		.amdhsa_uses_dynamic_stack 0
		.amdhsa_system_sgpr_private_segment_wavefront_offset 0
		.amdhsa_system_sgpr_workgroup_id_x 1
		.amdhsa_system_sgpr_workgroup_id_y 0
		.amdhsa_system_sgpr_workgroup_id_z 0
		.amdhsa_system_sgpr_workgroup_info 0
		.amdhsa_system_vgpr_workitem_id 0
		.amdhsa_next_free_vgpr 48
		.amdhsa_next_free_sgpr 44
		.amdhsa_accum_offset 48
		.amdhsa_reserve_vcc 1
		.amdhsa_reserve_flat_scratch 0
		.amdhsa_float_round_mode_32 0
		.amdhsa_float_round_mode_16_64 0
		.amdhsa_float_denorm_mode_32 3
		.amdhsa_float_denorm_mode_16_64 3
		.amdhsa_dx10_clamp 1
		.amdhsa_ieee_mode 1
		.amdhsa_fp16_overflow 0
		.amdhsa_tg_split 0
		.amdhsa_exception_fp_ieee_invalid_op 0
		.amdhsa_exception_fp_denorm_src 0
		.amdhsa_exception_fp_ieee_div_zero 0
		.amdhsa_exception_fp_ieee_overflow 0
		.amdhsa_exception_fp_ieee_underflow 0
		.amdhsa_exception_fp_ieee_inexact 0
		.amdhsa_exception_int_div_zero 0
	.end_amdhsa_kernel
	.section	.text._ZN4vllm31rms_norm_per_block_quant_kernelIN3c108BFloat16EaLb0ELb0ELi128EEEvPT0_PfPKT_S8_PKffiiPS6_l,"axG",@progbits,_ZN4vllm31rms_norm_per_block_quant_kernelIN3c108BFloat16EaLb0ELb0ELi128EEEvPT0_PfPKT_S8_PKffiiPS6_l,comdat
.Lfunc_end77:
	.size	_ZN4vllm31rms_norm_per_block_quant_kernelIN3c108BFloat16EaLb0ELb0ELi128EEEvPT0_PfPKT_S8_PKffiiPS6_l, .Lfunc_end77-_ZN4vllm31rms_norm_per_block_quant_kernelIN3c108BFloat16EaLb0ELb0ELi128EEEvPT0_PfPKT_S8_PKffiiPS6_l
                                        ; -- End function
	.section	.AMDGPU.csdata,"",@progbits
; Kernel info:
; codeLenInByte = 8664
; NumSgprs: 48
; NumVgprs: 48
; NumAgprs: 0
; TotalNumVgprs: 48
; ScratchSize: 0
; MemoryBound: 0
; FloatMode: 240
; IeeeMode: 1
; LDSByteSize: 4164 bytes/workgroup (compile time only)
; SGPRBlocks: 5
; VGPRBlocks: 5
; NumSGPRsForWavesPerEU: 48
; NumVGPRsForWavesPerEU: 48
; AccumOffset: 48
; Occupancy: 8
; WaveLimiterHint : 0
; COMPUTE_PGM_RSRC2:SCRATCH_EN: 0
; COMPUTE_PGM_RSRC2:USER_SGPR: 6
; COMPUTE_PGM_RSRC2:TRAP_HANDLER: 0
; COMPUTE_PGM_RSRC2:TGID_X_EN: 1
; COMPUTE_PGM_RSRC2:TGID_Y_EN: 0
; COMPUTE_PGM_RSRC2:TGID_Z_EN: 0
; COMPUTE_PGM_RSRC2:TIDIG_COMP_CNT: 0
; COMPUTE_PGM_RSRC3_GFX90A:ACCUM_OFFSET: 11
; COMPUTE_PGM_RSRC3_GFX90A:TG_SPLIT: 0
	.section	.text._ZN4vllm31rms_norm_per_block_quant_kernelIN3c108BFloat16ENS1_13Float8_e4m3fnELb1ELb1ELi64EEEvPT0_PfPKT_S9_PKffiiPS7_l,"axG",@progbits,_ZN4vllm31rms_norm_per_block_quant_kernelIN3c108BFloat16ENS1_13Float8_e4m3fnELb1ELb1ELi64EEEvPT0_PfPKT_S9_PKffiiPS7_l,comdat
	.protected	_ZN4vllm31rms_norm_per_block_quant_kernelIN3c108BFloat16ENS1_13Float8_e4m3fnELb1ELb1ELi64EEEvPT0_PfPKT_S9_PKffiiPS7_l ; -- Begin function _ZN4vllm31rms_norm_per_block_quant_kernelIN3c108BFloat16ENS1_13Float8_e4m3fnELb1ELb1ELi64EEEvPT0_PfPKT_S9_PKffiiPS7_l
	.globl	_ZN4vllm31rms_norm_per_block_quant_kernelIN3c108BFloat16ENS1_13Float8_e4m3fnELb1ELb1ELi64EEEvPT0_PfPKT_S9_PKffiiPS7_l
	.p2align	8
	.type	_ZN4vllm31rms_norm_per_block_quant_kernelIN3c108BFloat16ENS1_13Float8_e4m3fnELb1ELb1ELi64EEEvPT0_PfPKT_S9_PKffiiPS7_l,@function
_ZN4vllm31rms_norm_per_block_quant_kernelIN3c108BFloat16ENS1_13Float8_e4m3fnELb1ELb1ELi64EEEvPT0_PfPKT_S9_PKffiiPS7_l: ; @_ZN4vllm31rms_norm_per_block_quant_kernelIN3c108BFloat16ENS1_13Float8_e4m3fnELb1ELb1ELi64EEEvPT0_PfPKT_S9_PKffiiPS7_l
; %bb.0:
	s_load_dwordx4 s[8:11], s[4:5], 0x28
	s_load_dwordx8 s[12:19], s[4:5], 0x0
	s_load_dwordx2 s[34:35], s[4:5], 0x38
	s_load_dword s49, s[4:5], 0x48
	s_mov_b32 s7, 0
	s_waitcnt lgkmcnt(0)
	s_ashr_i32 s0, s10, 31
	s_mul_hi_u32 s1, s10, s6
	s_mul_i32 s0, s0, s6
	s_ashr_i32 s23, s9, 31
	s_add_i32 s1, s1, s0
	s_mul_i32 s0, s10, s6
	s_mul_hi_u32 s2, s9, s6
	s_mul_i32 s3, s23, s6
	s_add_i32 s21, s2, s3
	s_lshl_b64 s[30:31], s[0:1], 1
	s_mul_i32 s20, s9, s6
	s_add_u32 s33, s16, s30
	s_addc_u32 s46, s17, s31
	s_lshl_b64 s[36:37], s[20:21], 1
	s_add_u32 s47, s34, s36
	s_addc_u32 s48, s35, s37
	s_ashr_i32 s10, s9, 2
	s_add_u32 s26, s4, 0x48
	s_mov_b32 s22, s9
	v_cmp_gt_u32_e64 s[0:1], s10, v0
	s_addc_u32 s27, s5, 0
	v_mov_b32_e32 v1, 0
	s_and_saveexec_b64 s[2:3], s[0:1]
	s_cbranch_execz .LBB78_10
; %bb.1:
	s_cmp_lt_u32 s6, s49
	s_cselect_b32 s9, 12, 18
	s_add_u32 s24, s26, s9
	s_addc_u32 s25, s27, 0
	v_mov_b32_e32 v3, 0
	global_load_ushort v8, v3, s[24:25]
	s_mov_b64 s[24:25], 0
	v_mov_b32_e32 v9, s46
	v_mov_b32_e32 v10, s48
	;; [unrolled: 1-line block ×3, first 2 shown]
                                        ; implicit-def: $sgpr28_sgpr29
	s_waitcnt vmcnt(0)
	v_add_u32_e32 v1, v8, v8
	v_mul_lo_u32 v11, v8, 3
	v_lshlrev_b32_e32 v12, 1, v8
	v_add_u32_e32 v13, v1, v8
	v_mov_b32_e32 v1, v3
	s_branch .LBB78_5
.LBB78_2:                               ;   in Loop: Header=BB78_5 Depth=1
	s_or_b64 exec, exec, s[42:43]
	s_orn2_b64 s[42:43], s[44:45], exec
.LBB78_3:                               ;   in Loop: Header=BB78_5 Depth=1
	s_or_b64 exec, exec, s[40:41]
	s_andn2_b64 s[28:29], s[28:29], exec
	s_and_b64 s[40:41], s[42:43], exec
	s_or_b64 s[28:29], s[28:29], s[40:41]
.LBB78_4:                               ;   in Loop: Header=BB78_5 Depth=1
	s_or_b64 exec, exec, s[38:39]
	s_and_b64 s[38:39], exec, s[28:29]
	s_or_b64 s[24:25], s[38:39], s[24:25]
	s_andn2_b64 exec, exec, s[24:25]
	s_cbranch_execz .LBB78_9
.LBB78_5:                               ; =>This Inner Loop Header: Depth=1
	v_lshlrev_b64 v[4:5], 3, v[2:3]
	v_add_co_u32_e32 v6, vcc, s33, v4
	v_addc_co_u32_e32 v7, vcc, v9, v5, vcc
	v_add_co_u32_e32 v4, vcc, s47, v4
	v_addc_co_u32_e32 v5, vcc, v10, v5, vcc
	global_load_dwordx2 v[6:7], v[6:7], off
	s_or_b64 s[28:29], s[28:29], exec
	global_load_dwordx2 v[14:15], v[4:5], off
	v_add_u32_e32 v4, v2, v8
	v_cmp_gt_u32_e32 vcc, s10, v4
	s_waitcnt vmcnt(1)
	v_lshlrev_b32_e32 v16, 16, v6
	v_and_b32_e32 v5, 0xffff0000, v6
	s_waitcnt vmcnt(0)
	v_lshlrev_b32_e32 v18, 16, v14
	v_alignbit_b32 v6, v7, v6, 16
	v_and_b32_e32 v17, 0xffff0000, v14
	v_alignbit_b32 v14, v15, v14, 16
	v_add_f32_e32 v16, v16, v18
	v_and_b32_e32 v6, 0xffff0000, v6
	v_add_f32_e32 v5, v5, v17
	v_and_b32_e32 v14, 0xffff0000, v14
	v_fmac_f32_e32 v1, v16, v16
	v_and_b32_e32 v7, 0xffff0000, v7
	v_and_b32_e32 v15, 0xffff0000, v15
	v_add_f32_e32 v6, v6, v14
	v_fmac_f32_e32 v1, v5, v5
	v_add_f32_e32 v7, v7, v15
	v_fmac_f32_e32 v1, v6, v6
	v_fmac_f32_e32 v1, v7, v7
	s_and_saveexec_b64 s[38:39], vcc
	s_cbranch_execz .LBB78_4
; %bb.6:                                ;   in Loop: Header=BB78_5 Depth=1
	v_mov_b32_e32 v5, v3
	v_lshlrev_b64 v[6:7], 3, v[4:5]
	v_add_co_u32_e32 v14, vcc, s33, v6
	v_addc_co_u32_e32 v15, vcc, v9, v7, vcc
	v_add_co_u32_e32 v6, vcc, s47, v6
	v_addc_co_u32_e32 v7, vcc, v10, v7, vcc
	global_load_dwordx2 v[14:15], v[14:15], off
	s_mov_b64 s[42:43], -1
	global_load_dwordx2 v[16:17], v[6:7], off
	v_add_u32_e32 v6, v12, v2
	v_cmp_gt_u32_e32 vcc, s10, v6
	s_waitcnt vmcnt(1)
	v_lshlrev_b32_e32 v7, 16, v14
	v_and_b32_e32 v5, 0xffff0000, v14
	s_waitcnt vmcnt(0)
	v_lshlrev_b32_e32 v19, 16, v16
	v_alignbit_b32 v14, v15, v14, 16
	v_and_b32_e32 v18, 0xffff0000, v16
	v_alignbit_b32 v16, v17, v16, 16
	v_add_f32_e32 v7, v7, v19
	v_and_b32_e32 v14, 0xffff0000, v14
	v_add_f32_e32 v5, v5, v18
	v_and_b32_e32 v16, 0xffff0000, v16
	v_fmac_f32_e32 v1, v7, v7
	v_and_b32_e32 v15, 0xffff0000, v15
	v_and_b32_e32 v17, 0xffff0000, v17
	v_add_f32_e32 v14, v14, v16
	v_fmac_f32_e32 v1, v5, v5
	v_add_f32_e32 v15, v15, v17
	v_fmac_f32_e32 v1, v14, v14
	v_fmac_f32_e32 v1, v15, v15
	s_and_saveexec_b64 s[40:41], vcc
	s_cbranch_execz .LBB78_3
; %bb.7:                                ;   in Loop: Header=BB78_5 Depth=1
	v_mov_b32_e32 v7, v3
	v_lshlrev_b64 v[6:7], 3, v[6:7]
	v_add_co_u32_e32 v14, vcc, s33, v6
	v_addc_co_u32_e32 v15, vcc, v9, v7, vcc
	v_add_co_u32_e32 v6, vcc, s47, v6
	v_addc_co_u32_e32 v7, vcc, v10, v7, vcc
	global_load_dwordx2 v[14:15], v[14:15], off
	v_add_u32_e32 v2, v11, v2
	global_load_dwordx2 v[6:7], v[6:7], off
	v_cmp_gt_u32_e32 vcc, s10, v2
	s_mov_b64 s[44:45], -1
	s_waitcnt vmcnt(1)
	v_lshlrev_b32_e32 v16, 16, v14
	v_and_b32_e32 v5, 0xffff0000, v14
	s_waitcnt vmcnt(0)
	v_lshlrev_b32_e32 v18, 16, v6
	v_alignbit_b32 v14, v15, v14, 16
	v_and_b32_e32 v17, 0xffff0000, v6
	v_alignbit_b32 v6, v7, v6, 16
	v_add_f32_e32 v16, v16, v18
	v_and_b32_e32 v14, 0xffff0000, v14
	v_add_f32_e32 v5, v5, v17
	v_and_b32_e32 v6, 0xffff0000, v6
	v_fmac_f32_e32 v1, v16, v16
	v_and_b32_e32 v15, 0xffff0000, v15
	v_and_b32_e32 v7, 0xffff0000, v7
	v_add_f32_e32 v6, v14, v6
	v_fmac_f32_e32 v1, v5, v5
	v_add_f32_e32 v7, v15, v7
	v_fmac_f32_e32 v1, v6, v6
	v_fmac_f32_e32 v1, v7, v7
	s_and_saveexec_b64 s[42:43], vcc
	s_xor_b64 s[42:43], exec, s[42:43]
	s_cbranch_execz .LBB78_2
; %bb.8:                                ;   in Loop: Header=BB78_5 Depth=1
	v_lshlrev_b64 v[6:7], 3, v[2:3]
	v_mov_b32_e32 v2, s46
	v_add_co_u32_e32 v14, vcc, s33, v6
	v_addc_co_u32_e32 v15, vcc, v2, v7, vcc
	v_mov_b32_e32 v2, s48
	v_add_co_u32_e32 v6, vcc, s47, v6
	v_addc_co_u32_e32 v7, vcc, v2, v7, vcc
	global_load_dwordx2 v[14:15], v[14:15], off
	v_add_u32_e32 v2, v13, v4
	global_load_dwordx2 v[6:7], v[6:7], off
	v_cmp_le_u32_e32 vcc, s10, v2
	s_orn2_b64 s[44:45], vcc, exec
	s_waitcnt vmcnt(1)
	v_lshlrev_b32_e32 v5, 16, v14
	v_and_b32_e32 v4, 0xffff0000, v14
	s_waitcnt vmcnt(0)
	v_lshlrev_b32_e32 v17, 16, v6
	v_alignbit_b32 v14, v15, v14, 16
	v_and_b32_e32 v16, 0xffff0000, v6
	v_alignbit_b32 v6, v7, v6, 16
	v_add_f32_e32 v5, v5, v17
	v_and_b32_e32 v14, 0xffff0000, v14
	v_add_f32_e32 v4, v4, v16
	v_and_b32_e32 v6, 0xffff0000, v6
	v_fmac_f32_e32 v1, v5, v5
	v_and_b32_e32 v15, 0xffff0000, v15
	v_and_b32_e32 v7, 0xffff0000, v7
	v_add_f32_e32 v6, v14, v6
	v_fmac_f32_e32 v1, v4, v4
	v_add_f32_e32 v7, v15, v7
	v_fmac_f32_e32 v1, v6, v6
	v_fmac_f32_e32 v1, v7, v7
	s_branch .LBB78_2
.LBB78_9:
	s_or_b64 exec, exec, s[24:25]
.LBB78_10:
	s_or_b64 exec, exec, s[2:3]
	v_mbcnt_lo_u32_b32 v2, -1, 0
	v_mbcnt_hi_u32_b32 v2, -1, v2
	v_and_b32_e32 v3, 63, v2
	v_cmp_ne_u32_e32 vcc, 63, v3
	s_load_dword s2, s[26:27], 0xc
	v_addc_co_u32_e32 v4, vcc, 0, v2, vcc
	v_lshlrev_b32_e32 v4, 2, v4
	ds_bpermute_b32 v4, v4, v1
	s_waitcnt lgkmcnt(0)
	s_and_b32 s9, s2, 0xffff
	v_and_b32_e32 v5, 0x3c0, v0
	v_sub_u32_e64 v5, s9, v5 clamp
	v_add_u32_e32 v6, 1, v2
	v_add_f32_e32 v4, v1, v4
	v_cmp_lt_u32_e32 vcc, v6, v5
	v_cndmask_b32_e32 v1, v1, v4, vcc
	v_cmp_gt_u32_e32 vcc, 62, v3
	v_cndmask_b32_e64 v4, 0, 1, vcc
	v_lshlrev_b32_e32 v4, 1, v4
	v_add_lshl_u32 v4, v4, v2, 2
	ds_bpermute_b32 v4, v4, v1
	v_add_u32_e32 v6, 2, v2
	v_cmp_lt_u32_e32 vcc, v6, v5
	v_add_u32_e32 v6, 4, v2
	s_waitcnt lgkmcnt(0)
	v_add_f32_e32 v4, v1, v4
	v_cndmask_b32_e32 v1, v1, v4, vcc
	v_cmp_gt_u32_e32 vcc, 60, v3
	v_cndmask_b32_e64 v4, 0, 1, vcc
	v_lshlrev_b32_e32 v4, 2, v4
	v_add_lshl_u32 v4, v4, v2, 2
	ds_bpermute_b32 v4, v4, v1
	v_cmp_lt_u32_e32 vcc, v6, v5
	v_add_u32_e32 v6, 8, v2
	s_waitcnt lgkmcnt(0)
	v_add_f32_e32 v4, v1, v4
	v_cndmask_b32_e32 v1, v1, v4, vcc
	v_cmp_gt_u32_e32 vcc, 56, v3
	v_cndmask_b32_e64 v4, 0, 1, vcc
	v_lshlrev_b32_e32 v4, 3, v4
	v_add_lshl_u32 v4, v4, v2, 2
	ds_bpermute_b32 v4, v4, v1
	;; [unrolled: 10-line block ×3, first 2 shown]
	v_cmp_lt_u32_e32 vcc, v6, v5
	s_waitcnt lgkmcnt(0)
	v_add_f32_e32 v4, v1, v4
	v_cndmask_b32_e32 v1, v1, v4, vcc
	v_cmp_gt_u32_e32 vcc, 32, v3
	v_cndmask_b32_e64 v3, 0, 1, vcc
	v_lshlrev_b32_e32 v3, 5, v3
	v_add_lshl_u32 v3, v3, v2, 2
	ds_bpermute_b32 v3, v3, v1
	v_add_u32_e32 v4, 32, v2
	v_cmp_lt_u32_e32 vcc, v4, v5
	s_waitcnt lgkmcnt(0)
	v_add_f32_e32 v3, v1, v3
	v_cndmask_b32_e32 v1, v1, v3, vcc
	v_cmp_eq_u32_e32 vcc, 0, v2
	s_and_saveexec_b64 s[2:3], vcc
	s_cbranch_execz .LBB78_12
; %bb.11:
	v_lshrrev_b32_e32 v3, 4, v0
	v_and_b32_e32 v3, 60, v3
	ds_write_b32 v3, v1 offset:4096
.LBB78_12:
	s_or_b64 exec, exec, s[2:3]
	v_cmp_gt_u32_e32 vcc, 16, v0
	s_waitcnt lgkmcnt(0)
	s_barrier
	s_and_saveexec_b64 s[24:25], vcc
	s_cbranch_execz .LBB78_14
; %bb.13:
	v_lshlrev_b32_e32 v1, 2, v2
	ds_read_b32 v1, v1 offset:4096
	v_and_b32_e32 v3, 15, v2
	v_cmp_ne_u32_e32 vcc, 15, v3
	v_addc_co_u32_e32 v4, vcc, 0, v2, vcc
	v_lshlrev_b32_e32 v4, 2, v4
	s_waitcnt lgkmcnt(0)
	ds_bpermute_b32 v4, v4, v1
	s_add_i32 s9, s9, 63
	s_lshr_b32 s9, s9, 6
	v_add_u32_e32 v5, 1, v3
	v_cmp_gt_u32_e64 s[2:3], 14, v3
	v_cmp_gt_u32_e32 vcc, s9, v5
	v_cndmask_b32_e64 v5, 0, 1, s[2:3]
	s_waitcnt lgkmcnt(0)
	v_add_f32_e32 v4, v1, v4
	v_lshlrev_b32_e32 v5, 1, v5
	v_cndmask_b32_e32 v4, v1, v4, vcc
	v_add_lshl_u32 v5, v5, v2, 2
	ds_bpermute_b32 v5, v5, v4
	v_add_u32_e32 v6, 2, v3
	v_cmp_gt_u32_e64 s[2:3], s9, v6
	v_add_u32_e32 v6, 4, v3
	s_waitcnt lgkmcnt(0)
	v_add_f32_e32 v5, v4, v5
	v_cndmask_b32_e64 v4, v4, v5, s[2:3]
	v_cmp_gt_u32_e64 s[2:3], 12, v3
	v_cndmask_b32_e64 v5, 0, 1, s[2:3]
	v_lshlrev_b32_e32 v5, 2, v5
	v_add_lshl_u32 v5, v5, v2, 2
	ds_bpermute_b32 v5, v5, v4
	v_cmp_gt_u32_e64 s[2:3], s9, v6
	s_waitcnt lgkmcnt(0)
	v_add_f32_e32 v5, v4, v5
	v_cndmask_b32_e64 v4, v4, v5, s[2:3]
	v_cmp_gt_u32_e64 s[2:3], 8, v3
	v_cndmask_b32_e64 v5, 0, 1, s[2:3]
	v_lshlrev_b32_e32 v5, 3, v5
	v_add_lshl_u32 v2, v5, v2, 2
	ds_bpermute_b32 v2, v2, v4
	v_add_u32_e32 v3, 8, v3
	v_cmp_gt_u32_e64 s[2:3], s9, v3
	s_waitcnt lgkmcnt(0)
	v_add_f32_e32 v2, v4, v2
	v_cndmask_b32_e64 v2, v4, v2, s[2:3]
	v_cndmask_b32_e32 v1, v1, v2, vcc
.LBB78_14:
	s_or_b64 exec, exec, s[24:25]
	v_cmp_eq_u32_e32 vcc, 0, v0
	s_and_saveexec_b64 s[2:3], vcc
	s_cbranch_execz .LBB78_16
; %bb.15:
	v_cvt_f32_i32_e32 v2, s22
	s_mov_b32 s9, 0x800000
	v_div_scale_f32 v3, s[24:25], v2, v2, v1
	v_rcp_f32_e32 v4, v3
	v_div_scale_f32 v5, vcc, v1, v2, v1
	v_fma_f32 v6, -v3, v4, 1.0
	v_fmac_f32_e32 v4, v6, v4
	v_mul_f32_e32 v6, v5, v4
	v_fma_f32 v7, -v3, v6, v5
	v_fmac_f32_e32 v6, v7, v4
	v_fma_f32 v3, -v3, v6, v5
	v_div_fmas_f32 v3, v3, v4, v6
	v_div_fixup_f32 v1, v3, v2, v1
	v_add_f32_e32 v1, s8, v1
	v_mul_f32_e32 v2, 0x4b800000, v1
	v_cmp_gt_f32_e32 vcc, s9, v1
	v_cndmask_b32_e32 v1, v1, v2, vcc
	v_rsq_f32_e32 v1, v1
	v_mul_f32_e32 v2, 0x45800000, v1
	v_cndmask_b32_e32 v1, v1, v2, vcc
	v_mov_b32_e32 v2, 0
	ds_write_b32 v2, v1 offset:4160
.LBB78_16:
	s_or_b64 exec, exec, s[2:3]
	s_ashr_i32 s2, s22, 31
	s_lshr_b32 s2, s2, 26
	s_add_i32 s8, s22, s2
	s_ashr_i32 s24, s8, 6
	s_cmp_lt_u32 s6, s49
	s_cselect_b32 s2, 12, 18
	s_add_u32 s2, s26, s2
	v_mov_b32_e32 v5, 0
	s_addc_u32 s3, s27, 0
	s_waitcnt lgkmcnt(0)
	s_barrier
	global_load_ushort v1, v5, s[2:3]
	ds_read_b32 v37, v5 offset:4160
	s_abs_i32 s2, s24
	v_cvt_f32_u32_e32 v2, s2
	s_ashr_i32 s3, s8, 31
	s_sub_i32 s8, 0, s2
	v_mov_b32_e32 v10, s10
	v_rcp_iflag_f32_e32 v2, v2
	v_mul_f32_e32 v2, 0x4f7ffffe, v2
	v_cvt_u32_f32_e32 v2, v2
	v_readfirstlane_b32 s9, v2
	s_mul_i32 s8, s8, s9
	s_mul_hi_u32 s8, s9, s8
	s_add_i32 s9, s9, s8
	s_waitcnt vmcnt(0)
	v_readfirstlane_b32 s44, v1
	s_mul_hi_u32 s8, s44, s9
	s_mul_i32 s9, s8, s2
	s_sub_i32 s9, s44, s9
	s_add_i32 s11, s8, 1
	s_sub_i32 s25, s9, s2
	s_cmp_ge_u32 s9, s2
	s_cselect_b32 s8, s11, s8
	s_cselect_b32 s9, s25, s9
	s_add_i32 s11, s8, 1
	s_cmp_ge_u32 s9, s2
	s_cselect_b32 s2, s11, s8
	s_xor_b32 s2, s2, s3
	s_sub_i32 s26, s2, s3
	s_abs_i32 s2, s26
	v_cvt_f32_u32_e32 v1, s2
	s_sub_i32 s3, 0, s2
	s_ashr_i32 s27, s26, 31
	s_ashr_i32 s11, s10, 31
	v_rcp_iflag_f32_e32 v1, v1
	v_mov_b32_e32 v11, s11
	v_mul_f32_e32 v1, 0x4f7ffffe, v1
	v_cvt_u32_f32_e32 v1, v1
	v_mul_lo_u32 v2, s3, v1
	v_mul_hi_u32 v2, v1, v2
	v_add_u32_e32 v1, v1, v2
	v_mul_hi_u32 v1, v0, v1
	v_mul_lo_u32 v2, v1, s2
	v_sub_u32_e32 v2, v0, v2
	v_add_u32_e32 v3, 1, v1
	v_cmp_le_u32_e32 vcc, s2, v2
	v_cndmask_b32_e32 v1, v1, v3, vcc
	v_subrev_u32_e32 v3, s2, v2
	v_cndmask_b32_e32 v2, v2, v3, vcc
	v_add_u32_e32 v3, 1, v1
	v_cmp_le_u32_e32 vcc, s2, v2
	v_cndmask_b32_e32 v1, v1, v3, vcc
	v_xor_b32_e32 v1, s27, v1
	v_subrev_u32_e32 v2, s27, v1
	v_mul_lo_u32 v1, v2, s26
	v_ashrrev_i32_e32 v3, 31, v2
	v_sub_u32_e32 v4, v0, v1
	v_lshlrev_b64 v[8:9], 4, v[2:3]
	v_add_co_u32_e32 v6, vcc, v8, v4
	v_addc_co_u32_e32 v7, vcc, 0, v9, vcc
	v_add_co_u32_e32 v8, vcc, 16, v8
	v_addc_co_u32_e32 v9, vcc, 0, v9, vcc
	v_cmp_gt_i64_e32 vcc, s[10:11], v[8:9]
	v_cndmask_b32_e32 v8, v10, v8, vcc
	v_cndmask_b32_e32 v9, v11, v9, vcc
	v_ashrrev_i32_e32 v11, 31, v8
	v_mov_b32_e32 v10, v8
	v_cmp_lt_i64_e32 vcc, v[6:7], v[10:11]
	s_and_saveexec_b64 s[28:29], vcc
	s_cbranch_execz .LBB78_26
; %bb.17:
	v_lshlrev_b64 v[30:31], 7, v[2:3]
	s_mul_i32 s25, s26, 24
	v_lshlrev_b64 v[12:13], 3, v[4:5]
	v_mov_b32_e32 v1, s31
	v_add_co_u32_e32 v5, vcc, s30, v30
	s_mul_hi_i32 s11, s26, 24
	s_add_u32 s2, s16, s25
	v_addc_co_u32_e32 v19, vcc, v1, v31, vcc
	s_addc_u32 s3, s17, s11
	v_mov_b32_e32 v1, s3
	v_add_co_u32_e32 v14, vcc, s2, v5
	s_lshl_b64 s[30:31], s[26:27], 5
	s_lshl_b64 s[2:3], s[26:27], 4
	s_add_u32 s8, s16, s2
	v_addc_co_u32_e32 v1, vcc, v1, v19, vcc
	s_addc_u32 s9, s17, s3
	v_mov_b32_e32 v15, s9
	v_add_co_u32_e32 v16, vcc, s8, v5
	s_lshl_b64 s[8:9], s[26:27], 3
	s_add_u32 s38, s16, s8
	v_addc_co_u32_e32 v15, vcc, v15, v19, vcc
	s_addc_u32 s39, s17, s9
	v_mov_b32_e32 v17, s39
	v_add_co_u32_e32 v18, vcc, s38, v5
	v_addc_co_u32_e32 v17, vcc, v17, v19, vcc
	v_mov_b32_e32 v21, s17
	v_add_co_u32_e32 v20, vcc, s16, v5
	s_add_u32 s16, s18, s25
	v_addc_co_u32_e32 v19, vcc, v21, v19, vcc
	s_addc_u32 s17, s19, s11
	v_mov_b32_e32 v5, s17
	v_add_co_u32_e32 v22, vcc, s16, v30
	s_add_u32 s16, s18, s2
	v_addc_co_u32_e32 v21, vcc, v5, v31, vcc
	s_addc_u32 s17, s19, s3
	;; [unrolled: 5-line block ×3, first 2 shown]
	v_mov_b32_e32 v5, s17
	v_add_co_u32_e32 v26, vcc, s16, v30
	v_addc_co_u32_e32 v25, vcc, v5, v31, vcc
	v_mov_b32_e32 v5, s19
	v_add_co_u32_e32 v28, vcc, s18, v30
	v_addc_co_u32_e32 v27, vcc, v5, v31, vcc
	v_mov_b32_e32 v5, s37
	v_add_co_u32_e32 v35, vcc, s36, v30
	s_add_u32 s16, s34, s25
	v_addc_co_u32_e32 v5, vcc, v5, v31, vcc
	s_addc_u32 s11, s35, s11
	v_mov_b32_e32 v29, s11
	v_add_co_u32_e32 v30, vcc, s16, v35
	s_add_u32 s2, s34, s2
	v_addc_co_u32_e32 v29, vcc, v29, v5, vcc
	s_addc_u32 s3, s35, s3
	;; [unrolled: 5-line block ×3, first 2 shown]
	v_mov_b32_e32 v33, s3
	v_add_co_u32_e32 v34, vcc, s2, v35
	v_addc_co_u32_e32 v33, vcc, v33, v5, vcc
	v_mov_b32_e32 v38, s35
	v_add_co_u32_e32 v36, vcc, s34, v35
	v_addc_co_u32_e32 v35, vcc, v38, v5, vcc
	s_mul_hi_i32 s11, s26, 3
	s_mul_i32 s25, s26, 3
	s_lshl_b64 s[34:35], s[26:27], 1
	s_mov_b64 s[16:17], 0
	v_mov_b32_e32 v5, 0
	s_movk_i32 s45, 0x7fff
	v_mov_b32_e32 v42, 0x7fc00000
	v_pk_mov_b32 v[38:39], v[6:7], v[6:7] op_sel:[0,1]
                                        ; implicit-def: $sgpr36_sgpr37
	s_branch .LBB78_21
.LBB78_18:                              ;   in Loop: Header=BB78_21 Depth=1
	s_or_b64 exec, exec, s[42:43]
	s_orn2_b64 s[2:3], s[2:3], exec
.LBB78_19:                              ;   in Loop: Header=BB78_21 Depth=1
	s_or_b64 exec, exec, s[40:41]
	s_andn2_b64 s[8:9], s[36:37], exec
	s_and_b64 s[2:3], s[2:3], exec
	s_or_b64 s[36:37], s[8:9], s[2:3]
.LBB78_20:                              ;   in Loop: Header=BB78_21 Depth=1
	s_or_b64 exec, exec, s[38:39]
	s_and_b64 s[2:3], exec, s[36:37]
	s_or_b64 s[16:17], s[2:3], s[16:17]
	s_andn2_b64 exec, exec, s[16:17]
	s_cbranch_execz .LBB78_25
.LBB78_21:                              ; =>This Inner Loop Header: Depth=1
	v_add_co_u32_e32 v40, vcc, v20, v12
	v_addc_co_u32_e32 v41, vcc, v19, v13, vcc
	global_load_dwordx2 v[44:45], v[40:41], off
	v_add_co_u32_e32 v40, vcc, v28, v12
	v_addc_co_u32_e32 v41, vcc, v27, v13, vcc
	global_load_dwordx2 v[46:47], v[40:41], off
	;; [unrolled: 3-line block ×3, first 2 shown]
	v_mov_b32_e32 v41, s27
	v_add_co_u32_e32 v40, vcc, s26, v38
	v_addc_co_u32_e32 v41, vcc, v39, v41, vcc
	v_cmp_lt_i64_e32 vcc, v[40:41], v[10:11]
	s_or_b64 s[36:37], s[36:37], exec
	s_waitcnt vmcnt(2)
	v_and_b32_e32 v43, 0xffff0000, v44
	v_lshlrev_b32_e32 v51, 16, v44
	v_alignbit_b32 v44, v45, v44, 16
	v_and_b32_e32 v44, 0xffff0000, v44
	v_and_b32_e32 v45, 0xffff0000, v45
	s_waitcnt vmcnt(1)
	v_lshlrev_b32_e32 v54, 16, v46
	v_and_b32_e32 v50, 0xffff0000, v46
	v_alignbit_b32 v46, v47, v46, 16
	v_and_b32_e32 v47, 0xffff0000, v47
	v_and_b32_e32 v46, 0xffff0000, v46
	s_waitcnt vmcnt(0)
	v_and_b32_e32 v52, 0xffff0000, v48
	v_lshlrev_b32_e32 v53, 16, v48
	v_alignbit_b32 v48, v49, v48, 16
	v_add_f32_e32 v51, v51, v53
	v_and_b32_e32 v48, 0xffff0000, v48
	v_and_b32_e32 v49, 0xffff0000, v49
	v_add_f32_e32 v43, v43, v52
	v_add_f32_e32 v44, v44, v48
	s_waitcnt lgkmcnt(0)
	v_mul_f32_e32 v48, v37, v51
	v_add_f32_e32 v45, v45, v49
	v_mul_f32_e32 v43, v37, v43
	v_bfe_u32 v49, v48, 16, 1
	v_mul_f32_e32 v45, v37, v45
	v_bfe_u32 v51, v43, 16, 1
	v_add3_u32 v49, v48, v49, s45
	v_bfe_u32 v52, v45, 16, 1
	v_add3_u32 v51, v43, v51, s45
	v_and_b32_e32 v49, 0xffff0000, v49
	v_cmp_o_f32_e64 s[2:3], v48, v48
	v_mul_f32_e32 v44, v37, v44
	v_add3_u32 v52, v45, v52, s45
	v_and_b32_e32 v51, 0xffff0000, v51
	v_cndmask_b32_e64 v48, v42, v49, s[2:3]
	v_cmp_o_f32_e64 s[2:3], v43, v43
	v_bfe_u32 v53, v44, 16, 1
	v_and_b32_e32 v52, 0xffff0000, v52
	v_cndmask_b32_e64 v43, v42, v51, s[2:3]
	v_cmp_o_f32_e64 s[2:3], v45, v45
	v_add3_u32 v53, v44, v53, s45
	v_cndmask_b32_e64 v45, v42, v52, s[2:3]
	v_mul_f32_e32 v48, v48, v54
	v_and_b32_e32 v49, 0xffff0000, v53
	v_mul_f32_e32 v43, v43, v50
	v_cmp_o_f32_e64 s[2:3], v44, v44
	v_mul_f32_e32 v45, v45, v47
	v_bfe_u32 v47, v48, 16, 1
	v_cndmask_b32_e64 v44, v42, v49, s[2:3]
	v_bfe_u32 v49, v43, 16, 1
	v_add3_u32 v47, v48, v47, s45
	v_mul_f32_e32 v44, v44, v46
	v_bfe_u32 v46, v45, 16, 1
	v_add3_u32 v49, v43, v49, s45
	v_and_b32_e32 v47, 0xffff0000, v47
	v_cmp_o_f32_e64 s[2:3], v48, v48
	v_bfe_u32 v50, v44, 16, 1
	v_add3_u32 v46, v45, v46, s45
	v_and_b32_e32 v49, 0xffff0000, v49
	v_cndmask_b32_e64 v47, v42, |v47|, s[2:3]
	v_cmp_o_f32_e64 s[2:3], v43, v43
	v_add3_u32 v50, v44, v50, s45
	v_and_b32_e32 v46, 0xffff0000, v46
	v_cndmask_b32_e64 v43, v42, |v49|, s[2:3]
	v_cmp_o_f32_e64 s[2:3], v45, v45
	v_and_b32_e32 v48, 0xffff0000, v50
	v_cndmask_b32_e64 v45, v42, |v46|, s[2:3]
	v_cmp_o_f32_e64 s[2:3], v44, v44
	v_max3_f32 v5, v5, v47, v43
	v_cndmask_b32_e64 v43, v42, |v48|, s[2:3]
	v_max3_f32 v5, v5, v43, v45
	s_and_saveexec_b64 s[38:39], vcc
	s_cbranch_execz .LBB78_20
; %bb.22:                               ;   in Loop: Header=BB78_21 Depth=1
	v_add_co_u32_e32 v44, vcc, v18, v12
	v_addc_co_u32_e32 v45, vcc, v17, v13, vcc
	v_add_co_u32_e32 v46, vcc, v26, v12
	v_addc_co_u32_e32 v47, vcc, v25, v13, vcc
	;; [unrolled: 2-line block ×3, first 2 shown]
	global_load_dwordx2 v[44:45], v[44:45], off
	v_mov_b32_e32 v43, s35
	global_load_dwordx2 v[48:49], v[48:49], off
	v_add_co_u32_e32 v50, vcc, s34, v38
	global_load_dwordx2 v[46:47], v[46:47], off
	v_addc_co_u32_e32 v51, vcc, v43, v39, vcc
	v_cmp_lt_i64_e32 vcc, v[50:51], v[10:11]
	s_waitcnt vmcnt(2)
	v_and_b32_e32 v43, 0xffff0000, v44
	v_lshlrev_b32_e32 v51, 16, v44
	v_alignbit_b32 v44, v45, v44, 16
	s_waitcnt vmcnt(1)
	v_and_b32_e32 v52, 0xffff0000, v48
	v_lshlrev_b32_e32 v53, 16, v48
	v_alignbit_b32 v48, v49, v48, 16
	v_and_b32_e32 v44, 0xffff0000, v44
	v_add_f32_e32 v51, v51, v53
	v_and_b32_e32 v48, 0xffff0000, v48
	v_and_b32_e32 v45, 0xffff0000, v45
	v_and_b32_e32 v49, 0xffff0000, v49
	v_add_f32_e32 v43, v43, v52
	v_add_f32_e32 v44, v44, v48
	v_mul_f32_e32 v48, v37, v51
	v_add_f32_e32 v45, v45, v49
	v_mul_f32_e32 v43, v37, v43
	v_bfe_u32 v49, v48, 16, 1
	v_mul_f32_e32 v45, v37, v45
	v_bfe_u32 v51, v43, 16, 1
	v_add3_u32 v49, v48, v49, s45
	v_bfe_u32 v52, v45, 16, 1
	v_add3_u32 v51, v43, v51, s45
	v_and_b32_e32 v49, 0xffff0000, v49
	v_cmp_o_f32_e64 s[2:3], v48, v48
	v_mul_f32_e32 v44, v37, v44
	v_add3_u32 v52, v45, v52, s45
	v_and_b32_e32 v51, 0xffff0000, v51
	v_cndmask_b32_e64 v48, v42, v49, s[2:3]
	v_cmp_o_f32_e64 s[2:3], v43, v43
	s_waitcnt vmcnt(0)
	v_lshlrev_b32_e32 v54, 16, v46
	v_bfe_u32 v53, v44, 16, 1
	v_and_b32_e32 v52, 0xffff0000, v52
	v_cndmask_b32_e64 v43, v42, v51, s[2:3]
	v_cmp_o_f32_e64 s[2:3], v45, v45
	v_and_b32_e32 v50, 0xffff0000, v46
	v_alignbit_b32 v46, v47, v46, 16
	v_and_b32_e32 v47, 0xffff0000, v47
	v_add3_u32 v53, v44, v53, s45
	v_cndmask_b32_e64 v45, v42, v52, s[2:3]
	v_mul_f32_e32 v48, v48, v54
	v_and_b32_e32 v49, 0xffff0000, v53
	v_mul_f32_e32 v43, v43, v50
	v_cmp_o_f32_e64 s[2:3], v44, v44
	v_mul_f32_e32 v45, v45, v47
	v_bfe_u32 v47, v48, 16, 1
	v_and_b32_e32 v46, 0xffff0000, v46
	v_cndmask_b32_e64 v44, v42, v49, s[2:3]
	v_bfe_u32 v49, v43, 16, 1
	v_add3_u32 v47, v48, v47, s45
	v_mul_f32_e32 v44, v44, v46
	v_bfe_u32 v46, v45, 16, 1
	v_add3_u32 v49, v43, v49, s45
	v_and_b32_e32 v47, 0xffff0000, v47
	v_cmp_o_f32_e64 s[2:3], v48, v48
	v_bfe_u32 v50, v44, 16, 1
	v_add3_u32 v46, v45, v46, s45
	v_and_b32_e32 v49, 0xffff0000, v49
	v_cndmask_b32_e64 v47, v42, |v47|, s[2:3]
	v_cmp_o_f32_e64 s[2:3], v43, v43
	v_add3_u32 v50, v44, v50, s45
	v_and_b32_e32 v46, 0xffff0000, v46
	v_cndmask_b32_e64 v43, v42, |v49|, s[2:3]
	v_cmp_o_f32_e64 s[2:3], v45, v45
	v_and_b32_e32 v48, 0xffff0000, v50
	v_cndmask_b32_e64 v45, v42, |v46|, s[2:3]
	v_cmp_o_f32_e64 s[2:3], v44, v44
	v_max3_f32 v5, v5, v47, v43
	v_cndmask_b32_e64 v43, v42, |v48|, s[2:3]
	v_max3_f32 v5, v5, v43, v45
	s_mov_b64 s[2:3], -1
	s_and_saveexec_b64 s[40:41], vcc
	s_cbranch_execz .LBB78_19
; %bb.23:                               ;   in Loop: Header=BB78_21 Depth=1
	v_add_co_u32_e32 v44, vcc, v16, v12
	v_addc_co_u32_e32 v45, vcc, v15, v13, vcc
	v_add_co_u32_e32 v46, vcc, v24, v12
	v_addc_co_u32_e32 v47, vcc, v23, v13, vcc
	;; [unrolled: 2-line block ×3, first 2 shown]
	global_load_dwordx2 v[44:45], v[44:45], off
	v_mov_b32_e32 v43, s11
	global_load_dwordx2 v[48:49], v[48:49], off
	v_add_co_u32_e32 v38, vcc, s25, v38
	global_load_dwordx2 v[46:47], v[46:47], off
	v_addc_co_u32_e32 v39, vcc, v43, v39, vcc
	v_cmp_lt_i64_e32 vcc, v[38:39], v[10:11]
	s_waitcnt vmcnt(2)
	v_lshlrev_b32_e32 v43, 16, v44
	v_and_b32_e32 v38, 0xffff0000, v44
	s_waitcnt vmcnt(1)
	v_lshlrev_b32_e32 v51, 16, v48
	v_alignbit_b32 v44, v45, v44, 16
	v_and_b32_e32 v50, 0xffff0000, v48
	v_alignbit_b32 v48, v49, v48, 16
	v_add_f32_e32 v43, v43, v51
	v_and_b32_e32 v45, 0xffff0000, v45
	v_and_b32_e32 v49, 0xffff0000, v49
	;; [unrolled: 1-line block ×3, first 2 shown]
	v_add_f32_e32 v38, v38, v50
	v_and_b32_e32 v48, 0xffff0000, v48
	v_mul_f32_e32 v43, v37, v43
	v_add_f32_e32 v45, v45, v49
	v_add_f32_e32 v44, v44, v48
	v_mul_f32_e32 v38, v37, v38
	v_bfe_u32 v48, v43, 16, 1
	v_mul_f32_e32 v45, v37, v45
	v_bfe_u32 v49, v38, 16, 1
	v_add3_u32 v48, v43, v48, s45
	v_bfe_u32 v50, v45, 16, 1
	v_add3_u32 v49, v38, v49, s45
	v_and_b32_e32 v48, 0xffff0000, v48
	v_cmp_o_f32_e64 s[2:3], v43, v43
	v_mul_f32_e32 v44, v37, v44
	v_add3_u32 v50, v45, v50, s45
	v_and_b32_e32 v49, 0xffff0000, v49
	v_cndmask_b32_e64 v43, v42, v48, s[2:3]
	v_cmp_o_f32_e64 s[2:3], v38, v38
	s_waitcnt vmcnt(0)
	v_lshlrev_b32_e32 v52, 16, v46
	v_bfe_u32 v51, v44, 16, 1
	v_and_b32_e32 v50, 0xffff0000, v50
	v_cndmask_b32_e64 v38, v42, v49, s[2:3]
	v_cmp_o_f32_e64 s[2:3], v45, v45
	v_and_b32_e32 v39, 0xffff0000, v46
	v_alignbit_b32 v46, v47, v46, 16
	v_and_b32_e32 v47, 0xffff0000, v47
	v_add3_u32 v51, v44, v51, s45
	v_cndmask_b32_e64 v45, v42, v50, s[2:3]
	v_mul_f32_e32 v43, v43, v52
	v_and_b32_e32 v48, 0xffff0000, v51
	v_mul_f32_e32 v38, v38, v39
	v_cmp_o_f32_e64 s[2:3], v44, v44
	v_mul_f32_e32 v44, v45, v47
	v_bfe_u32 v45, v43, 16, 1
	v_and_b32_e32 v46, 0xffff0000, v46
	v_cndmask_b32_e64 v39, v42, v48, s[2:3]
	v_bfe_u32 v47, v38, 16, 1
	v_add3_u32 v45, v43, v45, s45
	v_mul_f32_e32 v39, v39, v46
	v_bfe_u32 v46, v44, 16, 1
	v_add3_u32 v47, v38, v47, s45
	v_and_b32_e32 v45, 0xffff0000, v45
	v_cmp_o_f32_e64 s[2:3], v43, v43
	v_bfe_u32 v48, v39, 16, 1
	v_add3_u32 v46, v44, v46, s45
	v_and_b32_e32 v47, 0xffff0000, v47
	v_cndmask_b32_e64 v43, v42, |v45|, s[2:3]
	v_cmp_o_f32_e64 s[2:3], v38, v38
	v_add3_u32 v48, v39, v48, s45
	v_and_b32_e32 v46, 0xffff0000, v46
	v_cndmask_b32_e64 v38, v42, |v47|, s[2:3]
	v_cmp_o_f32_e64 s[2:3], v44, v44
	v_and_b32_e32 v45, 0xffff0000, v48
	v_cndmask_b32_e64 v44, v42, |v46|, s[2:3]
	v_cmp_o_f32_e64 s[2:3], v39, v39
	v_max3_f32 v5, v5, v43, v38
	v_cndmask_b32_e64 v38, v42, |v45|, s[2:3]
	v_max3_f32 v5, v5, v38, v44
	s_mov_b64 s[2:3], -1
                                        ; implicit-def: $vgpr38_vgpr39
	s_and_saveexec_b64 s[8:9], vcc
	s_xor_b64 s[42:43], exec, s[8:9]
	s_cbranch_execz .LBB78_18
; %bb.24:                               ;   in Loop: Header=BB78_21 Depth=1
	s_add_u32 s2, s26, s26
	s_addc_u32 s3, s27, s27
	s_add_u32 s2, s2, s26
	s_addc_u32 s3, s3, s27
	v_mov_b32_e32 v39, s3
	v_add_co_u32_e32 v38, vcc, s2, v40
	v_addc_co_u32_e32 v39, vcc, v39, v41, vcc
	v_add_co_u32_e32 v40, vcc, v14, v12
	v_addc_co_u32_e32 v41, vcc, v1, v13, vcc
	global_load_dwordx2 v[40:41], v[40:41], off
	s_waitcnt vmcnt(0)
	v_and_b32_e32 v43, 0xffff0000, v40
	v_lshlrev_b32_e32 v44, 16, v40
	v_alignbit_b32 v45, v41, v40, 16
	v_add_co_u32_e32 v40, vcc, v30, v12
	v_and_b32_e32 v46, 0xffff0000, v41
	v_addc_co_u32_e32 v41, vcc, v29, v13, vcc
	global_load_dwordx2 v[40:41], v[40:41], off
	v_and_b32_e32 v45, 0xffff0000, v45
	s_waitcnt vmcnt(0)
	v_and_b32_e32 v47, 0xffff0000, v40
	v_lshlrev_b32_e32 v48, 16, v40
	v_alignbit_b32 v49, v41, v40, 16
	v_add_co_u32_e32 v40, vcc, v22, v12
	v_and_b32_e32 v50, 0xffff0000, v41
	v_addc_co_u32_e32 v41, vcc, v21, v13, vcc
	global_load_dwordx2 v[40:41], v[40:41], off
	v_add_f32_e32 v44, v44, v48
	v_add_f32_e32 v43, v43, v47
	v_and_b32_e32 v47, 0xffff0000, v49
	v_mul_f32_e32 v44, v37, v44
	v_add_f32_e32 v45, v45, v47
	v_bfe_u32 v47, v44, 16, 1
	v_add3_u32 v47, v44, v47, s45
	v_and_b32_e32 v47, 0xffff0000, v47
	v_cmp_o_f32_e32 vcc, v44, v44
	v_mul_f32_e32 v43, v37, v43
	v_cndmask_b32_e32 v44, v42, v47, vcc
	v_bfe_u32 v47, v43, 16, 1
	v_add_f32_e32 v46, v46, v50
	v_add3_u32 v47, v43, v47, s45
	v_and_b32_e32 v47, 0xffff0000, v47
	v_cmp_o_f32_e32 vcc, v43, v43
	v_mul_f32_e32 v46, v37, v46
	v_cndmask_b32_e32 v43, v42, v47, vcc
	v_bfe_u32 v47, v46, 16, 1
	v_add3_u32 v47, v46, v47, s45
	v_and_b32_e32 v47, 0xffff0000, v47
	v_cmp_o_f32_e32 vcc, v46, v46
	v_cndmask_b32_e32 v46, v42, v47, vcc
	v_mul_f32_e32 v45, v37, v45
	v_cmp_o_f32_e32 vcc, v45, v45
	s_waitcnt vmcnt(0)
	v_and_b32_e32 v51, 0xffff0000, v40
	v_lshlrev_b32_e32 v52, 16, v40
	v_alignbit_b32 v40, v41, v40, 16
	v_and_b32_e32 v41, 0xffff0000, v41
	v_mul_f32_e32 v41, v46, v41
	v_bfe_u32 v46, v45, 16, 1
	v_add3_u32 v46, v45, v46, s45
	v_and_b32_e32 v46, 0xffff0000, v46
	v_mul_f32_e32 v43, v43, v51
	v_and_b32_e32 v40, 0xffff0000, v40
	v_cndmask_b32_e32 v45, v42, v46, vcc
	v_mul_f32_e32 v40, v45, v40
	v_bfe_u32 v45, v43, 16, 1
	v_mul_f32_e32 v44, v44, v52
	v_add3_u32 v45, v43, v45, s45
	v_cmp_o_f32_e32 vcc, v43, v43
	v_bfe_u32 v43, v40, 16, 1
	v_add3_u32 v43, v40, v43, s45
	v_cmp_o_f32_e64 s[2:3], v40, v40
	v_bfe_u32 v40, v44, 16, 1
	v_add3_u32 v40, v44, v40, s45
	v_and_b32_e32 v45, 0xffff0000, v45
	v_and_b32_e32 v40, 0xffff0000, v40
	v_cmp_o_f32_e64 s[8:9], v44, v44
	v_cndmask_b32_e64 v40, v42, |v40|, s[8:9]
	v_cndmask_b32_e64 v44, v42, |v45|, vcc
	v_max3_f32 v5, v5, v40, v44
	v_bfe_u32 v40, v41, 16, 1
	v_add3_u32 v40, v41, v40, s45
	v_and_b32_e32 v43, 0xffff0000, v43
	v_and_b32_e32 v40, 0xffff0000, v40
	v_cmp_o_f32_e32 vcc, v41, v41
	v_cndmask_b32_e64 v40, v42, |v40|, vcc
	v_cndmask_b32_e64 v41, v42, |v43|, s[2:3]
	v_max3_f32 v5, v5, v41, v40
	v_mov_b32_e32 v40, s31
	v_add_co_u32_e32 v14, vcc, s30, v14
	v_addc_co_u32_e32 v1, vcc, v1, v40, vcc
	v_add_co_u32_e32 v16, vcc, s30, v16
	v_addc_co_u32_e32 v15, vcc, v15, v40, vcc
	;; [unrolled: 2-line block ×12, first 2 shown]
	v_cmp_ge_i64_e32 vcc, v[38:39], v[10:11]
	s_orn2_b64 s[2:3], vcc, exec
	s_branch .LBB78_18
.LBB78_25:
	s_or_b64 exec, exec, s[16:17]
.LBB78_26:
	s_or_b64 exec, exec, s[28:29]
	s_lshr_b32 s11, s44, 6
	v_cvt_f32_u32_e32 v10, s11
	v_lshlrev_b32_e32 v1, 2, v0
	ds_write_b32 v1, v5
	s_sub_i32 s8, 0, s11
	v_rcp_iflag_f32_e32 v5, v10
	s_add_i32 s2, s24, s11
	s_add_i32 s2, s2, -1
	s_ashr_i32 s3, s2, 31
	v_mul_f32_e32 v5, 0x4f7ffffe, v5
	v_cvt_u32_f32_e32 v5, v5
	s_abs_i32 s2, s2
	s_waitcnt lgkmcnt(0)
	s_barrier
	v_readfirstlane_b32 s9, v5
	s_mul_i32 s8, s8, s9
	s_mul_hi_u32 s8, s9, s8
	s_add_i32 s9, s9, s8
	s_mul_hi_u32 s8, s2, s9
	s_mul_i32 s9, s8, s11
	s_sub_i32 s2, s2, s9
	s_add_i32 s9, s8, 1
	s_sub_i32 s16, s2, s11
	s_cmp_ge_u32 s2, s11
	s_cselect_b32 s8, s9, s8
	s_cselect_b32 s2, s16, s2
	s_add_i32 s9, s8, 1
	s_cmp_ge_u32 s2, s11
	s_cselect_b32 s2, s9, s8
	s_xor_b32 s2, s2, s3
	s_sub_i32 s2, s2, s3
	s_ashr_i32 s3, s2, 31
	v_cmp_lt_i64_e64 s[8:9], s[2:3], 1
	s_and_b64 vcc, exec, s[8:9]
	s_cbranch_vccnz .LBB78_48
; %bb.27:
	v_and_b32_e32 v12, 63, v0
	v_add_co_u32_e32 v14, vcc, 32, v12
	v_addc_co_u32_e64 v15, s[8:9], 0, 0, vcc
	v_add_co_u32_e32 v16, vcc, 16, v12
	v_addc_co_u32_e64 v17, s[8:9], 0, 0, vcc
	;; [unrolled: 2-line block ×4, first 2 shown]
	v_add_co_u32_e32 v22, vcc, 2, v12
	v_lshrrev_b32_e32 v10, 6, v0
	v_addc_co_u32_e64 v23, s[8:9], 0, 0, vcc
	v_add_co_u32_e32 v24, vcc, 1, v12
	v_addc_co_u32_e64 v25, s[8:9], 0, 0, vcc
	v_mul_lo_u32 v5, s26, v10
	v_lshlrev_b32_e32 v5, 2, v5
	v_lshlrev_b32_e32 v26, 2, v12
	s_movk_i32 s8, 0x100
	v_mov_b32_e32 v11, 0
	v_add3_u32 v5, v5, v26, s8
	s_mul_i32 s8, s26, s11
	s_ashr_i32 s25, s24, 31
	v_mov_b32_e32 v13, v11
	s_lshl_b32 s36, s8, 2
	s_mov_b64 s[8:9], 0
	v_mov_b32_e32 v36, s11
	s_mov_b64 s[16:17], src_shared_base
	s_branch .LBB78_30
.LBB78_28:                              ;   in Loop: Header=BB78_30 Depth=1
	s_or_b64 exec, exec, s[30:31]
	v_mov_b32_e32 v27, s17
	flat_load_dword v26, v[26:27] glc
	s_waitcnt vmcnt(0)
.LBB78_29:                              ;   in Loop: Header=BB78_30 Depth=1
	s_or_b64 exec, exec, s[28:29]
	s_add_u32 s8, s8, 1
	s_addc_u32 s9, s9, 0
	s_cmp_eq_u64 s[8:9], s[2:3]
	v_add_u32_e32 v5, s36, v5
	s_cbranch_scc1 .LBB78_48
.LBB78_30:                              ; =>This Loop Header: Depth=1
                                        ;     Child Loop BB78_33 Depth 2
	v_mad_u64_u32 v[30:31], s[28:29], s8, v36, v[10:11]
	s_mul_i32 s16, s9, s11
	v_add_u32_e32 v31, s16, v31
	v_cmp_gt_i64_e32 vcc, s[24:25], v[30:31]
	s_and_saveexec_b64 s[28:29], vcc
	s_cbranch_execz .LBB78_29
; %bb.31:                               ;   in Loop: Header=BB78_30 Depth=1
	v_pk_mov_b32 v[32:33], s[26:27], s[26:27] op_sel:[0,1]
	v_mul_lo_u32 v29, v31, s26
	v_mul_lo_u32 v38, v30, s27
	v_mad_u64_u32 v[32:33], s[30:31], v30, s26, v[32:33]
	v_add3_u32 v33, v29, v33, v38
	v_mov_b32_e32 v28, s23
	v_cmp_gt_i64_e32 vcc, s[22:23], v[32:33]
	s_waitcnt lgkmcnt(0)
	v_mad_u64_u32 v[26:27], s[30:31], v30, s26, v[12:13]
	v_cndmask_b32_e32 v33, v28, v33, vcc
	v_mov_b32_e32 v28, s22
	v_add3_u32 v27, v29, v27, v38
	v_cndmask_b32_e32 v32, v28, v32, vcc
	v_add_co_u32_e32 v34, vcc, 64, v26
	v_addc_co_u32_e32 v35, vcc, 0, v27, vcc
	v_cmp_lt_i64_e32 vcc, v[34:35], v[32:33]
	v_lshlrev_b32_e32 v28, 2, v26
	s_and_saveexec_b64 s[30:31], vcc
	s_cbranch_execz .LBB78_34
; %bb.32:                               ;   in Loop: Header=BB78_30 Depth=1
	ds_read_b32 v31, v28
	s_mov_b64 s[34:35], 0
	v_mov_b32_e32 v27, v5
.LBB78_33:                              ;   Parent Loop BB78_30 Depth=1
                                        ; =>  This Inner Loop Header: Depth=2
	ds_read_b32 v39, v27
	v_add_co_u32_e32 v34, vcc, 64, v34
	v_addc_co_u32_e32 v35, vcc, 0, v35, vcc
	s_waitcnt lgkmcnt(1)
	v_max_f32_e32 v31, v31, v31
	v_cmp_ge_i64_e32 vcc, v[34:35], v[32:33]
	s_waitcnt lgkmcnt(0)
	v_max_f32_e32 v39, v39, v39
	v_add_u32_e32 v27, 0x100, v27
	s_or_b64 s[34:35], vcc, s[34:35]
	v_max_f32_e32 v31, v31, v39
	ds_write_b32 v28, v31
	s_andn2_b64 exec, exec, s[34:35]
	s_cbranch_execnz .LBB78_33
.LBB78_34:                              ;   in Loop: Header=BB78_30 Depth=1
	s_or_b64 exec, exec, s[30:31]
	v_mad_u64_u32 v[30:31], s[30:31], v30, s26, 0
	v_add3_u32 v27, v31, v38, v29
	v_sub_co_u32_e32 v30, vcc, v32, v30
	v_subb_co_u32_e32 v31, vcc, v33, v27, vcc
	v_cmp_gt_i64_e32 vcc, 64, v[30:31]
	v_cndmask_b32_e32 v31, 0, v31, vcc
	v_cndmask_b32_e32 v30, 64, v30, vcc
	v_cmp_lt_i64_e32 vcc, v[14:15], v[30:31]
	s_and_saveexec_b64 s[30:31], vcc
	s_cbranch_execnz .LBB78_46
; %bb.35:                               ;   in Loop: Header=BB78_30 Depth=1
	s_or_b64 exec, exec, s[30:31]
	v_cmp_lt_i64_e32 vcc, v[16:17], v[30:31]
	s_and_saveexec_b64 s[30:31], vcc
	s_cbranch_execnz .LBB78_47
.LBB78_36:                              ;   in Loop: Header=BB78_30 Depth=1
	s_or_b64 exec, exec, s[30:31]
	v_cmp_lt_i64_e32 vcc, v[18:19], v[30:31]
	s_and_saveexec_b64 s[30:31], vcc
	s_cbranch_execz .LBB78_38
.LBB78_37:                              ;   in Loop: Header=BB78_30 Depth=1
	v_mov_b32_e32 v29, s17
	v_add_u32_e32 v32, 32, v28
	v_mov_b32_e32 v33, s17
	flat_load_dword v27, v[28:29] glc
	s_waitcnt vmcnt(0)
	flat_load_dword v34, v[32:33] glc
	s_waitcnt vmcnt(0) lgkmcnt(0)
	v_max_f32_e32 v27, v27, v27
	v_max_f32_e32 v32, v34, v34
	;; [unrolled: 1-line block ×3, first 2 shown]
	flat_store_dword v[28:29], v27
	s_waitcnt vmcnt(0)
.LBB78_38:                              ;   in Loop: Header=BB78_30 Depth=1
	s_or_b64 exec, exec, s[30:31]
	v_cmp_ge_i64_e32 vcc, v[20:21], v[30:31]
	s_and_saveexec_b64 s[30:31], vcc
	s_xor_b64 s[30:31], exec, s[30:31]
; %bb.39:                               ;   in Loop: Header=BB78_30 Depth=1
                                        ; implicit-def: $vgpr28
; %bb.40:                               ;   in Loop: Header=BB78_30 Depth=1
	s_andn2_saveexec_b64 s[30:31], s[30:31]
	s_cbranch_execz .LBB78_42
; %bb.41:                               ;   in Loop: Header=BB78_30 Depth=1
	v_mov_b32_e32 v29, s17
	v_add_u32_e32 v32, 16, v28
	v_mov_b32_e32 v33, s17
	flat_load_dword v27, v[28:29] glc
	s_waitcnt vmcnt(0)
	flat_load_dword v34, v[32:33] glc
	s_waitcnt vmcnt(0) lgkmcnt(0)
	v_max_f32_e32 v27, v27, v27
	v_max_f32_e32 v32, v34, v34
	;; [unrolled: 1-line block ×3, first 2 shown]
	flat_store_dword v[28:29], v27
	s_waitcnt vmcnt(0)
.LBB78_42:                              ;   in Loop: Header=BB78_30 Depth=1
	s_or_b64 exec, exec, s[30:31]
	v_cmp_lt_i64_e32 vcc, v[22:23], v[30:31]
	v_lshlrev_b32_e32 v26, 2, v26
	s_and_saveexec_b64 s[30:31], vcc
	s_cbranch_execz .LBB78_44
; %bb.43:                               ;   in Loop: Header=BB78_30 Depth=1
	v_mov_b32_e32 v27, s17
	v_add_u32_e32 v28, 8, v26
	v_mov_b32_e32 v29, s17
	flat_load_dword v32, v[26:27] glc
	s_waitcnt vmcnt(0)
	flat_load_dword v33, v[28:29] glc
	s_waitcnt vmcnt(0) lgkmcnt(0)
	v_max_f32_e32 v28, v32, v32
	v_max_f32_e32 v29, v33, v33
	;; [unrolled: 1-line block ×3, first 2 shown]
	flat_store_dword v[26:27], v28
	s_waitcnt vmcnt(0)
.LBB78_44:                              ;   in Loop: Header=BB78_30 Depth=1
	s_or_b64 exec, exec, s[30:31]
	v_cmp_lt_i64_e32 vcc, v[24:25], v[30:31]
	s_and_saveexec_b64 s[30:31], vcc
	s_cbranch_execz .LBB78_28
; %bb.45:                               ;   in Loop: Header=BB78_30 Depth=1
	v_mov_b32_e32 v27, s17
	v_add_u32_e32 v28, 4, v26
	v_mov_b32_e32 v29, s17
	flat_load_dword v30, v[26:27] glc
	s_waitcnt vmcnt(0)
	flat_load_dword v31, v[28:29] glc
	s_waitcnt vmcnt(0) lgkmcnt(0)
	v_max_f32_e32 v28, v30, v30
	v_max_f32_e32 v29, v31, v31
	;; [unrolled: 1-line block ×3, first 2 shown]
	flat_store_dword v[26:27], v28
	s_waitcnt vmcnt(0)
	s_branch .LBB78_28
.LBB78_46:                              ;   in Loop: Header=BB78_30 Depth=1
	v_mov_b32_e32 v29, s17
	v_add_u32_e32 v32, 0x80, v28
	v_mov_b32_e32 v33, s17
	flat_load_dword v27, v[28:29] glc
	s_waitcnt vmcnt(0)
	flat_load_dword v34, v[32:33] glc
	s_waitcnt vmcnt(0) lgkmcnt(0)
	v_max_f32_e32 v27, v27, v27
	v_max_f32_e32 v32, v34, v34
	;; [unrolled: 1-line block ×3, first 2 shown]
	flat_store_dword v[28:29], v27
	s_waitcnt vmcnt(0)
	s_or_b64 exec, exec, s[30:31]
	v_cmp_lt_i64_e32 vcc, v[16:17], v[30:31]
	s_and_saveexec_b64 s[30:31], vcc
	s_cbranch_execz .LBB78_36
.LBB78_47:                              ;   in Loop: Header=BB78_30 Depth=1
	v_mov_b32_e32 v29, s17
	v_add_u32_e32 v32, 64, v28
	v_mov_b32_e32 v33, s17
	flat_load_dword v27, v[28:29] glc
	s_waitcnt vmcnt(0)
	flat_load_dword v34, v[32:33] glc
	s_waitcnt vmcnt(0) lgkmcnt(0)
	v_max_f32_e32 v27, v27, v27
	v_max_f32_e32 v32, v34, v34
	;; [unrolled: 1-line block ×3, first 2 shown]
	flat_store_dword v[28:29], v27
	s_waitcnt vmcnt(0)
	s_or_b64 exec, exec, s[30:31]
	v_cmp_lt_i64_e32 vcc, v[18:19], v[30:31]
	s_and_saveexec_b64 s[30:31], vcc
	s_cbranch_execnz .LBB78_37
	s_branch .LBB78_38
.LBB78_48:
	s_load_dwordx2 s[8:9], s[4:5], 0x40
	v_cmp_eq_u32_e32 vcc, 0, v4
	v_cmp_lt_i64_e64 s[2:3], v[6:7], v[8:9]
	s_and_b64 s[2:3], vcc, s[2:3]
	s_waitcnt lgkmcnt(0)
	s_barrier
	s_and_saveexec_b64 s[16:17], s[2:3]
	s_cbranch_execz .LBB78_55
; %bb.49:
	s_load_dwordx2 s[2:3], s[4:5], 0x20
	ds_read_b32 v1, v1
	s_waitcnt lgkmcnt(0)
	s_cmp_eq_u64 s[2:3], 0
	s_cbranch_scc1 .LBB78_51
; %bb.50:
	s_load_dword s2, s[2:3], 0x0
	v_max_f32_e32 v1, v1, v1
	s_waitcnt lgkmcnt(0)
	v_max_f32_e64 v4, s2, s2
	v_min_f32_e32 v1, v1, v4
.LBB78_51:
	s_add_u32 s3, s8, s49
	s_addc_u32 s4, s9, 0
	s_add_u32 s22, s3, -1
	s_addc_u32 s23, s4, -1
	s_or_b64 s[4:5], s[22:23], s[8:9]
	s_mov_b32 s2, 0
	s_mov_b32 s3, s5
	s_cmp_lg_u64 s[2:3], 0
	s_mov_b64 s[24:25], -1
	s_cbranch_scc0 .LBB78_164
; %bb.52:
	s_ashr_i32 s2, s9, 31
	s_add_u32 s4, s8, s2
	s_mov_b32 s3, s2
	s_addc_u32 s5, s9, s2
	s_xor_b64 s[26:27], s[4:5], s[2:3]
	v_cvt_f32_u32_e32 v4, s26
	v_cvt_f32_u32_e32 v5, s27
	s_sub_u32 s2, 0, s26
	s_subb_u32 s3, 0, s27
	v_madmk_f32 v4, v5, 0x4f800000, v4
	v_rcp_f32_e32 v4, v4
	v_mul_f32_e32 v4, 0x5f7ffffc, v4
	v_mul_f32_e32 v5, 0x2f800000, v4
	v_trunc_f32_e32 v5, v5
	v_madmk_f32 v4, v5, 0xcf800000, v4
	v_cvt_u32_f32_e32 v5, v5
	v_cvt_u32_f32_e32 v4, v4
	v_readfirstlane_b32 s4, v5
	v_readfirstlane_b32 s5, v4
	s_mul_i32 s11, s2, s4
	s_mul_hi_u32 s29, s2, s5
	s_mul_i32 s28, s3, s5
	s_add_i32 s11, s29, s11
	s_add_i32 s11, s11, s28
	s_mul_i32 s30, s2, s5
	s_mul_hi_u32 s28, s5, s11
	s_mul_i32 s29, s5, s11
	s_mul_hi_u32 s5, s5, s30
	s_add_u32 s5, s5, s29
	s_addc_u32 s28, 0, s28
	s_mul_hi_u32 s31, s4, s30
	s_mul_i32 s30, s4, s30
	s_add_u32 s5, s5, s30
	s_mul_hi_u32 s29, s4, s11
	s_addc_u32 s5, s28, s31
	s_addc_u32 s28, s29, 0
	s_mul_i32 s11, s4, s11
	s_add_u32 s5, s5, s11
	s_addc_u32 s11, 0, s28
	v_add_co_u32_e32 v4, vcc, s5, v4
	s_cmp_lg_u64 vcc, 0
	s_addc_u32 s4, s4, s11
	v_readfirstlane_b32 s11, v4
	s_mul_i32 s5, s2, s4
	s_mul_hi_u32 s28, s2, s11
	s_add_i32 s5, s28, s5
	s_mul_i32 s3, s3, s11
	s_add_i32 s5, s5, s3
	s_mul_i32 s2, s2, s11
	s_mul_hi_u32 s28, s4, s2
	s_mul_i32 s29, s4, s2
	s_mul_i32 s31, s11, s5
	s_mul_hi_u32 s2, s11, s2
	s_mul_hi_u32 s30, s11, s5
	s_add_u32 s2, s2, s31
	s_addc_u32 s11, 0, s30
	s_add_u32 s2, s2, s29
	s_mul_hi_u32 s3, s4, s5
	s_addc_u32 s2, s11, s28
	s_addc_u32 s3, s3, 0
	s_mul_i32 s5, s4, s5
	s_add_u32 s2, s2, s5
	s_addc_u32 s3, 0, s3
	v_add_co_u32_e32 v4, vcc, s2, v4
	s_cmp_lg_u64 vcc, 0
	s_addc_u32 s4, s4, s3
	s_ashr_i32 s28, s23, 31
	s_add_u32 s2, s22, s28
	s_mov_b32 s29, s28
	s_addc_u32 s3, s23, s28
	s_xor_b64 s[30:31], s[2:3], s[28:29]
	v_readfirstlane_b32 s5, v4
	s_mul_i32 s3, s30, s4
	s_mul_hi_u32 s11, s30, s5
	s_mul_hi_u32 s2, s30, s4
	s_add_u32 s3, s11, s3
	s_addc_u32 s2, 0, s2
	s_mul_hi_u32 s29, s31, s5
	s_mul_i32 s5, s31, s5
	s_add_u32 s3, s3, s5
	s_mul_hi_u32 s11, s31, s4
	s_addc_u32 s2, s2, s29
	s_addc_u32 s3, s11, 0
	s_mul_i32 s4, s31, s4
	s_add_u32 s2, s2, s4
	s_addc_u32 s3, 0, s3
	s_mul_i32 s3, s26, s3
	s_mul_hi_u32 s4, s26, s2
	s_add_i32 s3, s4, s3
	s_mul_i32 s4, s27, s2
	s_mul_i32 s2, s26, s2
	s_add_i32 s11, s3, s4
	v_mov_b32_e32 v4, s2
	s_sub_i32 s3, s31, s11
	v_sub_co_u32_e32 v4, vcc, s30, v4
	s_cmp_lg_u64 vcc, 0
	s_subb_u32 s29, s3, s27
	v_subrev_co_u32_e64 v5, s[2:3], s26, v4
	s_cmp_lg_u64 s[2:3], 0
	s_subb_u32 s30, s29, 0
	s_cmp_ge_u32 s30, s27
	s_cselect_b32 s34, -1, 0
	v_cmp_le_u32_e64 s[4:5], s26, v5
	s_cmp_eq_u32 s30, s27
	v_cndmask_b32_e64 v6, 0, -1, s[4:5]
	v_mov_b32_e32 v7, s34
	s_cselect_b64 s[4:5], -1, 0
	s_cmp_lg_u64 s[2:3], 0
	v_cndmask_b32_e64 v6, v7, v6, s[4:5]
	s_subb_u32 s4, s29, s27
	v_subrev_co_u32_e64 v7, s[2:3], s26, v5
	s_cmp_lg_u64 s[2:3], 0
	s_subb_u32 s4, s4, 0
	v_cmp_ne_u32_e64 s[2:3], 0, v6
	v_cndmask_b32_e64 v5, v5, v7, s[2:3]
	v_mov_b32_e32 v6, s30
	v_mov_b32_e32 v7, s4
	s_cmp_lg_u64 vcc, 0
	v_cndmask_b32_e64 v6, v6, v7, s[2:3]
	s_subb_u32 s2, s31, s11
	s_cmp_ge_u32 s2, s27
	s_cselect_b32 s3, -1, 0
	v_cmp_le_u32_e32 vcc, s26, v4
	s_cmp_eq_u32 s2, s27
	v_cndmask_b32_e64 v7, 0, -1, vcc
	v_mov_b32_e32 v8, s3
	s_cselect_b64 vcc, -1, 0
	v_cndmask_b32_e32 v7, v8, v7, vcc
	v_cmp_ne_u32_e32 vcc, 0, v7
	v_mov_b32_e32 v8, s2
	v_cndmask_b32_e32 v4, v4, v5, vcc
	v_cndmask_b32_e32 v6, v8, v6, vcc
	v_xor_b32_e32 v4, s28, v4
	v_xor_b32_e32 v5, s28, v6
	v_mov_b32_e32 v6, s28
	v_subrev_co_u32_e32 v4, vcc, s28, v4
	v_subb_co_u32_e32 v5, vcc, v5, v6, vcc
	s_cbranch_execnz .LBB78_54
.LBB78_53:
	v_cvt_f32_u32_e32 v4, s8
	s_sub_i32 s2, 0, s8
	v_rcp_iflag_f32_e32 v4, v4
	v_mul_f32_e32 v4, 0x4f7ffffe, v4
	v_cvt_u32_f32_e32 v4, v4
	v_mul_lo_u32 v5, s2, v4
	v_mul_hi_u32 v5, v4, v5
	v_add_u32_e32 v4, v4, v5
	v_mul_hi_u32 v4, s22, v4
	v_mul_lo_u32 v4, v4, s8
	v_sub_u32_e32 v4, s22, v4
	v_subrev_u32_e32 v5, s8, v4
	v_cmp_le_u32_e32 vcc, s8, v4
	v_cndmask_b32_e32 v4, v4, v5, vcc
	v_subrev_u32_e32 v5, s8, v4
	v_cmp_le_u32_e32 vcc, s8, v4
	v_cndmask_b32_e32 v4, v4, v5, vcc
	v_mov_b32_e32 v5, 0
.LBB78_54:
	s_mov_b32 s4, 0x43e00000
	v_div_scale_f32 v6, s[2:3], s4, s4, v1
	v_rcp_f32_e32 v7, v6
	v_div_scale_f32 v8, vcc, v1, s4, v1
	v_fma_f32 v9, -v6, v7, 1.0
	v_fmac_f32_e32 v7, v9, v7
	v_mul_f32_e32 v9, v8, v7
	v_fma_f32 v10, -v6, v9, v8
	v_fmac_f32_e32 v9, v10, v7
	v_fma_f32 v6, -v6, v9, v8
	v_div_fmas_f32 v6, v6, v7, v9
	v_div_fixup_f32 v1, v6, s4, v1
	v_mov_b32_e32 v6, s23
	v_sub_co_u32_e32 v4, vcc, s22, v4
	v_subb_co_u32_e32 v5, vcc, v6, v5, vcc
	v_mul_lo_u32 v5, v5, v2
	v_mul_lo_u32 v6, v4, v3
	v_mad_u64_u32 v[2:3], s[2:3], v4, v2, 0
	s_lshl_b64 s[2:3], s[6:7], 2
	v_add3_u32 v3, v3, v6, v5
	s_add_u32 s2, s2, s14
	v_lshlrev_b64 v[2:3], 2, v[2:3]
	s_addc_u32 s3, s3, s15
	v_mov_b32_e32 v4, s3
	v_add_co_u32_e32 v2, vcc, s2, v2
	v_max_f32_e32 v1, 0x36924925, v1
	v_addc_co_u32_e32 v3, vcc, v4, v3, vcc
	global_store_dword v[2:3], v1, off
.LBB78_55:
	s_or_b64 exec, exec, s[16:17]
	s_barrier
	s_and_saveexec_b64 s[2:3], s[0:1]
	s_cbranch_execz .LBB78_163
; %bb.56:
	s_add_u32 s1, s8, s49
	s_addc_u32 s2, s9, 0
	s_add_u32 s4, s1, -1
	s_addc_u32 s5, s2, -1
	s_or_b64 s[2:3], s[4:5], s[8:9]
	s_mov_b32 s0, 0
	s_mov_b32 s1, s3
	s_cmp_lg_u64 s[0:1], 0
	s_mov_b64 s[16:17], -1
	s_cbranch_scc0 .LBB78_165
; %bb.57:
	s_ashr_i32 s0, s9, 31
	s_add_u32 s2, s8, s0
	s_mov_b32 s1, s0
	s_addc_u32 s3, s9, s0
	s_xor_b64 s[22:23], s[2:3], s[0:1]
	v_cvt_f32_u32_e32 v1, s22
	v_cvt_f32_u32_e32 v2, s23
	s_sub_u32 s0, 0, s22
	s_subb_u32 s1, 0, s23
	v_madmk_f32 v1, v2, 0x4f800000, v1
	v_rcp_f32_e32 v1, v1
	v_mul_f32_e32 v1, 0x5f7ffffc, v1
	v_mul_f32_e32 v2, 0x2f800000, v1
	v_trunc_f32_e32 v2, v2
	v_madmk_f32 v1, v2, 0xcf800000, v1
	v_cvt_u32_f32_e32 v2, v2
	v_cvt_u32_f32_e32 v1, v1
	v_readfirstlane_b32 s2, v2
	v_readfirstlane_b32 s3, v1
	s_mul_i32 s9, s0, s2
	s_mul_hi_u32 s24, s0, s3
	s_mul_i32 s11, s1, s3
	s_add_i32 s9, s24, s9
	s_add_i32 s9, s9, s11
	s_mul_i32 s25, s0, s3
	s_mul_hi_u32 s11, s3, s9
	s_mul_i32 s24, s3, s9
	s_mul_hi_u32 s3, s3, s25
	s_add_u32 s3, s3, s24
	s_addc_u32 s11, 0, s11
	s_mul_hi_u32 s26, s2, s25
	s_mul_i32 s25, s2, s25
	s_add_u32 s3, s3, s25
	s_mul_hi_u32 s24, s2, s9
	s_addc_u32 s3, s11, s26
	s_addc_u32 s11, s24, 0
	s_mul_i32 s9, s2, s9
	s_add_u32 s3, s3, s9
	s_addc_u32 s9, 0, s11
	v_add_co_u32_e32 v1, vcc, s3, v1
	s_cmp_lg_u64 vcc, 0
	s_addc_u32 s2, s2, s9
	v_readfirstlane_b32 s9, v1
	s_mul_i32 s3, s0, s2
	s_mul_hi_u32 s11, s0, s9
	s_add_i32 s3, s11, s3
	s_mul_i32 s1, s1, s9
	s_add_i32 s3, s3, s1
	s_mul_i32 s0, s0, s9
	s_mul_hi_u32 s11, s2, s0
	s_mul_i32 s24, s2, s0
	s_mul_i32 s26, s9, s3
	s_mul_hi_u32 s0, s9, s0
	s_mul_hi_u32 s25, s9, s3
	s_add_u32 s0, s0, s26
	s_addc_u32 s9, 0, s25
	s_add_u32 s0, s0, s24
	s_mul_hi_u32 s1, s2, s3
	s_addc_u32 s0, s9, s11
	s_addc_u32 s1, s1, 0
	s_mul_i32 s3, s2, s3
	s_add_u32 s0, s0, s3
	s_addc_u32 s1, 0, s1
	v_add_co_u32_e32 v1, vcc, s0, v1
	s_cmp_lg_u64 vcc, 0
	s_addc_u32 s2, s2, s1
	s_ashr_i32 s24, s5, 31
	s_add_u32 s0, s4, s24
	s_mov_b32 s25, s24
	s_addc_u32 s1, s5, s24
	s_xor_b64 s[26:27], s[0:1], s[24:25]
	v_readfirstlane_b32 s3, v1
	s_mul_i32 s1, s26, s2
	s_mul_hi_u32 s9, s26, s3
	s_mul_hi_u32 s0, s26, s2
	s_add_u32 s1, s9, s1
	s_addc_u32 s0, 0, s0
	s_mul_hi_u32 s11, s27, s3
	s_mul_i32 s3, s27, s3
	s_add_u32 s1, s1, s3
	s_mul_hi_u32 s9, s27, s2
	s_addc_u32 s0, s0, s11
	s_addc_u32 s1, s9, 0
	s_mul_i32 s2, s27, s2
	s_add_u32 s0, s0, s2
	s_addc_u32 s1, 0, s1
	s_mul_i32 s1, s22, s1
	s_mul_hi_u32 s2, s22, s0
	s_add_i32 s1, s2, s1
	s_mul_i32 s2, s23, s0
	s_mul_i32 s0, s22, s0
	s_add_i32 s9, s1, s2
	v_mov_b32_e32 v1, s0
	s_sub_i32 s1, s27, s9
	v_sub_co_u32_e32 v1, vcc, s26, v1
	s_cmp_lg_u64 vcc, 0
	s_subb_u32 s11, s1, s23
	v_subrev_co_u32_e64 v2, s[0:1], s22, v1
	s_cmp_lg_u64 s[0:1], 0
	s_subb_u32 s25, s11, 0
	s_cmp_ge_u32 s25, s23
	s_cselect_b32 s26, -1, 0
	v_cmp_le_u32_e64 s[2:3], s22, v2
	s_cmp_eq_u32 s25, s23
	v_cndmask_b32_e64 v3, 0, -1, s[2:3]
	v_mov_b32_e32 v4, s26
	s_cselect_b64 s[2:3], -1, 0
	s_cmp_lg_u64 s[0:1], 0
	v_cndmask_b32_e64 v3, v4, v3, s[2:3]
	s_subb_u32 s2, s11, s23
	v_subrev_co_u32_e64 v4, s[0:1], s22, v2
	s_cmp_lg_u64 s[0:1], 0
	s_subb_u32 s2, s2, 0
	v_cmp_ne_u32_e64 s[0:1], 0, v3
	v_cndmask_b32_e64 v2, v2, v4, s[0:1]
	v_mov_b32_e32 v3, s25
	v_mov_b32_e32 v4, s2
	s_cmp_lg_u64 vcc, 0
	v_cndmask_b32_e64 v3, v3, v4, s[0:1]
	s_subb_u32 s0, s27, s9
	s_cmp_ge_u32 s0, s23
	s_cselect_b32 s1, -1, 0
	v_cmp_le_u32_e32 vcc, s22, v1
	s_cmp_eq_u32 s0, s23
	v_cndmask_b32_e64 v4, 0, -1, vcc
	v_mov_b32_e32 v5, s1
	s_cselect_b64 vcc, -1, 0
	v_cndmask_b32_e32 v4, v5, v4, vcc
	v_cmp_ne_u32_e32 vcc, 0, v4
	v_mov_b32_e32 v5, s0
	v_cndmask_b32_e32 v1, v1, v2, vcc
	v_cndmask_b32_e32 v3, v5, v3, vcc
	v_xor_b32_e32 v1, s24, v1
	v_xor_b32_e32 v3, s24, v3
	v_mov_b32_e32 v4, s24
	v_subrev_co_u32_e32 v2, vcc, s24, v1
	v_subb_co_u32_e32 v3, vcc, v3, v4, vcc
	s_cbranch_execnz .LBB78_59
.LBB78_58:
	v_cvt_f32_u32_e32 v1, s8
	s_sub_i32 s0, 0, s8
	v_mov_b32_e32 v3, 0
	v_rcp_iflag_f32_e32 v1, v1
	v_mul_f32_e32 v1, 0x4f7ffffe, v1
	v_cvt_u32_f32_e32 v1, v1
	v_mul_lo_u32 v2, s0, v1
	v_mul_hi_u32 v2, v1, v2
	v_add_u32_e32 v1, v1, v2
	v_mul_hi_u32 v1, s4, v1
	v_mul_lo_u32 v1, v1, s8
	v_sub_u32_e32 v1, s4, v1
	v_subrev_u32_e32 v2, s8, v1
	v_cmp_le_u32_e32 vcc, s8, v1
	v_cndmask_b32_e32 v1, v1, v2, vcc
	v_subrev_u32_e32 v2, s8, v1
	v_cmp_le_u32_e32 vcc, s8, v1
	v_cndmask_b32_e32 v2, v1, v2, vcc
.LBB78_59:
	s_add_u32 s11, s12, s20
	s_addc_u32 s16, s13, s21
	s_lshl_b64 s[0:1], s[6:7], 2
	s_add_u32 s14, s14, s0
	s_addc_u32 s15, s15, s1
	v_mov_b32_e32 v1, s5
	v_sub_co_u32_e32 v10, vcc, s4, v2
	v_subb_co_u32_e32 v11, vcc, v1, v3, vcc
	s_mul_i32 s17, s44, 3
	s_lshl_b32 s20, s44, 1
	s_mov_b64 s[0:1], 0
	v_mov_b32_e32 v12, s46
	v_mov_b32_e32 v13, s19
	;; [unrolled: 1-line block ×3, first 2 shown]
	s_movk_i32 s21, 0x7fff
	v_mov_b32_e32 v15, 0x7fc00000
	v_mov_b32_e32 v16, 0x7fc0
	v_mov_b32_e32 v17, s15
	s_mov_b32 s22, 0x43f00000
	s_mov_b32 s23, 0x3c7fffff
	s_mov_b32 s24, 0x407ffff
	s_mov_b32 s25, 0x46800000
	s_movk_i32 s26, 0x80
	s_movk_i32 s27, 0xff
	v_mov_b32_e32 v1, 0
	s_branch .LBB78_65
.LBB78_60:                              ;   in Loop: Header=BB78_65 Depth=1
	s_or_b64 exec, exec, s[12:13]
.LBB78_61:                              ;   in Loop: Header=BB78_65 Depth=1
	s_or_b64 exec, exec, s[8:9]
	v_and_b32_sdwa v20, v20, s26 dst_sel:DWORD dst_unused:UNUSED_PAD src0_sel:BYTE_3 src1_sel:DWORD
	v_lshlrev_b64 v[8:9], 2, v[0:1]
	v_mov_b32_e32 v0, s16
	v_add_co_u32_e32 v8, vcc, s11, v8
	v_and_or_b32 v4, v4, s27, v20
	v_and_b32_sdwa v18, v18, s26 dst_sel:DWORD dst_unused:UNUSED_PAD src0_sel:BYTE_3 src1_sel:DWORD
	v_addc_co_u32_e32 v9, vcc, v0, v9, vcc
	v_lshlrev_b32_e32 v0, 24, v19
	v_and_b32_e32 v5, 0x80000000, v5
	v_lshlrev_b32_e32 v4, 16, v4
	v_lshrrev_b32_e32 v7, 24, v7
	v_or3_b32 v0, v5, v0, v4
	v_and_or_b32 v3, v3, s27, v18
	v_and_b32_e32 v4, 0xff, v6
	v_lshlrev_b32_e32 v3, 8, v3
	v_and_or_b32 v4, v7, s26, v4
	s_add_i32 s8, s44, s44
	v_or3_b32 v0, v0, v3, v4
	s_add_i32 s8, s8, s44
	global_store_dword v[8:9], v0, off
	v_add_u32_e32 v0, s8, v2
	v_cmp_le_u32_e32 vcc, s10, v0
	s_orn2_b64 s[8:9], vcc, exec
.LBB78_62:                              ;   in Loop: Header=BB78_65 Depth=1
	s_or_b64 exec, exec, s[6:7]
	s_orn2_b64 s[6:7], s[8:9], exec
.LBB78_63:                              ;   in Loop: Header=BB78_65 Depth=1
	s_or_b64 exec, exec, s[4:5]
	s_orn2_b64 s[4:5], s[6:7], exec
.LBB78_64:                              ;   in Loop: Header=BB78_65 Depth=1
	s_or_b64 exec, exec, s[2:3]
	s_and_b64 s[2:3], exec, s[4:5]
	s_or_b64 s[0:1], s[2:3], s[0:1]
	s_andn2_b64 exec, exec, s[0:1]
	s_cbranch_execz .LBB78_163
.LBB78_65:                              ; =>This Inner Loop Header: Depth=1
	v_lshlrev_b64 v[2:3], 3, v[0:1]
	v_add_co_u32_e32 v4, vcc, s33, v2
	v_addc_co_u32_e32 v5, vcc, v12, v3, vcc
	global_load_dwordx2 v[8:9], v[4:5], off
	v_add_co_u32_e32 v4, vcc, s47, v2
	v_addc_co_u32_e32 v5, vcc, v14, v3, vcc
	global_load_dwordx2 v[18:19], v[4:5], off
	v_add_co_u32_e32 v2, vcc, s18, v2
	v_bfe_u32 v21, v0, 4, 26
	v_addc_co_u32_e32 v3, vcc, v13, v3, vcc
	v_mad_u64_u32 v[6:7], s[2:3], v10, v21, 0
	global_load_dwordx2 v[2:3], v[2:3], off
	v_mov_b32_e32 v20, v7
	v_mad_u64_u32 v[20:21], s[2:3], v11, v21, v[20:21]
	v_mov_b32_e32 v7, v20
	v_lshlrev_b64 v[6:7], 2, v[6:7]
	v_add_co_u32_e32 v6, vcc, s14, v6
	v_addc_co_u32_e32 v7, vcc, v17, v7, vcc
	global_load_dword v7, v[6:7], off
	v_mov_b32_e32 v6, 0x7f
	s_waitcnt vmcnt(3)
	v_and_b32_e32 v20, 0xffff0000, v8
	v_lshlrev_b32_e32 v21, 16, v8
	v_alignbit_b32 v8, v9, v8, 16
	v_and_b32_e32 v22, 0xffff0000, v9
	v_and_b32_e32 v25, 0xffff0000, v8
	s_waitcnt vmcnt(2)
	v_and_b32_e32 v9, 0xffff0000, v18
	v_lshlrev_b32_e32 v23, 16, v18
	v_alignbit_b32 v18, v19, v18, 16
	v_and_b32_e32 v19, 0xffff0000, v19
	v_add_f32_e32 v8, v22, v19
	v_add_f32_e32 v9, v20, v9
	v_bfe_u32 v22, v8, 16, 1
	v_add_f32_e32 v21, v21, v23
	v_and_b32_e32 v18, 0xffff0000, v18
	v_bfe_u32 v20, v9, 16, 1
	v_add3_u32 v22, v8, v22, s21
	v_add_f32_e32 v18, v25, v18
	v_bfe_u32 v19, v21, 16, 1
	v_add3_u32 v20, v9, v20, s21
	v_and_b32_e32 v22, 0xffff0000, v22
	v_cmp_o_f32_e32 vcc, v8, v8
	v_mul_f32_e32 v23, v37, v21
	v_add3_u32 v19, v21, v19, s21
	v_bfe_u32 v25, v18, 16, 1
	v_and_b32_e32 v20, 0xffff0000, v20
	v_cndmask_b32_e32 v22, v15, v22, vcc
	v_cmp_o_f32_e32 vcc, v9, v9
	v_bfe_u32 v26, v23, 16, 1
	v_lshrrev_b32_e32 v19, 16, v19
	v_add3_u32 v25, v18, v25, s21
	v_cndmask_b32_e32 v20, v15, v20, vcc
	v_cmp_o_f32_e32 vcc, v21, v21
	v_add3_u32 v26, v23, v26, s21
	v_lshrrev_b32_e32 v25, 16, v25
	v_cndmask_b32_e32 v19, v16, v19, vcc
	v_cmp_o_f32_e32 vcc, v18, v18
	v_and_b32_e32 v21, 0xffff0000, v26
	v_cndmask_b32_e32 v25, v16, v25, vcc
	v_cmp_o_f32_e32 vcc, v23, v23
	s_waitcnt vmcnt(1)
	v_lshlrev_b32_e32 v24, 16, v2
	v_or_b32_e32 v19, v19, v20
	v_cndmask_b32_e32 v23, v15, v21, vcc
	v_or3_b32 v20, v19, 0, 0
	v_mul_f32_e32 v19, v23, v24
	v_or3_b32 v21, 0, v25, v22
	v_bfe_u32 v22, v19, 16, 1
	v_add3_u32 v22, v19, v22, s21
	v_and_b32_e32 v22, 0xffff0000, v22
	v_cmp_o_f32_e32 vcc, v19, v19
	v_cndmask_b32_e32 v19, v15, v22, vcc
	s_waitcnt vmcnt(0)
	v_div_scale_f32 v22, s[2:3], v7, v7, v19
	v_rcp_f32_e32 v23, v22
	global_store_dwordx2 v[4:5], v[20:21], off
	v_div_scale_f32 v4, vcc, v19, v7, v19
	v_fma_f32 v5, -v22, v23, 1.0
	v_fmac_f32_e32 v23, v5, v23
	v_mul_f32_e32 v5, v4, v23
	v_fma_f32 v20, -v22, v5, v4
	v_fmac_f32_e32 v5, v20, v23
	v_fma_f32 v4, -v22, v5, v4
	v_div_fmas_f32 v4, v4, v23, v5
	v_div_fixup_f32 v4, v4, v7, v19
	v_min_f32_e32 v4, 0x43e00000, v4
	v_max_f32_e32 v5, 0xc3e00000, v4
	v_and_b32_e32 v19, 0x7fffffff, v5
	v_cmp_gt_u32_e32 vcc, s22, v19
	v_mov_b32_e32 v4, 0x7f
	s_and_saveexec_b64 s[2:3], vcc
	s_cbranch_execz .LBB78_71
; %bb.66:                               ;   in Loop: Header=BB78_65 Depth=1
	v_cmp_lt_u32_e32 vcc, s23, v19
                                        ; implicit-def: $vgpr4
	s_and_saveexec_b64 s[4:5], vcc
	s_xor_b64 s[4:5], exec, s[4:5]
; %bb.67:                               ;   in Loop: Header=BB78_65 Depth=1
	v_bfe_u32 v4, v5, 20, 1
	v_add3_u32 v4, v5, v4, s24
	v_lshrrev_b32_e32 v4, 20, v4
; %bb.68:                               ;   in Loop: Header=BB78_65 Depth=1
	s_andn2_saveexec_b64 s[4:5], s[4:5]
; %bb.69:                               ;   in Loop: Header=BB78_65 Depth=1
	v_add_f32_e64 v4, |v5|, s25
; %bb.70:                               ;   in Loop: Header=BB78_65 Depth=1
	s_or_b64 exec, exec, s[4:5]
.LBB78_71:                              ;   in Loop: Header=BB78_65 Depth=1
	s_or_b64 exec, exec, s[2:3]
	v_mul_f32_e32 v9, v37, v9
	v_bfe_u32 v20, v9, 16, 1
	v_add3_u32 v20, v9, v20, s21
	v_and_b32_e32 v20, 0xffff0000, v20
	v_cmp_o_f32_e32 vcc, v9, v9
	v_and_b32_e32 v19, 0xffff0000, v2
	v_cndmask_b32_e32 v9, v15, v20, vcc
	v_mul_f32_e32 v9, v9, v19
	v_bfe_u32 v19, v9, 16, 1
	v_add3_u32 v19, v9, v19, s21
	v_and_b32_e32 v19, 0xffff0000, v19
	v_cmp_o_f32_e32 vcc, v9, v9
	v_cndmask_b32_e32 v9, v15, v19, vcc
	v_div_scale_f32 v19, s[2:3], v7, v7, v9
	v_rcp_f32_e32 v20, v19
	v_fma_f32 v21, -v19, v20, 1.0
	v_fmac_f32_e32 v20, v21, v20
	v_div_scale_f32 v21, vcc, v9, v7, v9
	v_mul_f32_e32 v22, v21, v20
	v_fma_f32 v23, -v19, v22, v21
	v_fmac_f32_e32 v22, v23, v20
	v_fma_f32 v19, -v19, v22, v21
	v_div_fmas_f32 v19, v19, v20, v22
	v_div_fixup_f32 v9, v19, v7, v9
	v_min_f32_e32 v9, 0x43e00000, v9
	v_max_f32_e32 v9, 0xc3e00000, v9
	v_and_b32_e32 v19, 0x7fffffff, v9
	v_cmp_gt_u32_e32 vcc, s22, v19
	s_and_saveexec_b64 s[2:3], vcc
	s_cbranch_execz .LBB78_77
; %bb.72:                               ;   in Loop: Header=BB78_65 Depth=1
	v_cmp_lt_u32_e32 vcc, s23, v19
                                        ; implicit-def: $vgpr6
	s_and_saveexec_b64 s[4:5], vcc
	s_xor_b64 s[4:5], exec, s[4:5]
; %bb.73:                               ;   in Loop: Header=BB78_65 Depth=1
	v_bfe_u32 v6, v9, 20, 1
	v_add3_u32 v6, v9, v6, s24
	v_lshrrev_b32_e32 v6, 20, v6
; %bb.74:                               ;   in Loop: Header=BB78_65 Depth=1
	s_andn2_saveexec_b64 s[4:5], s[4:5]
; %bb.75:                               ;   in Loop: Header=BB78_65 Depth=1
	v_add_f32_e64 v6, |v9|, s25
; %bb.76:                               ;   in Loop: Header=BB78_65 Depth=1
	s_or_b64 exec, exec, s[4:5]
.LBB78_77:                              ;   in Loop: Header=BB78_65 Depth=1
	s_or_b64 exec, exec, s[2:3]
	v_mul_f32_e32 v18, v37, v18
	v_bfe_u32 v19, v18, 16, 1
	v_add3_u32 v19, v18, v19, s21
	v_and_b32_e32 v19, 0xffff0000, v19
	v_cmp_o_f32_e32 vcc, v18, v18
	v_alignbit_b32 v2, v3, v2, 16
	v_cndmask_b32_e32 v18, v15, v19, vcc
	v_and_b32_e32 v2, 0xffff0000, v2
	v_mul_f32_e32 v2, v18, v2
	v_bfe_u32 v18, v2, 16, 1
	v_add3_u32 v18, v2, v18, s21
	v_and_b32_e32 v18, 0xffff0000, v18
	v_cmp_o_f32_e32 vcc, v2, v2
	v_cndmask_b32_e32 v2, v15, v18, vcc
	v_div_scale_f32 v18, s[2:3], v7, v7, v2
	v_rcp_f32_e32 v19, v18
	v_fma_f32 v20, -v18, v19, 1.0
	v_fmac_f32_e32 v19, v20, v19
	v_div_scale_f32 v20, vcc, v2, v7, v2
	v_mul_f32_e32 v21, v20, v19
	v_fma_f32 v22, -v18, v21, v20
	v_fmac_f32_e32 v21, v22, v19
	v_fma_f32 v18, -v18, v21, v20
	v_div_fmas_f32 v18, v18, v19, v21
	v_div_fixup_f32 v2, v18, v7, v2
	v_min_f32_e32 v2, 0x43e00000, v2
	v_max_f32_e32 v19, 0xc3e00000, v2
	v_and_b32_e32 v20, 0x7fffffff, v19
	v_cmp_gt_u32_e32 vcc, s22, v20
	v_mov_b32_e32 v18, 0x7f
	v_mov_b32_e32 v2, 0x7f
	s_and_saveexec_b64 s[2:3], vcc
	s_cbranch_execz .LBB78_83
; %bb.78:                               ;   in Loop: Header=BB78_65 Depth=1
	v_cmp_lt_u32_e32 vcc, s23, v20
                                        ; implicit-def: $vgpr2
	s_and_saveexec_b64 s[4:5], vcc
	s_xor_b64 s[4:5], exec, s[4:5]
; %bb.79:                               ;   in Loop: Header=BB78_65 Depth=1
	v_bfe_u32 v2, v19, 20, 1
	v_add3_u32 v2, v19, v2, s24
	v_lshrrev_b32_e32 v2, 20, v2
; %bb.80:                               ;   in Loop: Header=BB78_65 Depth=1
	s_andn2_saveexec_b64 s[4:5], s[4:5]
; %bb.81:                               ;   in Loop: Header=BB78_65 Depth=1
	v_add_f32_e64 v2, |v19|, s25
; %bb.82:                               ;   in Loop: Header=BB78_65 Depth=1
	s_or_b64 exec, exec, s[4:5]
.LBB78_83:                              ;   in Loop: Header=BB78_65 Depth=1
	s_or_b64 exec, exec, s[2:3]
	v_mul_f32_e32 v8, v37, v8
	v_bfe_u32 v20, v8, 16, 1
	v_add3_u32 v20, v8, v20, s21
	v_and_b32_e32 v20, 0xffff0000, v20
	v_cmp_o_f32_e32 vcc, v8, v8
	v_cndmask_b32_e32 v8, v15, v20, vcc
	v_and_b32_e32 v3, 0xffff0000, v3
	v_mul_f32_e32 v3, v8, v3
	v_bfe_u32 v8, v3, 16, 1
	v_add3_u32 v8, v3, v8, s21
	v_and_b32_e32 v8, 0xffff0000, v8
	v_cmp_o_f32_e32 vcc, v3, v3
	v_cndmask_b32_e32 v3, v15, v8, vcc
	v_div_scale_f32 v8, s[2:3], v7, v7, v3
	v_rcp_f32_e32 v20, v8
	v_fma_f32 v21, -v8, v20, 1.0
	v_fmac_f32_e32 v20, v21, v20
	v_div_scale_f32 v21, vcc, v3, v7, v3
	v_mul_f32_e32 v22, v21, v20
	v_fma_f32 v23, -v8, v22, v21
	v_fmac_f32_e32 v22, v23, v20
	v_fma_f32 v8, -v8, v22, v21
	v_div_fmas_f32 v8, v8, v20, v22
	v_div_fixup_f32 v3, v8, v7, v3
	v_min_f32_e32 v3, 0x43e00000, v3
	v_max_f32_e32 v3, 0xc3e00000, v3
	v_and_b32_e32 v7, 0x7fffffff, v3
	v_cmp_gt_u32_e32 vcc, s22, v7
	s_and_saveexec_b64 s[2:3], vcc
	s_cbranch_execz .LBB78_89
; %bb.84:                               ;   in Loop: Header=BB78_65 Depth=1
	v_cmp_lt_u32_e32 vcc, s23, v7
                                        ; implicit-def: $vgpr18
	s_and_saveexec_b64 s[4:5], vcc
	s_xor_b64 s[4:5], exec, s[4:5]
; %bb.85:                               ;   in Loop: Header=BB78_65 Depth=1
	v_bfe_u32 v7, v3, 20, 1
	v_add3_u32 v7, v3, v7, s24
	v_lshrrev_b32_e32 v18, 20, v7
; %bb.86:                               ;   in Loop: Header=BB78_65 Depth=1
	s_andn2_saveexec_b64 s[4:5], s[4:5]
; %bb.87:                               ;   in Loop: Header=BB78_65 Depth=1
	v_add_f32_e64 v18, |v3|, s25
; %bb.88:                               ;   in Loop: Header=BB78_65 Depth=1
	s_or_b64 exec, exec, s[4:5]
.LBB78_89:                              ;   in Loop: Header=BB78_65 Depth=1
	s_or_b64 exec, exec, s[2:3]
	v_and_b32_sdwa v7, v19, s26 dst_sel:DWORD dst_unused:UNUSED_PAD src0_sel:BYTE_3 src1_sel:DWORD
	v_and_or_b32 v2, v2, s27, v7
	v_and_b32_sdwa v19, v9, s26 dst_sel:DWORD dst_unused:UNUSED_PAD src0_sel:BYTE_3 src1_sel:DWORD
	v_lshlrev_b32_e32 v18, 24, v18
	v_and_b32_e32 v3, 0x80000000, v3
	v_lshlrev_b32_e32 v2, 16, v2
	v_lshrrev_b32_e32 v5, 24, v5
	v_lshlrev_b64 v[8:9], 2, v[0:1]
	v_or3_b32 v2, v3, v18, v2
	v_and_or_b32 v3, v6, s27, v19
	v_and_b32_e32 v4, 0xff, v4
	v_mov_b32_e32 v20, s16
	v_add_co_u32_e32 v8, vcc, s11, v8
	v_lshlrev_b32_e32 v3, 8, v3
	v_and_or_b32 v4, v5, s26, v4
	v_addc_co_u32_e32 v9, vcc, v20, v9, vcc
	v_or3_b32 v2, v2, v3, v4
	global_store_dword v[8:9], v2, off
	v_add_u32_e32 v2, s44, v0
	v_cmp_gt_u32_e32 vcc, s10, v2
	s_mov_b64 s[4:5], -1
	s_and_saveexec_b64 s[2:3], vcc
	s_cbranch_execz .LBB78_64
; %bb.90:                               ;   in Loop: Header=BB78_65 Depth=1
	v_mov_b32_e32 v3, v1
	v_lshlrev_b64 v[4:5], 3, v[2:3]
	v_mov_b32_e32 v7, s46
	v_add_co_u32_e32 v6, vcc, s33, v4
	v_addc_co_u32_e32 v7, vcc, v7, v5, vcc
	global_load_dwordx2 v[18:19], v[6:7], off
	v_mov_b32_e32 v7, s48
	v_add_co_u32_e32 v6, vcc, s47, v4
	v_addc_co_u32_e32 v7, vcc, v7, v5, vcc
	global_load_dwordx2 v[20:21], v[6:7], off
	v_mov_b32_e32 v8, s19
	v_add_co_u32_e32 v4, vcc, s18, v4
	v_bfe_u32 v23, v2, 4, 26
	v_addc_co_u32_e32 v5, vcc, v8, v5, vcc
	v_mad_u64_u32 v[8:9], s[4:5], v10, v23, 0
	global_load_dwordx2 v[4:5], v[4:5], off
	v_mov_b32_e32 v22, v9
	v_mad_u64_u32 v[22:23], s[4:5], v11, v23, v[22:23]
	v_mov_b32_e32 v9, v22
	v_lshlrev_b64 v[8:9], 2, v[8:9]
	v_mov_b32_e32 v24, s15
	v_add_co_u32_e32 v8, vcc, s14, v8
	v_addc_co_u32_e32 v9, vcc, v24, v9, vcc
	global_load_dword v9, v[8:9], off
	v_mov_b32_e32 v8, 0x7f
	s_waitcnt vmcnt(3)
	v_and_b32_e32 v22, 0xffff0000, v18
	v_lshlrev_b32_e32 v23, 16, v18
	v_alignbit_b32 v18, v19, v18, 16
	v_and_b32_e32 v24, 0xffff0000, v19
	v_and_b32_e32 v27, 0xffff0000, v18
	s_waitcnt vmcnt(2)
	v_and_b32_e32 v19, 0xffff0000, v20
	v_lshlrev_b32_e32 v25, 16, v20
	v_alignbit_b32 v20, v21, v20, 16
	v_and_b32_e32 v21, 0xffff0000, v21
	v_add_f32_e32 v18, v24, v21
	v_add_f32_e32 v19, v22, v19
	v_bfe_u32 v24, v18, 16, 1
	v_add_f32_e32 v23, v23, v25
	v_and_b32_e32 v20, 0xffff0000, v20
	v_bfe_u32 v22, v19, 16, 1
	v_add3_u32 v24, v18, v24, s21
	v_add_f32_e32 v20, v27, v20
	v_bfe_u32 v21, v23, 16, 1
	v_add3_u32 v22, v19, v22, s21
	v_and_b32_e32 v24, 0xffff0000, v24
	v_cmp_o_f32_e32 vcc, v18, v18
	v_mul_f32_e32 v25, v37, v23
	v_add3_u32 v21, v23, v21, s21
	v_bfe_u32 v27, v20, 16, 1
	v_and_b32_e32 v22, 0xffff0000, v22
	v_cndmask_b32_e32 v24, v15, v24, vcc
	v_cmp_o_f32_e32 vcc, v19, v19
	v_bfe_u32 v28, v25, 16, 1
	v_lshrrev_b32_e32 v21, 16, v21
	v_add3_u32 v27, v20, v27, s21
	v_cndmask_b32_e32 v22, v15, v22, vcc
	v_cmp_o_f32_e32 vcc, v23, v23
	v_add3_u32 v28, v25, v28, s21
	v_lshrrev_b32_e32 v27, 16, v27
	v_cndmask_b32_e32 v21, v16, v21, vcc
	v_cmp_o_f32_e32 vcc, v20, v20
	v_and_b32_e32 v23, 0xffff0000, v28
	v_cndmask_b32_e32 v27, v16, v27, vcc
	v_cmp_o_f32_e32 vcc, v25, v25
	s_waitcnt vmcnt(1)
	v_lshlrev_b32_e32 v26, 16, v4
	v_or_b32_e32 v21, v21, v22
	v_cndmask_b32_e32 v25, v15, v23, vcc
	v_or3_b32 v22, v21, 0, 0
	v_mul_f32_e32 v21, v25, v26
	v_or3_b32 v23, 0, v27, v24
	v_bfe_u32 v24, v21, 16, 1
	v_add3_u32 v24, v21, v24, s21
	v_and_b32_e32 v24, 0xffff0000, v24
	v_cmp_o_f32_e32 vcc, v21, v21
	v_cndmask_b32_e32 v21, v15, v24, vcc
	s_waitcnt vmcnt(0)
	v_div_scale_f32 v24, s[4:5], v9, v9, v21
	v_rcp_f32_e32 v25, v24
	global_store_dwordx2 v[6:7], v[22:23], off
	v_div_scale_f32 v6, vcc, v21, v9, v21
	v_fma_f32 v7, -v24, v25, 1.0
	v_fmac_f32_e32 v25, v7, v25
	v_mul_f32_e32 v7, v6, v25
	v_fma_f32 v22, -v24, v7, v6
	v_fmac_f32_e32 v7, v22, v25
	v_fma_f32 v6, -v24, v7, v6
	v_div_fmas_f32 v6, v6, v25, v7
	v_div_fixup_f32 v6, v6, v9, v21
	v_min_f32_e32 v6, 0x43e00000, v6
	v_max_f32_e32 v7, 0xc3e00000, v6
	v_and_b32_e32 v21, 0x7fffffff, v7
	v_cmp_gt_u32_e32 vcc, s22, v21
	v_mov_b32_e32 v6, 0x7f
	s_and_saveexec_b64 s[4:5], vcc
	s_cbranch_execz .LBB78_96
; %bb.91:                               ;   in Loop: Header=BB78_65 Depth=1
	v_cmp_lt_u32_e32 vcc, s23, v21
                                        ; implicit-def: $vgpr6
	s_and_saveexec_b64 s[6:7], vcc
	s_xor_b64 s[6:7], exec, s[6:7]
; %bb.92:                               ;   in Loop: Header=BB78_65 Depth=1
	v_bfe_u32 v6, v7, 20, 1
	v_add3_u32 v6, v7, v6, s24
	v_lshrrev_b32_e32 v6, 20, v6
; %bb.93:                               ;   in Loop: Header=BB78_65 Depth=1
	s_andn2_saveexec_b64 s[6:7], s[6:7]
; %bb.94:                               ;   in Loop: Header=BB78_65 Depth=1
	v_add_f32_e64 v6, |v7|, s25
; %bb.95:                               ;   in Loop: Header=BB78_65 Depth=1
	s_or_b64 exec, exec, s[6:7]
.LBB78_96:                              ;   in Loop: Header=BB78_65 Depth=1
	s_or_b64 exec, exec, s[4:5]
	v_mul_f32_e32 v19, v37, v19
	v_bfe_u32 v22, v19, 16, 1
	v_add3_u32 v22, v19, v22, s21
	v_and_b32_e32 v22, 0xffff0000, v22
	v_cmp_o_f32_e32 vcc, v19, v19
	v_and_b32_e32 v21, 0xffff0000, v4
	v_cndmask_b32_e32 v19, v15, v22, vcc
	v_mul_f32_e32 v19, v19, v21
	v_bfe_u32 v21, v19, 16, 1
	v_add3_u32 v21, v19, v21, s21
	v_and_b32_e32 v21, 0xffff0000, v21
	v_cmp_o_f32_e32 vcc, v19, v19
	v_cndmask_b32_e32 v19, v15, v21, vcc
	v_div_scale_f32 v21, s[4:5], v9, v9, v19
	v_rcp_f32_e32 v22, v21
	v_fma_f32 v23, -v21, v22, 1.0
	v_fmac_f32_e32 v22, v23, v22
	v_div_scale_f32 v23, vcc, v19, v9, v19
	v_mul_f32_e32 v24, v23, v22
	v_fma_f32 v25, -v21, v24, v23
	v_fmac_f32_e32 v24, v25, v22
	v_fma_f32 v21, -v21, v24, v23
	v_div_fmas_f32 v21, v21, v22, v24
	v_div_fixup_f32 v19, v21, v9, v19
	v_min_f32_e32 v19, 0x43e00000, v19
	v_max_f32_e32 v19, 0xc3e00000, v19
	v_and_b32_e32 v21, 0x7fffffff, v19
	v_cmp_gt_u32_e32 vcc, s22, v21
	s_and_saveexec_b64 s[4:5], vcc
	s_cbranch_execz .LBB78_102
; %bb.97:                               ;   in Loop: Header=BB78_65 Depth=1
	v_cmp_lt_u32_e32 vcc, s23, v21
                                        ; implicit-def: $vgpr8
	s_and_saveexec_b64 s[6:7], vcc
	s_xor_b64 s[6:7], exec, s[6:7]
; %bb.98:                               ;   in Loop: Header=BB78_65 Depth=1
	v_bfe_u32 v8, v19, 20, 1
	v_add3_u32 v8, v19, v8, s24
	v_lshrrev_b32_e32 v8, 20, v8
; %bb.99:                               ;   in Loop: Header=BB78_65 Depth=1
	s_andn2_saveexec_b64 s[6:7], s[6:7]
; %bb.100:                              ;   in Loop: Header=BB78_65 Depth=1
	v_add_f32_e64 v8, |v19|, s25
; %bb.101:                              ;   in Loop: Header=BB78_65 Depth=1
	s_or_b64 exec, exec, s[6:7]
.LBB78_102:                             ;   in Loop: Header=BB78_65 Depth=1
	s_or_b64 exec, exec, s[4:5]
	v_mul_f32_e32 v20, v37, v20
	v_bfe_u32 v21, v20, 16, 1
	v_add3_u32 v21, v20, v21, s21
	v_and_b32_e32 v21, 0xffff0000, v21
	v_cmp_o_f32_e32 vcc, v20, v20
	v_alignbit_b32 v4, v5, v4, 16
	v_cndmask_b32_e32 v20, v15, v21, vcc
	v_and_b32_e32 v4, 0xffff0000, v4
	v_mul_f32_e32 v4, v20, v4
	v_bfe_u32 v20, v4, 16, 1
	v_add3_u32 v20, v4, v20, s21
	v_and_b32_e32 v20, 0xffff0000, v20
	v_cmp_o_f32_e32 vcc, v4, v4
	v_cndmask_b32_e32 v4, v15, v20, vcc
	v_div_scale_f32 v20, s[4:5], v9, v9, v4
	v_rcp_f32_e32 v21, v20
	v_fma_f32 v22, -v20, v21, 1.0
	v_fmac_f32_e32 v21, v22, v21
	v_div_scale_f32 v22, vcc, v4, v9, v4
	v_mul_f32_e32 v23, v22, v21
	v_fma_f32 v24, -v20, v23, v22
	v_fmac_f32_e32 v23, v24, v21
	v_fma_f32 v20, -v20, v23, v22
	v_div_fmas_f32 v20, v20, v21, v23
	v_div_fixup_f32 v4, v20, v9, v4
	v_min_f32_e32 v4, 0x43e00000, v4
	v_max_f32_e32 v21, 0xc3e00000, v4
	v_and_b32_e32 v22, 0x7fffffff, v21
	v_cmp_gt_u32_e32 vcc, s22, v22
	v_mov_b32_e32 v20, 0x7f
	v_mov_b32_e32 v4, 0x7f
	s_and_saveexec_b64 s[4:5], vcc
	s_cbranch_execz .LBB78_108
; %bb.103:                              ;   in Loop: Header=BB78_65 Depth=1
	v_cmp_lt_u32_e32 vcc, s23, v22
                                        ; implicit-def: $vgpr4
	s_and_saveexec_b64 s[6:7], vcc
	s_xor_b64 s[6:7], exec, s[6:7]
; %bb.104:                              ;   in Loop: Header=BB78_65 Depth=1
	v_bfe_u32 v4, v21, 20, 1
	v_add3_u32 v4, v21, v4, s24
	v_lshrrev_b32_e32 v4, 20, v4
; %bb.105:                              ;   in Loop: Header=BB78_65 Depth=1
	s_andn2_saveexec_b64 s[6:7], s[6:7]
; %bb.106:                              ;   in Loop: Header=BB78_65 Depth=1
	v_add_f32_e64 v4, |v21|, s25
; %bb.107:                              ;   in Loop: Header=BB78_65 Depth=1
	s_or_b64 exec, exec, s[6:7]
.LBB78_108:                             ;   in Loop: Header=BB78_65 Depth=1
	s_or_b64 exec, exec, s[4:5]
	v_mul_f32_e32 v18, v37, v18
	v_bfe_u32 v22, v18, 16, 1
	v_add3_u32 v22, v18, v22, s21
	v_and_b32_e32 v22, 0xffff0000, v22
	v_cmp_o_f32_e32 vcc, v18, v18
	v_cndmask_b32_e32 v18, v15, v22, vcc
	v_and_b32_e32 v5, 0xffff0000, v5
	v_mul_f32_e32 v5, v18, v5
	v_bfe_u32 v18, v5, 16, 1
	v_add3_u32 v18, v5, v18, s21
	v_and_b32_e32 v18, 0xffff0000, v18
	v_cmp_o_f32_e32 vcc, v5, v5
	v_cndmask_b32_e32 v5, v15, v18, vcc
	v_div_scale_f32 v18, s[4:5], v9, v9, v5
	v_rcp_f32_e32 v22, v18
	v_fma_f32 v23, -v18, v22, 1.0
	v_fmac_f32_e32 v22, v23, v22
	v_div_scale_f32 v23, vcc, v5, v9, v5
	v_mul_f32_e32 v24, v23, v22
	v_fma_f32 v25, -v18, v24, v23
	v_fmac_f32_e32 v24, v25, v22
	v_fma_f32 v18, -v18, v24, v23
	v_div_fmas_f32 v18, v18, v22, v24
	v_div_fixup_f32 v5, v18, v9, v5
	v_min_f32_e32 v5, 0x43e00000, v5
	v_max_f32_e32 v5, 0xc3e00000, v5
	v_and_b32_e32 v9, 0x7fffffff, v5
	v_cmp_gt_u32_e32 vcc, s22, v9
	s_and_saveexec_b64 s[4:5], vcc
	s_cbranch_execz .LBB78_114
; %bb.109:                              ;   in Loop: Header=BB78_65 Depth=1
	v_cmp_lt_u32_e32 vcc, s23, v9
                                        ; implicit-def: $vgpr20
	s_and_saveexec_b64 s[6:7], vcc
	s_xor_b64 s[6:7], exec, s[6:7]
; %bb.110:                              ;   in Loop: Header=BB78_65 Depth=1
	v_bfe_u32 v9, v5, 20, 1
	v_add3_u32 v9, v5, v9, s24
	v_lshrrev_b32_e32 v20, 20, v9
; %bb.111:                              ;   in Loop: Header=BB78_65 Depth=1
	s_andn2_saveexec_b64 s[6:7], s[6:7]
; %bb.112:                              ;   in Loop: Header=BB78_65 Depth=1
	v_add_f32_e64 v20, |v5|, s25
; %bb.113:                              ;   in Loop: Header=BB78_65 Depth=1
	s_or_b64 exec, exec, s[6:7]
.LBB78_114:                             ;   in Loop: Header=BB78_65 Depth=1
	s_or_b64 exec, exec, s[4:5]
	v_and_b32_sdwa v9, v21, s26 dst_sel:DWORD dst_unused:UNUSED_PAD src0_sel:BYTE_3 src1_sel:DWORD
	v_and_b32_sdwa v21, v19, s26 dst_sel:DWORD dst_unused:UNUSED_PAD src0_sel:BYTE_3 src1_sel:DWORD
	v_lshlrev_b64 v[18:19], 2, v[2:3]
	v_mov_b32_e32 v3, s16
	v_add_co_u32_e32 v18, vcc, s11, v18
	v_and_or_b32 v4, v4, s27, v9
	v_addc_co_u32_e32 v19, vcc, v3, v19, vcc
	v_lshlrev_b32_e32 v3, 24, v20
	v_and_b32_e32 v5, 0x80000000, v5
	v_lshlrev_b32_e32 v4, 16, v4
	v_lshrrev_b32_e32 v7, 24, v7
	v_or3_b32 v3, v5, v3, v4
	v_and_or_b32 v4, v8, s27, v21
	v_and_b32_e32 v5, 0xff, v6
	v_lshlrev_b32_e32 v4, 8, v4
	v_and_or_b32 v5, v7, s26, v5
	v_or3_b32 v3, v3, v4, v5
	v_add_u32_e32 v4, s20, v0
	v_cmp_gt_u32_e32 vcc, s10, v4
	s_mov_b64 s[6:7], -1
	global_store_dword v[18:19], v3, off
	s_and_saveexec_b64 s[4:5], vcc
	s_cbranch_execz .LBB78_63
; %bb.115:                              ;   in Loop: Header=BB78_65 Depth=1
	v_mov_b32_e32 v5, v1
	v_lshlrev_b64 v[6:7], 3, v[4:5]
	v_mov_b32_e32 v3, s46
	v_add_co_u32_e32 v8, vcc, s33, v6
	v_addc_co_u32_e32 v9, vcc, v3, v7, vcc
	global_load_dwordx2 v[20:21], v[8:9], off
	v_mov_b32_e32 v9, s48
	v_add_co_u32_e32 v8, vcc, s47, v6
	v_addc_co_u32_e32 v9, vcc, v9, v7, vcc
	global_load_dwordx2 v[22:23], v[8:9], off
	v_mov_b32_e32 v3, s19
	v_add_co_u32_e32 v6, vcc, s18, v6
	v_addc_co_u32_e32 v7, vcc, v3, v7, vcc
	v_bfe_u32 v3, v4, 4, 26
	v_mad_u64_u32 v[18:19], s[6:7], v10, v3, 0
	global_load_dwordx2 v[6:7], v[6:7], off
	v_mov_b32_e32 v24, v19
	v_mad_u64_u32 v[24:25], s[6:7], v11, v3, v[24:25]
	v_mov_b32_e32 v19, v24
	v_lshlrev_b64 v[18:19], 2, v[18:19]
	v_mov_b32_e32 v26, s15
	v_add_co_u32_e32 v18, vcc, s14, v18
	v_addc_co_u32_e32 v19, vcc, v26, v19, vcc
	global_load_dword v18, v[18:19], off
	v_mov_b32_e32 v3, 0x7f
	s_waitcnt vmcnt(3)
	v_and_b32_e32 v19, 0xffff0000, v20
	v_lshlrev_b32_e32 v24, 16, v20
	v_alignbit_b32 v20, v21, v20, 16
	v_and_b32_e32 v21, 0xffff0000, v21
	v_and_b32_e32 v28, 0xffff0000, v20
	s_waitcnt vmcnt(2)
	v_and_b32_e32 v25, 0xffff0000, v22
	v_lshlrev_b32_e32 v26, 16, v22
	v_alignbit_b32 v22, v23, v22, 16
	v_and_b32_e32 v23, 0xffff0000, v23
	v_add_f32_e32 v20, v19, v25
	v_add_f32_e32 v19, v21, v23
	v_bfe_u32 v25, v19, 16, 1
	v_add_f32_e32 v24, v24, v26
	v_and_b32_e32 v22, 0xffff0000, v22
	v_bfe_u32 v23, v20, 16, 1
	v_add3_u32 v25, v19, v25, s21
	v_add_f32_e32 v21, v28, v22
	v_bfe_u32 v22, v24, 16, 1
	v_add3_u32 v23, v20, v23, s21
	v_and_b32_e32 v25, 0xffff0000, v25
	v_cmp_o_f32_e32 vcc, v19, v19
	v_mul_f32_e32 v26, v37, v24
	v_add3_u32 v22, v24, v22, s21
	v_bfe_u32 v28, v21, 16, 1
	v_and_b32_e32 v23, 0xffff0000, v23
	v_cndmask_b32_e32 v25, v15, v25, vcc
	v_cmp_o_f32_e32 vcc, v20, v20
	v_bfe_u32 v29, v26, 16, 1
	v_lshrrev_b32_e32 v22, 16, v22
	v_add3_u32 v28, v21, v28, s21
	v_cndmask_b32_e32 v23, v15, v23, vcc
	v_cmp_o_f32_e32 vcc, v24, v24
	v_add3_u32 v29, v26, v29, s21
	v_lshrrev_b32_e32 v28, 16, v28
	v_cndmask_b32_e32 v22, v16, v22, vcc
	v_cmp_o_f32_e32 vcc, v21, v21
	v_and_b32_e32 v24, 0xffff0000, v29
	v_cndmask_b32_e32 v28, v16, v28, vcc
	v_cmp_o_f32_e32 vcc, v26, v26
	s_waitcnt vmcnt(1)
	v_lshlrev_b32_e32 v27, 16, v6
	v_cndmask_b32_e32 v24, v15, v24, vcc
	v_mul_f32_e32 v24, v24, v27
	v_or_b32_e32 v22, v22, v23
	v_or3_b32 v23, 0, v28, v25
	v_bfe_u32 v25, v24, 16, 1
	v_add3_u32 v25, v24, v25, s21
	v_and_b32_e32 v25, 0xffff0000, v25
	v_cmp_o_f32_e32 vcc, v24, v24
	v_cndmask_b32_e32 v24, v15, v25, vcc
	s_waitcnt vmcnt(0)
	v_div_scale_f32 v25, s[6:7], v18, v18, v24
	v_rcp_f32_e32 v26, v25
	v_or3_b32 v22, v22, 0, 0
	global_store_dwordx2 v[8:9], v[22:23], off
	v_div_scale_f32 v8, vcc, v24, v18, v24
	v_fma_f32 v9, -v25, v26, 1.0
	v_fmac_f32_e32 v26, v9, v26
	v_mul_f32_e32 v9, v8, v26
	v_fma_f32 v22, -v25, v9, v8
	v_fmac_f32_e32 v9, v22, v26
	v_fma_f32 v8, -v25, v9, v8
	v_div_fmas_f32 v8, v8, v26, v9
	v_div_fixup_f32 v8, v8, v18, v24
	v_min_f32_e32 v8, 0x43e00000, v8
	v_max_f32_e32 v9, 0xc3e00000, v8
	v_and_b32_e32 v22, 0x7fffffff, v9
	v_cmp_gt_u32_e32 vcc, s22, v22
	v_mov_b32_e32 v8, 0x7f
	s_and_saveexec_b64 s[6:7], vcc
	s_cbranch_execz .LBB78_121
; %bb.116:                              ;   in Loop: Header=BB78_65 Depth=1
	v_cmp_lt_u32_e32 vcc, s23, v22
                                        ; implicit-def: $vgpr8
	s_and_saveexec_b64 s[8:9], vcc
	s_xor_b64 s[8:9], exec, s[8:9]
; %bb.117:                              ;   in Loop: Header=BB78_65 Depth=1
	v_bfe_u32 v8, v9, 20, 1
	v_add3_u32 v8, v9, v8, s24
	v_lshrrev_b32_e32 v8, 20, v8
; %bb.118:                              ;   in Loop: Header=BB78_65 Depth=1
	s_andn2_saveexec_b64 s[8:9], s[8:9]
; %bb.119:                              ;   in Loop: Header=BB78_65 Depth=1
	v_add_f32_e64 v8, |v9|, s25
; %bb.120:                              ;   in Loop: Header=BB78_65 Depth=1
	s_or_b64 exec, exec, s[8:9]
.LBB78_121:                             ;   in Loop: Header=BB78_65 Depth=1
	s_or_b64 exec, exec, s[6:7]
	v_mul_f32_e32 v20, v37, v20
	v_bfe_u32 v23, v20, 16, 1
	v_add3_u32 v23, v20, v23, s21
	v_and_b32_e32 v23, 0xffff0000, v23
	v_cmp_o_f32_e32 vcc, v20, v20
	v_and_b32_e32 v22, 0xffff0000, v6
	v_cndmask_b32_e32 v20, v15, v23, vcc
	v_mul_f32_e32 v20, v20, v22
	v_bfe_u32 v22, v20, 16, 1
	v_add3_u32 v22, v20, v22, s21
	v_and_b32_e32 v22, 0xffff0000, v22
	v_cmp_o_f32_e32 vcc, v20, v20
	v_cndmask_b32_e32 v20, v15, v22, vcc
	v_div_scale_f32 v22, s[6:7], v18, v18, v20
	v_rcp_f32_e32 v23, v22
	v_fma_f32 v24, -v22, v23, 1.0
	v_fmac_f32_e32 v23, v24, v23
	v_div_scale_f32 v24, vcc, v20, v18, v20
	v_mul_f32_e32 v25, v24, v23
	v_fma_f32 v26, -v22, v25, v24
	v_fmac_f32_e32 v25, v26, v23
	v_fma_f32 v22, -v22, v25, v24
	v_div_fmas_f32 v22, v22, v23, v25
	v_div_fixup_f32 v20, v22, v18, v20
	v_min_f32_e32 v20, 0x43e00000, v20
	v_max_f32_e32 v20, 0xc3e00000, v20
	v_and_b32_e32 v22, 0x7fffffff, v20
	v_cmp_gt_u32_e32 vcc, s22, v22
	s_and_saveexec_b64 s[6:7], vcc
	s_cbranch_execz .LBB78_127
; %bb.122:                              ;   in Loop: Header=BB78_65 Depth=1
	v_cmp_lt_u32_e32 vcc, s23, v22
                                        ; implicit-def: $vgpr3
	s_and_saveexec_b64 s[8:9], vcc
	s_xor_b64 s[8:9], exec, s[8:9]
; %bb.123:                              ;   in Loop: Header=BB78_65 Depth=1
	v_bfe_u32 v3, v20, 20, 1
	v_add3_u32 v3, v20, v3, s24
	v_lshrrev_b32_e32 v3, 20, v3
; %bb.124:                              ;   in Loop: Header=BB78_65 Depth=1
	s_andn2_saveexec_b64 s[8:9], s[8:9]
; %bb.125:                              ;   in Loop: Header=BB78_65 Depth=1
	v_add_f32_e64 v3, |v20|, s25
; %bb.126:                              ;   in Loop: Header=BB78_65 Depth=1
	s_or_b64 exec, exec, s[8:9]
.LBB78_127:                             ;   in Loop: Header=BB78_65 Depth=1
	s_or_b64 exec, exec, s[6:7]
	v_mul_f32_e32 v21, v37, v21
	v_bfe_u32 v22, v21, 16, 1
	v_add3_u32 v22, v21, v22, s21
	v_and_b32_e32 v22, 0xffff0000, v22
	v_cmp_o_f32_e32 vcc, v21, v21
	v_alignbit_b32 v6, v7, v6, 16
	v_cndmask_b32_e32 v21, v15, v22, vcc
	v_and_b32_e32 v6, 0xffff0000, v6
	v_mul_f32_e32 v6, v21, v6
	v_bfe_u32 v21, v6, 16, 1
	v_add3_u32 v21, v6, v21, s21
	v_and_b32_e32 v21, 0xffff0000, v21
	v_cmp_o_f32_e32 vcc, v6, v6
	v_cndmask_b32_e32 v6, v15, v21, vcc
	v_div_scale_f32 v21, s[6:7], v18, v18, v6
	v_rcp_f32_e32 v22, v21
	v_fma_f32 v23, -v21, v22, 1.0
	v_fmac_f32_e32 v22, v23, v22
	v_div_scale_f32 v23, vcc, v6, v18, v6
	v_mul_f32_e32 v24, v23, v22
	v_fma_f32 v25, -v21, v24, v23
	v_fmac_f32_e32 v24, v25, v22
	v_fma_f32 v21, -v21, v24, v23
	v_div_fmas_f32 v21, v21, v22, v24
	v_div_fixup_f32 v6, v21, v18, v6
	v_min_f32_e32 v6, 0x43e00000, v6
	v_max_f32_e32 v22, 0xc3e00000, v6
	v_and_b32_e32 v23, 0x7fffffff, v22
	v_cmp_gt_u32_e32 vcc, s22, v23
	v_mov_b32_e32 v21, 0x7f
	v_mov_b32_e32 v6, 0x7f
	s_and_saveexec_b64 s[6:7], vcc
	s_cbranch_execz .LBB78_133
; %bb.128:                              ;   in Loop: Header=BB78_65 Depth=1
	v_cmp_lt_u32_e32 vcc, s23, v23
                                        ; implicit-def: $vgpr6
	s_and_saveexec_b64 s[8:9], vcc
	s_xor_b64 s[8:9], exec, s[8:9]
; %bb.129:                              ;   in Loop: Header=BB78_65 Depth=1
	v_bfe_u32 v6, v22, 20, 1
	v_add3_u32 v6, v22, v6, s24
	v_lshrrev_b32_e32 v6, 20, v6
; %bb.130:                              ;   in Loop: Header=BB78_65 Depth=1
	s_andn2_saveexec_b64 s[8:9], s[8:9]
; %bb.131:                              ;   in Loop: Header=BB78_65 Depth=1
	v_add_f32_e64 v6, |v22|, s25
; %bb.132:                              ;   in Loop: Header=BB78_65 Depth=1
	s_or_b64 exec, exec, s[8:9]
.LBB78_133:                             ;   in Loop: Header=BB78_65 Depth=1
	s_or_b64 exec, exec, s[6:7]
	v_mul_f32_e32 v19, v37, v19
	v_bfe_u32 v23, v19, 16, 1
	v_add3_u32 v23, v19, v23, s21
	v_and_b32_e32 v23, 0xffff0000, v23
	v_cmp_o_f32_e32 vcc, v19, v19
	v_cndmask_b32_e32 v19, v15, v23, vcc
	v_and_b32_e32 v7, 0xffff0000, v7
	v_mul_f32_e32 v7, v19, v7
	v_bfe_u32 v19, v7, 16, 1
	v_add3_u32 v19, v7, v19, s21
	v_and_b32_e32 v19, 0xffff0000, v19
	v_cmp_o_f32_e32 vcc, v7, v7
	v_cndmask_b32_e32 v7, v15, v19, vcc
	v_div_scale_f32 v19, s[6:7], v18, v18, v7
	v_rcp_f32_e32 v23, v19
	v_fma_f32 v24, -v19, v23, 1.0
	v_fmac_f32_e32 v23, v24, v23
	v_div_scale_f32 v24, vcc, v7, v18, v7
	v_mul_f32_e32 v25, v24, v23
	v_fma_f32 v26, -v19, v25, v24
	v_fmac_f32_e32 v25, v26, v23
	v_fma_f32 v19, -v19, v25, v24
	v_div_fmas_f32 v19, v19, v23, v25
	v_div_fixup_f32 v7, v19, v18, v7
	v_min_f32_e32 v7, 0x43e00000, v7
	v_max_f32_e32 v7, 0xc3e00000, v7
	v_and_b32_e32 v18, 0x7fffffff, v7
	v_cmp_gt_u32_e32 vcc, s22, v18
	s_and_saveexec_b64 s[6:7], vcc
	s_cbranch_execz .LBB78_139
; %bb.134:                              ;   in Loop: Header=BB78_65 Depth=1
	v_cmp_lt_u32_e32 vcc, s23, v18
                                        ; implicit-def: $vgpr21
	s_and_saveexec_b64 s[8:9], vcc
	s_xor_b64 s[8:9], exec, s[8:9]
; %bb.135:                              ;   in Loop: Header=BB78_65 Depth=1
	v_bfe_u32 v18, v7, 20, 1
	v_add3_u32 v18, v7, v18, s24
	v_lshrrev_b32_e32 v21, 20, v18
; %bb.136:                              ;   in Loop: Header=BB78_65 Depth=1
	s_andn2_saveexec_b64 s[8:9], s[8:9]
; %bb.137:                              ;   in Loop: Header=BB78_65 Depth=1
	v_add_f32_e64 v21, |v7|, s25
; %bb.138:                              ;   in Loop: Header=BB78_65 Depth=1
	s_or_b64 exec, exec, s[8:9]
.LBB78_139:                             ;   in Loop: Header=BB78_65 Depth=1
	s_or_b64 exec, exec, s[6:7]
	v_and_b32_sdwa v18, v22, s26 dst_sel:DWORD dst_unused:UNUSED_PAD src0_sel:BYTE_3 src1_sel:DWORD
	v_lshlrev_b64 v[4:5], 2, v[4:5]
	v_and_b32_sdwa v19, v20, s26 dst_sel:DWORD dst_unused:UNUSED_PAD src0_sel:BYTE_3 src1_sel:DWORD
	v_mov_b32_e32 v20, s16
	v_add_co_u32_e32 v4, vcc, s11, v4
	v_and_or_b32 v6, v6, s27, v18
	v_addc_co_u32_e32 v5, vcc, v20, v5, vcc
	v_lshlrev_b32_e32 v20, 24, v21
	v_and_b32_e32 v7, 0x80000000, v7
	v_lshlrev_b32_e32 v6, 16, v6
	v_lshrrev_b32_e32 v9, 24, v9
	v_or3_b32 v6, v7, v20, v6
	v_and_or_b32 v3, v3, s27, v19
	v_and_b32_e32 v7, 0xff, v8
	v_lshlrev_b32_e32 v3, 8, v3
	v_and_or_b32 v7, v9, s26, v7
	v_add_u32_e32 v0, s17, v0
	v_or3_b32 v3, v6, v3, v7
	v_cmp_gt_u32_e32 vcc, s10, v0
	s_mov_b64 s[8:9], -1
	global_store_dword v[4:5], v3, off
	s_and_saveexec_b64 s[6:7], vcc
	s_cbranch_execz .LBB78_62
; %bb.140:                              ;   in Loop: Header=BB78_65 Depth=1
	v_lshlrev_b64 v[4:5], 3, v[0:1]
	v_mov_b32_e32 v3, s46
	v_add_co_u32_e32 v6, vcc, s33, v4
	v_addc_co_u32_e32 v7, vcc, v3, v5, vcc
	global_load_dwordx2 v[18:19], v[6:7], off
	v_mov_b32_e32 v7, s48
	v_add_co_u32_e32 v6, vcc, s47, v4
	v_addc_co_u32_e32 v7, vcc, v7, v5, vcc
	global_load_dwordx2 v[20:21], v[6:7], off
	v_mov_b32_e32 v3, s19
	v_add_co_u32_e32 v4, vcc, s18, v4
	v_addc_co_u32_e32 v5, vcc, v3, v5, vcc
	v_bfe_u32 v3, v0, 4, 26
	v_mad_u64_u32 v[8:9], s[8:9], v10, v3, 0
	global_load_dwordx2 v[4:5], v[4:5], off
	v_mov_b32_e32 v22, v9
	v_mad_u64_u32 v[22:23], s[8:9], v11, v3, v[22:23]
	v_mov_b32_e32 v9, v22
	v_lshlrev_b64 v[8:9], 2, v[8:9]
	v_mov_b32_e32 v24, s15
	v_add_co_u32_e32 v8, vcc, s14, v8
	v_addc_co_u32_e32 v9, vcc, v24, v9, vcc
	global_load_dword v8, v[8:9], off
	v_mov_b32_e32 v3, 0x7f
	s_waitcnt vmcnt(3)
	v_and_b32_e32 v9, 0xffff0000, v18
	v_lshlrev_b32_e32 v22, 16, v18
	v_alignbit_b32 v18, v19, v18, 16
	v_and_b32_e32 v19, 0xffff0000, v19
	v_and_b32_e32 v26, 0xffff0000, v18
	s_waitcnt vmcnt(2)
	v_and_b32_e32 v23, 0xffff0000, v20
	v_lshlrev_b32_e32 v24, 16, v20
	v_alignbit_b32 v20, v21, v20, 16
	v_and_b32_e32 v21, 0xffff0000, v21
	v_add_f32_e32 v18, v9, v23
	v_add_f32_e32 v9, v19, v21
	v_bfe_u32 v23, v9, 16, 1
	v_add_f32_e32 v22, v22, v24
	v_and_b32_e32 v20, 0xffff0000, v20
	v_bfe_u32 v21, v18, 16, 1
	v_add3_u32 v23, v9, v23, s21
	v_add_f32_e32 v19, v26, v20
	v_bfe_u32 v20, v22, 16, 1
	v_add3_u32 v21, v18, v21, s21
	v_and_b32_e32 v23, 0xffff0000, v23
	v_cmp_o_f32_e32 vcc, v9, v9
	v_mul_f32_e32 v24, v37, v22
	v_add3_u32 v20, v22, v20, s21
	v_bfe_u32 v26, v19, 16, 1
	v_and_b32_e32 v21, 0xffff0000, v21
	v_cndmask_b32_e32 v23, v15, v23, vcc
	v_cmp_o_f32_e32 vcc, v18, v18
	v_bfe_u32 v27, v24, 16, 1
	v_lshrrev_b32_e32 v20, 16, v20
	v_add3_u32 v26, v19, v26, s21
	v_cndmask_b32_e32 v21, v15, v21, vcc
	v_cmp_o_f32_e32 vcc, v22, v22
	v_add3_u32 v27, v24, v27, s21
	v_lshrrev_b32_e32 v26, 16, v26
	v_cndmask_b32_e32 v20, v16, v20, vcc
	v_cmp_o_f32_e32 vcc, v19, v19
	v_and_b32_e32 v22, 0xffff0000, v27
	v_cndmask_b32_e32 v26, v16, v26, vcc
	v_cmp_o_f32_e32 vcc, v24, v24
	s_waitcnt vmcnt(1)
	v_lshlrev_b32_e32 v25, 16, v4
	v_cndmask_b32_e32 v22, v15, v22, vcc
	v_mul_f32_e32 v22, v22, v25
	v_or_b32_e32 v20, v20, v21
	v_or3_b32 v21, 0, v26, v23
	v_bfe_u32 v23, v22, 16, 1
	v_add3_u32 v23, v22, v23, s21
	v_and_b32_e32 v23, 0xffff0000, v23
	v_cmp_o_f32_e32 vcc, v22, v22
	v_cndmask_b32_e32 v22, v15, v23, vcc
	s_waitcnt vmcnt(0)
	v_div_scale_f32 v23, s[8:9], v8, v8, v22
	v_rcp_f32_e32 v24, v23
	v_or3_b32 v20, v20, 0, 0
	global_store_dwordx2 v[6:7], v[20:21], off
	v_div_scale_f32 v6, vcc, v22, v8, v22
	v_fma_f32 v7, -v23, v24, 1.0
	v_fmac_f32_e32 v24, v7, v24
	v_mul_f32_e32 v7, v6, v24
	v_fma_f32 v20, -v23, v7, v6
	v_fmac_f32_e32 v7, v20, v24
	v_fma_f32 v6, -v23, v7, v6
	v_div_fmas_f32 v6, v6, v24, v7
	v_div_fixup_f32 v6, v6, v8, v22
	v_min_f32_e32 v6, 0x43e00000, v6
	v_max_f32_e32 v7, 0xc3e00000, v6
	v_and_b32_e32 v20, 0x7fffffff, v7
	v_cmp_gt_u32_e32 vcc, s22, v20
	v_mov_b32_e32 v6, 0x7f
	s_and_saveexec_b64 s[8:9], vcc
	s_cbranch_execz .LBB78_146
; %bb.141:                              ;   in Loop: Header=BB78_65 Depth=1
	v_cmp_lt_u32_e32 vcc, s23, v20
                                        ; implicit-def: $vgpr6
	s_and_saveexec_b64 s[12:13], vcc
	s_xor_b64 s[12:13], exec, s[12:13]
; %bb.142:                              ;   in Loop: Header=BB78_65 Depth=1
	v_bfe_u32 v6, v7, 20, 1
	v_add3_u32 v6, v7, v6, s24
	v_lshrrev_b32_e32 v6, 20, v6
; %bb.143:                              ;   in Loop: Header=BB78_65 Depth=1
	s_andn2_saveexec_b64 s[12:13], s[12:13]
; %bb.144:                              ;   in Loop: Header=BB78_65 Depth=1
	v_add_f32_e64 v6, |v7|, s25
; %bb.145:                              ;   in Loop: Header=BB78_65 Depth=1
	s_or_b64 exec, exec, s[12:13]
.LBB78_146:                             ;   in Loop: Header=BB78_65 Depth=1
	s_or_b64 exec, exec, s[8:9]
	v_mul_f32_e32 v18, v37, v18
	v_bfe_u32 v21, v18, 16, 1
	v_add3_u32 v21, v18, v21, s21
	v_and_b32_e32 v21, 0xffff0000, v21
	v_cmp_o_f32_e32 vcc, v18, v18
	v_and_b32_e32 v20, 0xffff0000, v4
	v_cndmask_b32_e32 v18, v15, v21, vcc
	v_mul_f32_e32 v18, v18, v20
	v_bfe_u32 v20, v18, 16, 1
	v_add3_u32 v20, v18, v20, s21
	v_and_b32_e32 v20, 0xffff0000, v20
	v_cmp_o_f32_e32 vcc, v18, v18
	v_cndmask_b32_e32 v18, v15, v20, vcc
	v_div_scale_f32 v20, s[8:9], v8, v8, v18
	v_rcp_f32_e32 v21, v20
	v_fma_f32 v22, -v20, v21, 1.0
	v_fmac_f32_e32 v21, v22, v21
	v_div_scale_f32 v22, vcc, v18, v8, v18
	v_mul_f32_e32 v23, v22, v21
	v_fma_f32 v24, -v20, v23, v22
	v_fmac_f32_e32 v23, v24, v21
	v_fma_f32 v20, -v20, v23, v22
	v_div_fmas_f32 v20, v20, v21, v23
	v_div_fixup_f32 v18, v20, v8, v18
	v_min_f32_e32 v18, 0x43e00000, v18
	v_max_f32_e32 v18, 0xc3e00000, v18
	v_and_b32_e32 v20, 0x7fffffff, v18
	v_cmp_gt_u32_e32 vcc, s22, v20
	s_and_saveexec_b64 s[8:9], vcc
	s_cbranch_execz .LBB78_152
; %bb.147:                              ;   in Loop: Header=BB78_65 Depth=1
	v_cmp_lt_u32_e32 vcc, s23, v20
                                        ; implicit-def: $vgpr3
	s_and_saveexec_b64 s[12:13], vcc
	s_xor_b64 s[12:13], exec, s[12:13]
; %bb.148:                              ;   in Loop: Header=BB78_65 Depth=1
	v_bfe_u32 v3, v18, 20, 1
	v_add3_u32 v3, v18, v3, s24
	v_lshrrev_b32_e32 v3, 20, v3
; %bb.149:                              ;   in Loop: Header=BB78_65 Depth=1
	s_andn2_saveexec_b64 s[12:13], s[12:13]
; %bb.150:                              ;   in Loop: Header=BB78_65 Depth=1
	v_add_f32_e64 v3, |v18|, s25
; %bb.151:                              ;   in Loop: Header=BB78_65 Depth=1
	s_or_b64 exec, exec, s[12:13]
.LBB78_152:                             ;   in Loop: Header=BB78_65 Depth=1
	s_or_b64 exec, exec, s[8:9]
	v_mul_f32_e32 v19, v37, v19
	v_bfe_u32 v20, v19, 16, 1
	v_add3_u32 v20, v19, v20, s21
	v_and_b32_e32 v20, 0xffff0000, v20
	v_cmp_o_f32_e32 vcc, v19, v19
	v_alignbit_b32 v4, v5, v4, 16
	v_cndmask_b32_e32 v19, v15, v20, vcc
	v_and_b32_e32 v4, 0xffff0000, v4
	v_mul_f32_e32 v4, v19, v4
	v_bfe_u32 v19, v4, 16, 1
	v_add3_u32 v19, v4, v19, s21
	v_and_b32_e32 v19, 0xffff0000, v19
	v_cmp_o_f32_e32 vcc, v4, v4
	v_cndmask_b32_e32 v4, v15, v19, vcc
	v_div_scale_f32 v19, s[8:9], v8, v8, v4
	v_rcp_f32_e32 v20, v19
	v_fma_f32 v21, -v19, v20, 1.0
	v_fmac_f32_e32 v20, v21, v20
	v_div_scale_f32 v21, vcc, v4, v8, v4
	v_mul_f32_e32 v22, v21, v20
	v_fma_f32 v23, -v19, v22, v21
	v_fmac_f32_e32 v22, v23, v20
	v_fma_f32 v19, -v19, v22, v21
	v_div_fmas_f32 v19, v19, v20, v22
	v_div_fixup_f32 v4, v19, v8, v4
	v_min_f32_e32 v4, 0x43e00000, v4
	v_max_f32_e32 v20, 0xc3e00000, v4
	v_and_b32_e32 v21, 0x7fffffff, v20
	v_cmp_gt_u32_e32 vcc, s22, v21
	v_mov_b32_e32 v19, 0x7f
	v_mov_b32_e32 v4, 0x7f
	s_and_saveexec_b64 s[8:9], vcc
	s_cbranch_execz .LBB78_158
; %bb.153:                              ;   in Loop: Header=BB78_65 Depth=1
	v_cmp_lt_u32_e32 vcc, s23, v21
                                        ; implicit-def: $vgpr4
	s_and_saveexec_b64 s[12:13], vcc
	s_xor_b64 s[12:13], exec, s[12:13]
; %bb.154:                              ;   in Loop: Header=BB78_65 Depth=1
	v_bfe_u32 v4, v20, 20, 1
	v_add3_u32 v4, v20, v4, s24
	v_lshrrev_b32_e32 v4, 20, v4
; %bb.155:                              ;   in Loop: Header=BB78_65 Depth=1
	s_andn2_saveexec_b64 s[12:13], s[12:13]
; %bb.156:                              ;   in Loop: Header=BB78_65 Depth=1
	v_add_f32_e64 v4, |v20|, s25
; %bb.157:                              ;   in Loop: Header=BB78_65 Depth=1
	s_or_b64 exec, exec, s[12:13]
.LBB78_158:                             ;   in Loop: Header=BB78_65 Depth=1
	s_or_b64 exec, exec, s[8:9]
	v_mul_f32_e32 v9, v37, v9
	v_bfe_u32 v21, v9, 16, 1
	v_add3_u32 v21, v9, v21, s21
	v_and_b32_e32 v21, 0xffff0000, v21
	v_cmp_o_f32_e32 vcc, v9, v9
	v_cndmask_b32_e32 v9, v15, v21, vcc
	v_and_b32_e32 v5, 0xffff0000, v5
	v_mul_f32_e32 v5, v9, v5
	v_bfe_u32 v9, v5, 16, 1
	v_add3_u32 v9, v5, v9, s21
	v_and_b32_e32 v9, 0xffff0000, v9
	v_cmp_o_f32_e32 vcc, v5, v5
	v_cndmask_b32_e32 v5, v15, v9, vcc
	v_div_scale_f32 v9, s[8:9], v8, v8, v5
	v_rcp_f32_e32 v21, v9
	v_fma_f32 v22, -v9, v21, 1.0
	v_fmac_f32_e32 v21, v22, v21
	v_div_scale_f32 v22, vcc, v5, v8, v5
	v_mul_f32_e32 v23, v22, v21
	v_fma_f32 v24, -v9, v23, v22
	v_fmac_f32_e32 v23, v24, v21
	v_fma_f32 v9, -v9, v23, v22
	v_div_fmas_f32 v9, v9, v21, v23
	v_div_fixup_f32 v5, v9, v8, v5
	v_min_f32_e32 v5, 0x43e00000, v5
	v_max_f32_e32 v5, 0xc3e00000, v5
	v_and_b32_e32 v8, 0x7fffffff, v5
	v_cmp_gt_u32_e32 vcc, s22, v8
	s_and_saveexec_b64 s[8:9], vcc
	s_cbranch_execz .LBB78_61
; %bb.159:                              ;   in Loop: Header=BB78_65 Depth=1
	v_cmp_lt_u32_e32 vcc, s23, v8
                                        ; implicit-def: $vgpr19
	s_and_saveexec_b64 s[12:13], vcc
	s_xor_b64 s[12:13], exec, s[12:13]
; %bb.160:                              ;   in Loop: Header=BB78_65 Depth=1
	v_bfe_u32 v8, v5, 20, 1
	v_add3_u32 v8, v5, v8, s24
	v_lshrrev_b32_e32 v19, 20, v8
; %bb.161:                              ;   in Loop: Header=BB78_65 Depth=1
	s_andn2_saveexec_b64 s[12:13], s[12:13]
	s_cbranch_execz .LBB78_60
; %bb.162:                              ;   in Loop: Header=BB78_65 Depth=1
	v_add_f32_e64 v19, |v5|, s25
	s_branch .LBB78_60
.LBB78_163:
	s_endpgm
.LBB78_164:
                                        ; implicit-def: $vgpr4_vgpr5
	s_andn2_b64 vcc, exec, s[24:25]
	s_cbranch_vccz .LBB78_53
	s_branch .LBB78_54
.LBB78_165:
                                        ; implicit-def: $vgpr2_vgpr3
	s_andn2_b64 vcc, exec, s[16:17]
	s_cbranch_vccz .LBB78_58
	s_branch .LBB78_59
	.section	.rodata,"a",@progbits
	.p2align	6, 0x0
	.amdhsa_kernel _ZN4vllm31rms_norm_per_block_quant_kernelIN3c108BFloat16ENS1_13Float8_e4m3fnELb1ELb1ELi64EEEvPT0_PfPKT_S9_PKffiiPS7_l
		.amdhsa_group_segment_fixed_size 4164
		.amdhsa_private_segment_fixed_size 0
		.amdhsa_kernarg_size 328
		.amdhsa_user_sgpr_count 6
		.amdhsa_user_sgpr_private_segment_buffer 1
		.amdhsa_user_sgpr_dispatch_ptr 0
		.amdhsa_user_sgpr_queue_ptr 0
		.amdhsa_user_sgpr_kernarg_segment_ptr 1
		.amdhsa_user_sgpr_dispatch_id 0
		.amdhsa_user_sgpr_flat_scratch_init 0
		.amdhsa_user_sgpr_kernarg_preload_length 0
		.amdhsa_user_sgpr_kernarg_preload_offset 0
		.amdhsa_user_sgpr_private_segment_size 0
		.amdhsa_uses_dynamic_stack 0
		.amdhsa_system_sgpr_private_segment_wavefront_offset 0
		.amdhsa_system_sgpr_workgroup_id_x 1
		.amdhsa_system_sgpr_workgroup_id_y 0
		.amdhsa_system_sgpr_workgroup_id_z 0
		.amdhsa_system_sgpr_workgroup_info 0
		.amdhsa_system_vgpr_workitem_id 0
		.amdhsa_next_free_vgpr 55
		.amdhsa_next_free_sgpr 50
		.amdhsa_accum_offset 56
		.amdhsa_reserve_vcc 1
		.amdhsa_reserve_flat_scratch 0
		.amdhsa_float_round_mode_32 0
		.amdhsa_float_round_mode_16_64 0
		.amdhsa_float_denorm_mode_32 3
		.amdhsa_float_denorm_mode_16_64 3
		.amdhsa_dx10_clamp 1
		.amdhsa_ieee_mode 1
		.amdhsa_fp16_overflow 0
		.amdhsa_tg_split 0
		.amdhsa_exception_fp_ieee_invalid_op 0
		.amdhsa_exception_fp_denorm_src 0
		.amdhsa_exception_fp_ieee_div_zero 0
		.amdhsa_exception_fp_ieee_overflow 0
		.amdhsa_exception_fp_ieee_underflow 0
		.amdhsa_exception_fp_ieee_inexact 0
		.amdhsa_exception_int_div_zero 0
	.end_amdhsa_kernel
	.section	.text._ZN4vllm31rms_norm_per_block_quant_kernelIN3c108BFloat16ENS1_13Float8_e4m3fnELb1ELb1ELi64EEEvPT0_PfPKT_S9_PKffiiPS7_l,"axG",@progbits,_ZN4vllm31rms_norm_per_block_quant_kernelIN3c108BFloat16ENS1_13Float8_e4m3fnELb1ELb1ELi64EEEvPT0_PfPKT_S9_PKffiiPS7_l,comdat
.Lfunc_end78:
	.size	_ZN4vllm31rms_norm_per_block_quant_kernelIN3c108BFloat16ENS1_13Float8_e4m3fnELb1ELb1ELi64EEEvPT0_PfPKT_S9_PKffiiPS7_l, .Lfunc_end78-_ZN4vllm31rms_norm_per_block_quant_kernelIN3c108BFloat16ENS1_13Float8_e4m3fnELb1ELb1ELi64EEEvPT0_PfPKT_S9_PKffiiPS7_l
                                        ; -- End function
	.section	.AMDGPU.csdata,"",@progbits
; Kernel info:
; codeLenInByte = 14048
; NumSgprs: 54
; NumVgprs: 55
; NumAgprs: 0
; TotalNumVgprs: 55
; ScratchSize: 0
; MemoryBound: 0
; FloatMode: 240
; IeeeMode: 1
; LDSByteSize: 4164 bytes/workgroup (compile time only)
; SGPRBlocks: 6
; VGPRBlocks: 6
; NumSGPRsForWavesPerEU: 54
; NumVGPRsForWavesPerEU: 55
; AccumOffset: 56
; Occupancy: 8
; WaveLimiterHint : 0
; COMPUTE_PGM_RSRC2:SCRATCH_EN: 0
; COMPUTE_PGM_RSRC2:USER_SGPR: 6
; COMPUTE_PGM_RSRC2:TRAP_HANDLER: 0
; COMPUTE_PGM_RSRC2:TGID_X_EN: 1
; COMPUTE_PGM_RSRC2:TGID_Y_EN: 0
; COMPUTE_PGM_RSRC2:TGID_Z_EN: 0
; COMPUTE_PGM_RSRC2:TIDIG_COMP_CNT: 0
; COMPUTE_PGM_RSRC3_GFX90A:ACCUM_OFFSET: 13
; COMPUTE_PGM_RSRC3_GFX90A:TG_SPLIT: 0
	.section	.text._ZN4vllm31rms_norm_per_block_quant_kernelIN3c108BFloat16ENS1_15Float8_e4m3fnuzELb1ELb1ELi64EEEvPT0_PfPKT_S9_PKffiiPS7_l,"axG",@progbits,_ZN4vllm31rms_norm_per_block_quant_kernelIN3c108BFloat16ENS1_15Float8_e4m3fnuzELb1ELb1ELi64EEEvPT0_PfPKT_S9_PKffiiPS7_l,comdat
	.protected	_ZN4vllm31rms_norm_per_block_quant_kernelIN3c108BFloat16ENS1_15Float8_e4m3fnuzELb1ELb1ELi64EEEvPT0_PfPKT_S9_PKffiiPS7_l ; -- Begin function _ZN4vllm31rms_norm_per_block_quant_kernelIN3c108BFloat16ENS1_15Float8_e4m3fnuzELb1ELb1ELi64EEEvPT0_PfPKT_S9_PKffiiPS7_l
	.globl	_ZN4vllm31rms_norm_per_block_quant_kernelIN3c108BFloat16ENS1_15Float8_e4m3fnuzELb1ELb1ELi64EEEvPT0_PfPKT_S9_PKffiiPS7_l
	.p2align	8
	.type	_ZN4vllm31rms_norm_per_block_quant_kernelIN3c108BFloat16ENS1_15Float8_e4m3fnuzELb1ELb1ELi64EEEvPT0_PfPKT_S9_PKffiiPS7_l,@function
_ZN4vllm31rms_norm_per_block_quant_kernelIN3c108BFloat16ENS1_15Float8_e4m3fnuzELb1ELb1ELi64EEEvPT0_PfPKT_S9_PKffiiPS7_l: ; @_ZN4vllm31rms_norm_per_block_quant_kernelIN3c108BFloat16ENS1_15Float8_e4m3fnuzELb1ELb1ELi64EEEvPT0_PfPKT_S9_PKffiiPS7_l
; %bb.0:
	s_load_dwordx4 s[8:11], s[4:5], 0x28
	s_load_dwordx8 s[12:19], s[4:5], 0x0
	s_load_dwordx2 s[34:35], s[4:5], 0x38
	s_load_dword s49, s[4:5], 0x48
	s_mov_b32 s7, 0
	s_waitcnt lgkmcnt(0)
	s_ashr_i32 s0, s10, 31
	s_mul_hi_u32 s1, s10, s6
	s_mul_i32 s0, s0, s6
	s_ashr_i32 s23, s9, 31
	s_add_i32 s1, s1, s0
	s_mul_i32 s0, s10, s6
	s_mul_hi_u32 s2, s9, s6
	s_mul_i32 s3, s23, s6
	s_add_i32 s21, s2, s3
	s_lshl_b64 s[30:31], s[0:1], 1
	s_mul_i32 s20, s9, s6
	s_add_u32 s33, s16, s30
	s_addc_u32 s46, s17, s31
	s_lshl_b64 s[36:37], s[20:21], 1
	s_add_u32 s47, s34, s36
	s_addc_u32 s48, s35, s37
	s_ashr_i32 s10, s9, 2
	s_add_u32 s26, s4, 0x48
	s_mov_b32 s22, s9
	v_cmp_gt_u32_e64 s[0:1], s10, v0
	s_addc_u32 s27, s5, 0
	v_mov_b32_e32 v1, 0
	s_and_saveexec_b64 s[2:3], s[0:1]
	s_cbranch_execz .LBB79_10
; %bb.1:
	s_cmp_lt_u32 s6, s49
	s_cselect_b32 s9, 12, 18
	s_add_u32 s24, s26, s9
	s_addc_u32 s25, s27, 0
	v_mov_b32_e32 v3, 0
	global_load_ushort v8, v3, s[24:25]
	s_mov_b64 s[24:25], 0
	v_mov_b32_e32 v9, s46
	v_mov_b32_e32 v10, s48
	;; [unrolled: 1-line block ×3, first 2 shown]
                                        ; implicit-def: $sgpr28_sgpr29
	s_waitcnt vmcnt(0)
	v_add_u32_e32 v1, v8, v8
	v_mul_lo_u32 v11, v8, 3
	v_lshlrev_b32_e32 v12, 1, v8
	v_add_u32_e32 v13, v1, v8
	v_mov_b32_e32 v1, v3
	s_branch .LBB79_5
.LBB79_2:                               ;   in Loop: Header=BB79_5 Depth=1
	s_or_b64 exec, exec, s[42:43]
	s_orn2_b64 s[42:43], s[44:45], exec
.LBB79_3:                               ;   in Loop: Header=BB79_5 Depth=1
	s_or_b64 exec, exec, s[40:41]
	s_andn2_b64 s[28:29], s[28:29], exec
	s_and_b64 s[40:41], s[42:43], exec
	s_or_b64 s[28:29], s[28:29], s[40:41]
.LBB79_4:                               ;   in Loop: Header=BB79_5 Depth=1
	s_or_b64 exec, exec, s[38:39]
	s_and_b64 s[38:39], exec, s[28:29]
	s_or_b64 s[24:25], s[38:39], s[24:25]
	s_andn2_b64 exec, exec, s[24:25]
	s_cbranch_execz .LBB79_9
.LBB79_5:                               ; =>This Inner Loop Header: Depth=1
	v_lshlrev_b64 v[4:5], 3, v[2:3]
	v_add_co_u32_e32 v6, vcc, s33, v4
	v_addc_co_u32_e32 v7, vcc, v9, v5, vcc
	v_add_co_u32_e32 v4, vcc, s47, v4
	v_addc_co_u32_e32 v5, vcc, v10, v5, vcc
	global_load_dwordx2 v[6:7], v[6:7], off
	s_or_b64 s[28:29], s[28:29], exec
	global_load_dwordx2 v[14:15], v[4:5], off
	v_add_u32_e32 v4, v2, v8
	v_cmp_gt_u32_e32 vcc, s10, v4
	s_waitcnt vmcnt(1)
	v_lshlrev_b32_e32 v16, 16, v6
	v_and_b32_e32 v5, 0xffff0000, v6
	s_waitcnt vmcnt(0)
	v_lshlrev_b32_e32 v18, 16, v14
	v_alignbit_b32 v6, v7, v6, 16
	v_and_b32_e32 v17, 0xffff0000, v14
	v_alignbit_b32 v14, v15, v14, 16
	v_add_f32_e32 v16, v16, v18
	v_and_b32_e32 v6, 0xffff0000, v6
	v_add_f32_e32 v5, v5, v17
	v_and_b32_e32 v14, 0xffff0000, v14
	v_fmac_f32_e32 v1, v16, v16
	v_and_b32_e32 v7, 0xffff0000, v7
	v_and_b32_e32 v15, 0xffff0000, v15
	v_add_f32_e32 v6, v6, v14
	v_fmac_f32_e32 v1, v5, v5
	v_add_f32_e32 v7, v7, v15
	v_fmac_f32_e32 v1, v6, v6
	v_fmac_f32_e32 v1, v7, v7
	s_and_saveexec_b64 s[38:39], vcc
	s_cbranch_execz .LBB79_4
; %bb.6:                                ;   in Loop: Header=BB79_5 Depth=1
	v_mov_b32_e32 v5, v3
	v_lshlrev_b64 v[6:7], 3, v[4:5]
	v_add_co_u32_e32 v14, vcc, s33, v6
	v_addc_co_u32_e32 v15, vcc, v9, v7, vcc
	v_add_co_u32_e32 v6, vcc, s47, v6
	v_addc_co_u32_e32 v7, vcc, v10, v7, vcc
	global_load_dwordx2 v[14:15], v[14:15], off
	s_mov_b64 s[42:43], -1
	global_load_dwordx2 v[16:17], v[6:7], off
	v_add_u32_e32 v6, v12, v2
	v_cmp_gt_u32_e32 vcc, s10, v6
	s_waitcnt vmcnt(1)
	v_lshlrev_b32_e32 v7, 16, v14
	v_and_b32_e32 v5, 0xffff0000, v14
	s_waitcnt vmcnt(0)
	v_lshlrev_b32_e32 v19, 16, v16
	v_alignbit_b32 v14, v15, v14, 16
	v_and_b32_e32 v18, 0xffff0000, v16
	v_alignbit_b32 v16, v17, v16, 16
	v_add_f32_e32 v7, v7, v19
	v_and_b32_e32 v14, 0xffff0000, v14
	v_add_f32_e32 v5, v5, v18
	v_and_b32_e32 v16, 0xffff0000, v16
	v_fmac_f32_e32 v1, v7, v7
	v_and_b32_e32 v15, 0xffff0000, v15
	v_and_b32_e32 v17, 0xffff0000, v17
	v_add_f32_e32 v14, v14, v16
	v_fmac_f32_e32 v1, v5, v5
	v_add_f32_e32 v15, v15, v17
	v_fmac_f32_e32 v1, v14, v14
	v_fmac_f32_e32 v1, v15, v15
	s_and_saveexec_b64 s[40:41], vcc
	s_cbranch_execz .LBB79_3
; %bb.7:                                ;   in Loop: Header=BB79_5 Depth=1
	v_mov_b32_e32 v7, v3
	v_lshlrev_b64 v[6:7], 3, v[6:7]
	v_add_co_u32_e32 v14, vcc, s33, v6
	v_addc_co_u32_e32 v15, vcc, v9, v7, vcc
	v_add_co_u32_e32 v6, vcc, s47, v6
	v_addc_co_u32_e32 v7, vcc, v10, v7, vcc
	global_load_dwordx2 v[14:15], v[14:15], off
	v_add_u32_e32 v2, v11, v2
	global_load_dwordx2 v[6:7], v[6:7], off
	v_cmp_gt_u32_e32 vcc, s10, v2
	s_mov_b64 s[44:45], -1
	s_waitcnt vmcnt(1)
	v_lshlrev_b32_e32 v16, 16, v14
	v_and_b32_e32 v5, 0xffff0000, v14
	s_waitcnt vmcnt(0)
	v_lshlrev_b32_e32 v18, 16, v6
	v_alignbit_b32 v14, v15, v14, 16
	v_and_b32_e32 v17, 0xffff0000, v6
	v_alignbit_b32 v6, v7, v6, 16
	v_add_f32_e32 v16, v16, v18
	v_and_b32_e32 v14, 0xffff0000, v14
	v_add_f32_e32 v5, v5, v17
	v_and_b32_e32 v6, 0xffff0000, v6
	v_fmac_f32_e32 v1, v16, v16
	v_and_b32_e32 v15, 0xffff0000, v15
	v_and_b32_e32 v7, 0xffff0000, v7
	v_add_f32_e32 v6, v14, v6
	v_fmac_f32_e32 v1, v5, v5
	v_add_f32_e32 v7, v15, v7
	v_fmac_f32_e32 v1, v6, v6
	v_fmac_f32_e32 v1, v7, v7
	s_and_saveexec_b64 s[42:43], vcc
	s_xor_b64 s[42:43], exec, s[42:43]
	s_cbranch_execz .LBB79_2
; %bb.8:                                ;   in Loop: Header=BB79_5 Depth=1
	v_lshlrev_b64 v[6:7], 3, v[2:3]
	v_mov_b32_e32 v2, s46
	v_add_co_u32_e32 v14, vcc, s33, v6
	v_addc_co_u32_e32 v15, vcc, v2, v7, vcc
	v_mov_b32_e32 v2, s48
	v_add_co_u32_e32 v6, vcc, s47, v6
	v_addc_co_u32_e32 v7, vcc, v2, v7, vcc
	global_load_dwordx2 v[14:15], v[14:15], off
	v_add_u32_e32 v2, v13, v4
	global_load_dwordx2 v[6:7], v[6:7], off
	v_cmp_le_u32_e32 vcc, s10, v2
	s_orn2_b64 s[44:45], vcc, exec
	s_waitcnt vmcnt(1)
	v_lshlrev_b32_e32 v5, 16, v14
	v_and_b32_e32 v4, 0xffff0000, v14
	s_waitcnt vmcnt(0)
	v_lshlrev_b32_e32 v17, 16, v6
	v_alignbit_b32 v14, v15, v14, 16
	v_and_b32_e32 v16, 0xffff0000, v6
	v_alignbit_b32 v6, v7, v6, 16
	v_add_f32_e32 v5, v5, v17
	v_and_b32_e32 v14, 0xffff0000, v14
	v_add_f32_e32 v4, v4, v16
	v_and_b32_e32 v6, 0xffff0000, v6
	v_fmac_f32_e32 v1, v5, v5
	v_and_b32_e32 v15, 0xffff0000, v15
	v_and_b32_e32 v7, 0xffff0000, v7
	v_add_f32_e32 v6, v14, v6
	v_fmac_f32_e32 v1, v4, v4
	v_add_f32_e32 v7, v15, v7
	v_fmac_f32_e32 v1, v6, v6
	v_fmac_f32_e32 v1, v7, v7
	s_branch .LBB79_2
.LBB79_9:
	s_or_b64 exec, exec, s[24:25]
.LBB79_10:
	s_or_b64 exec, exec, s[2:3]
	v_mbcnt_lo_u32_b32 v2, -1, 0
	v_mbcnt_hi_u32_b32 v2, -1, v2
	v_and_b32_e32 v3, 63, v2
	v_cmp_ne_u32_e32 vcc, 63, v3
	s_load_dword s2, s[26:27], 0xc
	v_addc_co_u32_e32 v4, vcc, 0, v2, vcc
	v_lshlrev_b32_e32 v4, 2, v4
	ds_bpermute_b32 v4, v4, v1
	s_waitcnt lgkmcnt(0)
	s_and_b32 s9, s2, 0xffff
	v_and_b32_e32 v5, 0x3c0, v0
	v_sub_u32_e64 v5, s9, v5 clamp
	v_add_u32_e32 v6, 1, v2
	v_add_f32_e32 v4, v1, v4
	v_cmp_lt_u32_e32 vcc, v6, v5
	v_cndmask_b32_e32 v1, v1, v4, vcc
	v_cmp_gt_u32_e32 vcc, 62, v3
	v_cndmask_b32_e64 v4, 0, 1, vcc
	v_lshlrev_b32_e32 v4, 1, v4
	v_add_lshl_u32 v4, v4, v2, 2
	ds_bpermute_b32 v4, v4, v1
	v_add_u32_e32 v6, 2, v2
	v_cmp_lt_u32_e32 vcc, v6, v5
	v_add_u32_e32 v6, 4, v2
	s_waitcnt lgkmcnt(0)
	v_add_f32_e32 v4, v1, v4
	v_cndmask_b32_e32 v1, v1, v4, vcc
	v_cmp_gt_u32_e32 vcc, 60, v3
	v_cndmask_b32_e64 v4, 0, 1, vcc
	v_lshlrev_b32_e32 v4, 2, v4
	v_add_lshl_u32 v4, v4, v2, 2
	ds_bpermute_b32 v4, v4, v1
	v_cmp_lt_u32_e32 vcc, v6, v5
	v_add_u32_e32 v6, 8, v2
	s_waitcnt lgkmcnt(0)
	v_add_f32_e32 v4, v1, v4
	v_cndmask_b32_e32 v1, v1, v4, vcc
	v_cmp_gt_u32_e32 vcc, 56, v3
	v_cndmask_b32_e64 v4, 0, 1, vcc
	v_lshlrev_b32_e32 v4, 3, v4
	v_add_lshl_u32 v4, v4, v2, 2
	ds_bpermute_b32 v4, v4, v1
	;; [unrolled: 10-line block ×3, first 2 shown]
	v_cmp_lt_u32_e32 vcc, v6, v5
	s_waitcnt lgkmcnt(0)
	v_add_f32_e32 v4, v1, v4
	v_cndmask_b32_e32 v1, v1, v4, vcc
	v_cmp_gt_u32_e32 vcc, 32, v3
	v_cndmask_b32_e64 v3, 0, 1, vcc
	v_lshlrev_b32_e32 v3, 5, v3
	v_add_lshl_u32 v3, v3, v2, 2
	ds_bpermute_b32 v3, v3, v1
	v_add_u32_e32 v4, 32, v2
	v_cmp_lt_u32_e32 vcc, v4, v5
	s_waitcnt lgkmcnt(0)
	v_add_f32_e32 v3, v1, v3
	v_cndmask_b32_e32 v1, v1, v3, vcc
	v_cmp_eq_u32_e32 vcc, 0, v2
	s_and_saveexec_b64 s[2:3], vcc
	s_cbranch_execz .LBB79_12
; %bb.11:
	v_lshrrev_b32_e32 v3, 4, v0
	v_and_b32_e32 v3, 60, v3
	ds_write_b32 v3, v1 offset:4096
.LBB79_12:
	s_or_b64 exec, exec, s[2:3]
	v_cmp_gt_u32_e32 vcc, 16, v0
	s_waitcnt lgkmcnt(0)
	s_barrier
	s_and_saveexec_b64 s[24:25], vcc
	s_cbranch_execz .LBB79_14
; %bb.13:
	v_lshlrev_b32_e32 v1, 2, v2
	ds_read_b32 v1, v1 offset:4096
	v_and_b32_e32 v3, 15, v2
	v_cmp_ne_u32_e32 vcc, 15, v3
	v_addc_co_u32_e32 v4, vcc, 0, v2, vcc
	v_lshlrev_b32_e32 v4, 2, v4
	s_waitcnt lgkmcnt(0)
	ds_bpermute_b32 v4, v4, v1
	s_add_i32 s9, s9, 63
	s_lshr_b32 s9, s9, 6
	v_add_u32_e32 v5, 1, v3
	v_cmp_gt_u32_e64 s[2:3], 14, v3
	v_cmp_gt_u32_e32 vcc, s9, v5
	v_cndmask_b32_e64 v5, 0, 1, s[2:3]
	s_waitcnt lgkmcnt(0)
	v_add_f32_e32 v4, v1, v4
	v_lshlrev_b32_e32 v5, 1, v5
	v_cndmask_b32_e32 v4, v1, v4, vcc
	v_add_lshl_u32 v5, v5, v2, 2
	ds_bpermute_b32 v5, v5, v4
	v_add_u32_e32 v6, 2, v3
	v_cmp_gt_u32_e64 s[2:3], s9, v6
	v_add_u32_e32 v6, 4, v3
	s_waitcnt lgkmcnt(0)
	v_add_f32_e32 v5, v4, v5
	v_cndmask_b32_e64 v4, v4, v5, s[2:3]
	v_cmp_gt_u32_e64 s[2:3], 12, v3
	v_cndmask_b32_e64 v5, 0, 1, s[2:3]
	v_lshlrev_b32_e32 v5, 2, v5
	v_add_lshl_u32 v5, v5, v2, 2
	ds_bpermute_b32 v5, v5, v4
	v_cmp_gt_u32_e64 s[2:3], s9, v6
	s_waitcnt lgkmcnt(0)
	v_add_f32_e32 v5, v4, v5
	v_cndmask_b32_e64 v4, v4, v5, s[2:3]
	v_cmp_gt_u32_e64 s[2:3], 8, v3
	v_cndmask_b32_e64 v5, 0, 1, s[2:3]
	v_lshlrev_b32_e32 v5, 3, v5
	v_add_lshl_u32 v2, v5, v2, 2
	ds_bpermute_b32 v2, v2, v4
	v_add_u32_e32 v3, 8, v3
	v_cmp_gt_u32_e64 s[2:3], s9, v3
	s_waitcnt lgkmcnt(0)
	v_add_f32_e32 v2, v4, v2
	v_cndmask_b32_e64 v2, v4, v2, s[2:3]
	v_cndmask_b32_e32 v1, v1, v2, vcc
.LBB79_14:
	s_or_b64 exec, exec, s[24:25]
	v_cmp_eq_u32_e32 vcc, 0, v0
	s_and_saveexec_b64 s[2:3], vcc
	s_cbranch_execz .LBB79_16
; %bb.15:
	v_cvt_f32_i32_e32 v2, s22
	s_mov_b32 s9, 0x800000
	v_div_scale_f32 v3, s[24:25], v2, v2, v1
	v_rcp_f32_e32 v4, v3
	v_div_scale_f32 v5, vcc, v1, v2, v1
	v_fma_f32 v6, -v3, v4, 1.0
	v_fmac_f32_e32 v4, v6, v4
	v_mul_f32_e32 v6, v5, v4
	v_fma_f32 v7, -v3, v6, v5
	v_fmac_f32_e32 v6, v7, v4
	v_fma_f32 v3, -v3, v6, v5
	v_div_fmas_f32 v3, v3, v4, v6
	v_div_fixup_f32 v1, v3, v2, v1
	v_add_f32_e32 v1, s8, v1
	v_mul_f32_e32 v2, 0x4b800000, v1
	v_cmp_gt_f32_e32 vcc, s9, v1
	v_cndmask_b32_e32 v1, v1, v2, vcc
	v_rsq_f32_e32 v1, v1
	v_mul_f32_e32 v2, 0x45800000, v1
	v_cndmask_b32_e32 v1, v1, v2, vcc
	v_mov_b32_e32 v2, 0
	ds_write_b32 v2, v1 offset:4160
.LBB79_16:
	s_or_b64 exec, exec, s[2:3]
	s_ashr_i32 s2, s22, 31
	s_lshr_b32 s2, s2, 26
	s_add_i32 s8, s22, s2
	s_ashr_i32 s24, s8, 6
	s_cmp_lt_u32 s6, s49
	s_cselect_b32 s2, 12, 18
	s_add_u32 s2, s26, s2
	v_mov_b32_e32 v5, 0
	s_addc_u32 s3, s27, 0
	s_waitcnt lgkmcnt(0)
	s_barrier
	global_load_ushort v1, v5, s[2:3]
	ds_read_b32 v37, v5 offset:4160
	s_abs_i32 s2, s24
	v_cvt_f32_u32_e32 v2, s2
	s_ashr_i32 s3, s8, 31
	s_sub_i32 s8, 0, s2
	v_mov_b32_e32 v10, s10
	v_rcp_iflag_f32_e32 v2, v2
	v_mul_f32_e32 v2, 0x4f7ffffe, v2
	v_cvt_u32_f32_e32 v2, v2
	v_readfirstlane_b32 s9, v2
	s_mul_i32 s8, s8, s9
	s_mul_hi_u32 s8, s9, s8
	s_add_i32 s9, s9, s8
	s_waitcnt vmcnt(0)
	v_readfirstlane_b32 s44, v1
	s_mul_hi_u32 s8, s44, s9
	s_mul_i32 s9, s8, s2
	s_sub_i32 s9, s44, s9
	s_add_i32 s11, s8, 1
	s_sub_i32 s25, s9, s2
	s_cmp_ge_u32 s9, s2
	s_cselect_b32 s8, s11, s8
	s_cselect_b32 s9, s25, s9
	s_add_i32 s11, s8, 1
	s_cmp_ge_u32 s9, s2
	s_cselect_b32 s2, s11, s8
	s_xor_b32 s2, s2, s3
	s_sub_i32 s26, s2, s3
	s_abs_i32 s2, s26
	v_cvt_f32_u32_e32 v1, s2
	s_sub_i32 s3, 0, s2
	s_ashr_i32 s27, s26, 31
	s_ashr_i32 s11, s10, 31
	v_rcp_iflag_f32_e32 v1, v1
	v_mov_b32_e32 v11, s11
	v_mul_f32_e32 v1, 0x4f7ffffe, v1
	v_cvt_u32_f32_e32 v1, v1
	v_mul_lo_u32 v2, s3, v1
	v_mul_hi_u32 v2, v1, v2
	v_add_u32_e32 v1, v1, v2
	v_mul_hi_u32 v1, v0, v1
	v_mul_lo_u32 v2, v1, s2
	v_sub_u32_e32 v2, v0, v2
	v_add_u32_e32 v3, 1, v1
	v_cmp_le_u32_e32 vcc, s2, v2
	v_cndmask_b32_e32 v1, v1, v3, vcc
	v_subrev_u32_e32 v3, s2, v2
	v_cndmask_b32_e32 v2, v2, v3, vcc
	v_add_u32_e32 v3, 1, v1
	v_cmp_le_u32_e32 vcc, s2, v2
	v_cndmask_b32_e32 v1, v1, v3, vcc
	v_xor_b32_e32 v1, s27, v1
	v_subrev_u32_e32 v2, s27, v1
	v_mul_lo_u32 v1, v2, s26
	v_ashrrev_i32_e32 v3, 31, v2
	v_sub_u32_e32 v4, v0, v1
	v_lshlrev_b64 v[8:9], 4, v[2:3]
	v_add_co_u32_e32 v6, vcc, v8, v4
	v_addc_co_u32_e32 v7, vcc, 0, v9, vcc
	v_add_co_u32_e32 v8, vcc, 16, v8
	v_addc_co_u32_e32 v9, vcc, 0, v9, vcc
	v_cmp_gt_i64_e32 vcc, s[10:11], v[8:9]
	v_cndmask_b32_e32 v8, v10, v8, vcc
	v_cndmask_b32_e32 v9, v11, v9, vcc
	v_ashrrev_i32_e32 v11, 31, v8
	v_mov_b32_e32 v10, v8
	v_cmp_lt_i64_e32 vcc, v[6:7], v[10:11]
	s_and_saveexec_b64 s[28:29], vcc
	s_cbranch_execz .LBB79_26
; %bb.17:
	v_lshlrev_b64 v[30:31], 7, v[2:3]
	s_mul_i32 s25, s26, 24
	v_lshlrev_b64 v[12:13], 3, v[4:5]
	v_mov_b32_e32 v1, s31
	v_add_co_u32_e32 v5, vcc, s30, v30
	s_mul_hi_i32 s11, s26, 24
	s_add_u32 s2, s16, s25
	v_addc_co_u32_e32 v19, vcc, v1, v31, vcc
	s_addc_u32 s3, s17, s11
	v_mov_b32_e32 v1, s3
	v_add_co_u32_e32 v14, vcc, s2, v5
	s_lshl_b64 s[30:31], s[26:27], 5
	s_lshl_b64 s[2:3], s[26:27], 4
	s_add_u32 s8, s16, s2
	v_addc_co_u32_e32 v1, vcc, v1, v19, vcc
	s_addc_u32 s9, s17, s3
	v_mov_b32_e32 v15, s9
	v_add_co_u32_e32 v16, vcc, s8, v5
	s_lshl_b64 s[8:9], s[26:27], 3
	s_add_u32 s38, s16, s8
	v_addc_co_u32_e32 v15, vcc, v15, v19, vcc
	s_addc_u32 s39, s17, s9
	v_mov_b32_e32 v17, s39
	v_add_co_u32_e32 v18, vcc, s38, v5
	v_addc_co_u32_e32 v17, vcc, v17, v19, vcc
	v_mov_b32_e32 v21, s17
	v_add_co_u32_e32 v20, vcc, s16, v5
	s_add_u32 s16, s18, s25
	v_addc_co_u32_e32 v19, vcc, v21, v19, vcc
	s_addc_u32 s17, s19, s11
	v_mov_b32_e32 v5, s17
	v_add_co_u32_e32 v22, vcc, s16, v30
	s_add_u32 s16, s18, s2
	v_addc_co_u32_e32 v21, vcc, v5, v31, vcc
	s_addc_u32 s17, s19, s3
	;; [unrolled: 5-line block ×3, first 2 shown]
	v_mov_b32_e32 v5, s17
	v_add_co_u32_e32 v26, vcc, s16, v30
	v_addc_co_u32_e32 v25, vcc, v5, v31, vcc
	v_mov_b32_e32 v5, s19
	v_add_co_u32_e32 v28, vcc, s18, v30
	v_addc_co_u32_e32 v27, vcc, v5, v31, vcc
	v_mov_b32_e32 v5, s37
	v_add_co_u32_e32 v35, vcc, s36, v30
	s_add_u32 s16, s34, s25
	v_addc_co_u32_e32 v5, vcc, v5, v31, vcc
	s_addc_u32 s11, s35, s11
	v_mov_b32_e32 v29, s11
	v_add_co_u32_e32 v30, vcc, s16, v35
	s_add_u32 s2, s34, s2
	v_addc_co_u32_e32 v29, vcc, v29, v5, vcc
	s_addc_u32 s3, s35, s3
	;; [unrolled: 5-line block ×3, first 2 shown]
	v_mov_b32_e32 v33, s3
	v_add_co_u32_e32 v34, vcc, s2, v35
	v_addc_co_u32_e32 v33, vcc, v33, v5, vcc
	v_mov_b32_e32 v38, s35
	v_add_co_u32_e32 v36, vcc, s34, v35
	v_addc_co_u32_e32 v35, vcc, v38, v5, vcc
	s_mul_hi_i32 s11, s26, 3
	s_mul_i32 s25, s26, 3
	s_lshl_b64 s[34:35], s[26:27], 1
	s_mov_b64 s[16:17], 0
	v_mov_b32_e32 v5, 0
	s_movk_i32 s45, 0x7fff
	v_mov_b32_e32 v42, 0x7fc00000
	v_pk_mov_b32 v[38:39], v[6:7], v[6:7] op_sel:[0,1]
                                        ; implicit-def: $sgpr36_sgpr37
	s_branch .LBB79_21
.LBB79_18:                              ;   in Loop: Header=BB79_21 Depth=1
	s_or_b64 exec, exec, s[42:43]
	s_orn2_b64 s[2:3], s[2:3], exec
.LBB79_19:                              ;   in Loop: Header=BB79_21 Depth=1
	s_or_b64 exec, exec, s[40:41]
	s_andn2_b64 s[8:9], s[36:37], exec
	s_and_b64 s[2:3], s[2:3], exec
	s_or_b64 s[36:37], s[8:9], s[2:3]
.LBB79_20:                              ;   in Loop: Header=BB79_21 Depth=1
	s_or_b64 exec, exec, s[38:39]
	s_and_b64 s[2:3], exec, s[36:37]
	s_or_b64 s[16:17], s[2:3], s[16:17]
	s_andn2_b64 exec, exec, s[16:17]
	s_cbranch_execz .LBB79_25
.LBB79_21:                              ; =>This Inner Loop Header: Depth=1
	v_add_co_u32_e32 v40, vcc, v20, v12
	v_addc_co_u32_e32 v41, vcc, v19, v13, vcc
	global_load_dwordx2 v[44:45], v[40:41], off
	v_add_co_u32_e32 v40, vcc, v28, v12
	v_addc_co_u32_e32 v41, vcc, v27, v13, vcc
	global_load_dwordx2 v[46:47], v[40:41], off
	;; [unrolled: 3-line block ×3, first 2 shown]
	v_mov_b32_e32 v41, s27
	v_add_co_u32_e32 v40, vcc, s26, v38
	v_addc_co_u32_e32 v41, vcc, v39, v41, vcc
	v_cmp_lt_i64_e32 vcc, v[40:41], v[10:11]
	s_or_b64 s[36:37], s[36:37], exec
	s_waitcnt vmcnt(2)
	v_and_b32_e32 v43, 0xffff0000, v44
	v_lshlrev_b32_e32 v51, 16, v44
	v_alignbit_b32 v44, v45, v44, 16
	v_and_b32_e32 v44, 0xffff0000, v44
	v_and_b32_e32 v45, 0xffff0000, v45
	s_waitcnt vmcnt(1)
	v_lshlrev_b32_e32 v54, 16, v46
	v_and_b32_e32 v50, 0xffff0000, v46
	v_alignbit_b32 v46, v47, v46, 16
	v_and_b32_e32 v47, 0xffff0000, v47
	v_and_b32_e32 v46, 0xffff0000, v46
	s_waitcnt vmcnt(0)
	v_and_b32_e32 v52, 0xffff0000, v48
	v_lshlrev_b32_e32 v53, 16, v48
	v_alignbit_b32 v48, v49, v48, 16
	v_add_f32_e32 v51, v51, v53
	v_and_b32_e32 v48, 0xffff0000, v48
	v_and_b32_e32 v49, 0xffff0000, v49
	v_add_f32_e32 v43, v43, v52
	v_add_f32_e32 v44, v44, v48
	s_waitcnt lgkmcnt(0)
	v_mul_f32_e32 v48, v37, v51
	v_add_f32_e32 v45, v45, v49
	v_mul_f32_e32 v43, v37, v43
	v_bfe_u32 v49, v48, 16, 1
	v_mul_f32_e32 v45, v37, v45
	v_bfe_u32 v51, v43, 16, 1
	v_add3_u32 v49, v48, v49, s45
	v_bfe_u32 v52, v45, 16, 1
	v_add3_u32 v51, v43, v51, s45
	v_and_b32_e32 v49, 0xffff0000, v49
	v_cmp_o_f32_e64 s[2:3], v48, v48
	v_mul_f32_e32 v44, v37, v44
	v_add3_u32 v52, v45, v52, s45
	v_and_b32_e32 v51, 0xffff0000, v51
	v_cndmask_b32_e64 v48, v42, v49, s[2:3]
	v_cmp_o_f32_e64 s[2:3], v43, v43
	v_bfe_u32 v53, v44, 16, 1
	v_and_b32_e32 v52, 0xffff0000, v52
	v_cndmask_b32_e64 v43, v42, v51, s[2:3]
	v_cmp_o_f32_e64 s[2:3], v45, v45
	v_add3_u32 v53, v44, v53, s45
	v_cndmask_b32_e64 v45, v42, v52, s[2:3]
	v_mul_f32_e32 v48, v48, v54
	v_and_b32_e32 v49, 0xffff0000, v53
	v_mul_f32_e32 v43, v43, v50
	v_cmp_o_f32_e64 s[2:3], v44, v44
	v_mul_f32_e32 v45, v45, v47
	v_bfe_u32 v47, v48, 16, 1
	v_cndmask_b32_e64 v44, v42, v49, s[2:3]
	v_bfe_u32 v49, v43, 16, 1
	v_add3_u32 v47, v48, v47, s45
	v_mul_f32_e32 v44, v44, v46
	v_bfe_u32 v46, v45, 16, 1
	v_add3_u32 v49, v43, v49, s45
	v_and_b32_e32 v47, 0xffff0000, v47
	v_cmp_o_f32_e64 s[2:3], v48, v48
	v_bfe_u32 v50, v44, 16, 1
	v_add3_u32 v46, v45, v46, s45
	v_and_b32_e32 v49, 0xffff0000, v49
	v_cndmask_b32_e64 v47, v42, |v47|, s[2:3]
	v_cmp_o_f32_e64 s[2:3], v43, v43
	v_add3_u32 v50, v44, v50, s45
	v_and_b32_e32 v46, 0xffff0000, v46
	v_cndmask_b32_e64 v43, v42, |v49|, s[2:3]
	v_cmp_o_f32_e64 s[2:3], v45, v45
	v_and_b32_e32 v48, 0xffff0000, v50
	v_cndmask_b32_e64 v45, v42, |v46|, s[2:3]
	v_cmp_o_f32_e64 s[2:3], v44, v44
	v_max3_f32 v5, v5, v47, v43
	v_cndmask_b32_e64 v43, v42, |v48|, s[2:3]
	v_max3_f32 v5, v5, v43, v45
	s_and_saveexec_b64 s[38:39], vcc
	s_cbranch_execz .LBB79_20
; %bb.22:                               ;   in Loop: Header=BB79_21 Depth=1
	v_add_co_u32_e32 v44, vcc, v18, v12
	v_addc_co_u32_e32 v45, vcc, v17, v13, vcc
	v_add_co_u32_e32 v46, vcc, v26, v12
	v_addc_co_u32_e32 v47, vcc, v25, v13, vcc
	v_add_co_u32_e32 v48, vcc, v34, v12
	v_addc_co_u32_e32 v49, vcc, v33, v13, vcc
	global_load_dwordx2 v[44:45], v[44:45], off
	v_mov_b32_e32 v43, s35
	global_load_dwordx2 v[48:49], v[48:49], off
	v_add_co_u32_e32 v50, vcc, s34, v38
	global_load_dwordx2 v[46:47], v[46:47], off
	v_addc_co_u32_e32 v51, vcc, v43, v39, vcc
	v_cmp_lt_i64_e32 vcc, v[50:51], v[10:11]
	s_waitcnt vmcnt(2)
	v_and_b32_e32 v43, 0xffff0000, v44
	v_lshlrev_b32_e32 v51, 16, v44
	v_alignbit_b32 v44, v45, v44, 16
	s_waitcnt vmcnt(1)
	v_and_b32_e32 v52, 0xffff0000, v48
	v_lshlrev_b32_e32 v53, 16, v48
	v_alignbit_b32 v48, v49, v48, 16
	v_and_b32_e32 v44, 0xffff0000, v44
	v_add_f32_e32 v51, v51, v53
	v_and_b32_e32 v48, 0xffff0000, v48
	v_and_b32_e32 v45, 0xffff0000, v45
	;; [unrolled: 1-line block ×3, first 2 shown]
	v_add_f32_e32 v43, v43, v52
	v_add_f32_e32 v44, v44, v48
	v_mul_f32_e32 v48, v37, v51
	v_add_f32_e32 v45, v45, v49
	v_mul_f32_e32 v43, v37, v43
	v_bfe_u32 v49, v48, 16, 1
	v_mul_f32_e32 v45, v37, v45
	v_bfe_u32 v51, v43, 16, 1
	v_add3_u32 v49, v48, v49, s45
	v_bfe_u32 v52, v45, 16, 1
	v_add3_u32 v51, v43, v51, s45
	v_and_b32_e32 v49, 0xffff0000, v49
	v_cmp_o_f32_e64 s[2:3], v48, v48
	v_mul_f32_e32 v44, v37, v44
	v_add3_u32 v52, v45, v52, s45
	v_and_b32_e32 v51, 0xffff0000, v51
	v_cndmask_b32_e64 v48, v42, v49, s[2:3]
	v_cmp_o_f32_e64 s[2:3], v43, v43
	s_waitcnt vmcnt(0)
	v_lshlrev_b32_e32 v54, 16, v46
	v_bfe_u32 v53, v44, 16, 1
	v_and_b32_e32 v52, 0xffff0000, v52
	v_cndmask_b32_e64 v43, v42, v51, s[2:3]
	v_cmp_o_f32_e64 s[2:3], v45, v45
	v_and_b32_e32 v50, 0xffff0000, v46
	v_alignbit_b32 v46, v47, v46, 16
	v_and_b32_e32 v47, 0xffff0000, v47
	v_add3_u32 v53, v44, v53, s45
	v_cndmask_b32_e64 v45, v42, v52, s[2:3]
	v_mul_f32_e32 v48, v48, v54
	v_and_b32_e32 v49, 0xffff0000, v53
	v_mul_f32_e32 v43, v43, v50
	v_cmp_o_f32_e64 s[2:3], v44, v44
	v_mul_f32_e32 v45, v45, v47
	v_bfe_u32 v47, v48, 16, 1
	v_and_b32_e32 v46, 0xffff0000, v46
	v_cndmask_b32_e64 v44, v42, v49, s[2:3]
	v_bfe_u32 v49, v43, 16, 1
	v_add3_u32 v47, v48, v47, s45
	v_mul_f32_e32 v44, v44, v46
	v_bfe_u32 v46, v45, 16, 1
	v_add3_u32 v49, v43, v49, s45
	v_and_b32_e32 v47, 0xffff0000, v47
	v_cmp_o_f32_e64 s[2:3], v48, v48
	v_bfe_u32 v50, v44, 16, 1
	v_add3_u32 v46, v45, v46, s45
	v_and_b32_e32 v49, 0xffff0000, v49
	v_cndmask_b32_e64 v47, v42, |v47|, s[2:3]
	v_cmp_o_f32_e64 s[2:3], v43, v43
	v_add3_u32 v50, v44, v50, s45
	v_and_b32_e32 v46, 0xffff0000, v46
	v_cndmask_b32_e64 v43, v42, |v49|, s[2:3]
	v_cmp_o_f32_e64 s[2:3], v45, v45
	v_and_b32_e32 v48, 0xffff0000, v50
	v_cndmask_b32_e64 v45, v42, |v46|, s[2:3]
	v_cmp_o_f32_e64 s[2:3], v44, v44
	v_max3_f32 v5, v5, v47, v43
	v_cndmask_b32_e64 v43, v42, |v48|, s[2:3]
	v_max3_f32 v5, v5, v43, v45
	s_mov_b64 s[2:3], -1
	s_and_saveexec_b64 s[40:41], vcc
	s_cbranch_execz .LBB79_19
; %bb.23:                               ;   in Loop: Header=BB79_21 Depth=1
	v_add_co_u32_e32 v44, vcc, v16, v12
	v_addc_co_u32_e32 v45, vcc, v15, v13, vcc
	v_add_co_u32_e32 v46, vcc, v24, v12
	v_addc_co_u32_e32 v47, vcc, v23, v13, vcc
	;; [unrolled: 2-line block ×3, first 2 shown]
	global_load_dwordx2 v[44:45], v[44:45], off
	v_mov_b32_e32 v43, s11
	global_load_dwordx2 v[48:49], v[48:49], off
	v_add_co_u32_e32 v38, vcc, s25, v38
	global_load_dwordx2 v[46:47], v[46:47], off
	v_addc_co_u32_e32 v39, vcc, v43, v39, vcc
	v_cmp_lt_i64_e32 vcc, v[38:39], v[10:11]
	s_waitcnt vmcnt(2)
	v_lshlrev_b32_e32 v43, 16, v44
	v_and_b32_e32 v38, 0xffff0000, v44
	s_waitcnt vmcnt(1)
	v_lshlrev_b32_e32 v51, 16, v48
	v_alignbit_b32 v44, v45, v44, 16
	v_and_b32_e32 v50, 0xffff0000, v48
	v_alignbit_b32 v48, v49, v48, 16
	v_add_f32_e32 v43, v43, v51
	v_and_b32_e32 v45, 0xffff0000, v45
	v_and_b32_e32 v49, 0xffff0000, v49
	;; [unrolled: 1-line block ×3, first 2 shown]
	v_add_f32_e32 v38, v38, v50
	v_and_b32_e32 v48, 0xffff0000, v48
	v_mul_f32_e32 v43, v37, v43
	v_add_f32_e32 v45, v45, v49
	v_add_f32_e32 v44, v44, v48
	v_mul_f32_e32 v38, v37, v38
	v_bfe_u32 v48, v43, 16, 1
	v_mul_f32_e32 v45, v37, v45
	v_bfe_u32 v49, v38, 16, 1
	v_add3_u32 v48, v43, v48, s45
	v_bfe_u32 v50, v45, 16, 1
	v_add3_u32 v49, v38, v49, s45
	v_and_b32_e32 v48, 0xffff0000, v48
	v_cmp_o_f32_e64 s[2:3], v43, v43
	v_mul_f32_e32 v44, v37, v44
	v_add3_u32 v50, v45, v50, s45
	v_and_b32_e32 v49, 0xffff0000, v49
	v_cndmask_b32_e64 v43, v42, v48, s[2:3]
	v_cmp_o_f32_e64 s[2:3], v38, v38
	s_waitcnt vmcnt(0)
	v_lshlrev_b32_e32 v52, 16, v46
	v_bfe_u32 v51, v44, 16, 1
	v_and_b32_e32 v50, 0xffff0000, v50
	v_cndmask_b32_e64 v38, v42, v49, s[2:3]
	v_cmp_o_f32_e64 s[2:3], v45, v45
	v_and_b32_e32 v39, 0xffff0000, v46
	v_alignbit_b32 v46, v47, v46, 16
	v_and_b32_e32 v47, 0xffff0000, v47
	v_add3_u32 v51, v44, v51, s45
	v_cndmask_b32_e64 v45, v42, v50, s[2:3]
	v_mul_f32_e32 v43, v43, v52
	v_and_b32_e32 v48, 0xffff0000, v51
	v_mul_f32_e32 v38, v38, v39
	v_cmp_o_f32_e64 s[2:3], v44, v44
	v_mul_f32_e32 v44, v45, v47
	v_bfe_u32 v45, v43, 16, 1
	v_and_b32_e32 v46, 0xffff0000, v46
	v_cndmask_b32_e64 v39, v42, v48, s[2:3]
	v_bfe_u32 v47, v38, 16, 1
	v_add3_u32 v45, v43, v45, s45
	v_mul_f32_e32 v39, v39, v46
	v_bfe_u32 v46, v44, 16, 1
	v_add3_u32 v47, v38, v47, s45
	v_and_b32_e32 v45, 0xffff0000, v45
	v_cmp_o_f32_e64 s[2:3], v43, v43
	v_bfe_u32 v48, v39, 16, 1
	v_add3_u32 v46, v44, v46, s45
	v_and_b32_e32 v47, 0xffff0000, v47
	v_cndmask_b32_e64 v43, v42, |v45|, s[2:3]
	v_cmp_o_f32_e64 s[2:3], v38, v38
	v_add3_u32 v48, v39, v48, s45
	v_and_b32_e32 v46, 0xffff0000, v46
	v_cndmask_b32_e64 v38, v42, |v47|, s[2:3]
	v_cmp_o_f32_e64 s[2:3], v44, v44
	v_and_b32_e32 v45, 0xffff0000, v48
	v_cndmask_b32_e64 v44, v42, |v46|, s[2:3]
	v_cmp_o_f32_e64 s[2:3], v39, v39
	v_max3_f32 v5, v5, v43, v38
	v_cndmask_b32_e64 v38, v42, |v45|, s[2:3]
	v_max3_f32 v5, v5, v38, v44
	s_mov_b64 s[2:3], -1
                                        ; implicit-def: $vgpr38_vgpr39
	s_and_saveexec_b64 s[8:9], vcc
	s_xor_b64 s[42:43], exec, s[8:9]
	s_cbranch_execz .LBB79_18
; %bb.24:                               ;   in Loop: Header=BB79_21 Depth=1
	s_add_u32 s2, s26, s26
	s_addc_u32 s3, s27, s27
	s_add_u32 s2, s2, s26
	s_addc_u32 s3, s3, s27
	v_mov_b32_e32 v39, s3
	v_add_co_u32_e32 v38, vcc, s2, v40
	v_addc_co_u32_e32 v39, vcc, v39, v41, vcc
	v_add_co_u32_e32 v40, vcc, v14, v12
	v_addc_co_u32_e32 v41, vcc, v1, v13, vcc
	global_load_dwordx2 v[40:41], v[40:41], off
	s_waitcnt vmcnt(0)
	v_and_b32_e32 v43, 0xffff0000, v40
	v_lshlrev_b32_e32 v44, 16, v40
	v_alignbit_b32 v45, v41, v40, 16
	v_add_co_u32_e32 v40, vcc, v30, v12
	v_and_b32_e32 v46, 0xffff0000, v41
	v_addc_co_u32_e32 v41, vcc, v29, v13, vcc
	global_load_dwordx2 v[40:41], v[40:41], off
	v_and_b32_e32 v45, 0xffff0000, v45
	s_waitcnt vmcnt(0)
	v_and_b32_e32 v47, 0xffff0000, v40
	v_lshlrev_b32_e32 v48, 16, v40
	v_alignbit_b32 v49, v41, v40, 16
	v_add_co_u32_e32 v40, vcc, v22, v12
	v_and_b32_e32 v50, 0xffff0000, v41
	v_addc_co_u32_e32 v41, vcc, v21, v13, vcc
	global_load_dwordx2 v[40:41], v[40:41], off
	v_add_f32_e32 v44, v44, v48
	v_add_f32_e32 v43, v43, v47
	v_and_b32_e32 v47, 0xffff0000, v49
	v_mul_f32_e32 v44, v37, v44
	v_add_f32_e32 v45, v45, v47
	v_bfe_u32 v47, v44, 16, 1
	v_add3_u32 v47, v44, v47, s45
	v_and_b32_e32 v47, 0xffff0000, v47
	v_cmp_o_f32_e32 vcc, v44, v44
	v_mul_f32_e32 v43, v37, v43
	v_cndmask_b32_e32 v44, v42, v47, vcc
	v_bfe_u32 v47, v43, 16, 1
	v_add_f32_e32 v46, v46, v50
	v_add3_u32 v47, v43, v47, s45
	v_and_b32_e32 v47, 0xffff0000, v47
	v_cmp_o_f32_e32 vcc, v43, v43
	v_mul_f32_e32 v46, v37, v46
	v_cndmask_b32_e32 v43, v42, v47, vcc
	v_bfe_u32 v47, v46, 16, 1
	v_add3_u32 v47, v46, v47, s45
	v_and_b32_e32 v47, 0xffff0000, v47
	v_cmp_o_f32_e32 vcc, v46, v46
	v_cndmask_b32_e32 v46, v42, v47, vcc
	v_mul_f32_e32 v45, v37, v45
	v_cmp_o_f32_e32 vcc, v45, v45
	s_waitcnt vmcnt(0)
	v_and_b32_e32 v51, 0xffff0000, v40
	v_lshlrev_b32_e32 v52, 16, v40
	v_alignbit_b32 v40, v41, v40, 16
	v_and_b32_e32 v41, 0xffff0000, v41
	v_mul_f32_e32 v41, v46, v41
	v_bfe_u32 v46, v45, 16, 1
	v_add3_u32 v46, v45, v46, s45
	v_and_b32_e32 v46, 0xffff0000, v46
	v_mul_f32_e32 v43, v43, v51
	v_and_b32_e32 v40, 0xffff0000, v40
	v_cndmask_b32_e32 v45, v42, v46, vcc
	v_mul_f32_e32 v40, v45, v40
	v_bfe_u32 v45, v43, 16, 1
	v_mul_f32_e32 v44, v44, v52
	v_add3_u32 v45, v43, v45, s45
	v_cmp_o_f32_e32 vcc, v43, v43
	v_bfe_u32 v43, v40, 16, 1
	v_add3_u32 v43, v40, v43, s45
	v_cmp_o_f32_e64 s[2:3], v40, v40
	v_bfe_u32 v40, v44, 16, 1
	v_add3_u32 v40, v44, v40, s45
	v_and_b32_e32 v45, 0xffff0000, v45
	v_and_b32_e32 v40, 0xffff0000, v40
	v_cmp_o_f32_e64 s[8:9], v44, v44
	v_cndmask_b32_e64 v40, v42, |v40|, s[8:9]
	v_cndmask_b32_e64 v44, v42, |v45|, vcc
	v_max3_f32 v5, v5, v40, v44
	v_bfe_u32 v40, v41, 16, 1
	v_add3_u32 v40, v41, v40, s45
	v_and_b32_e32 v43, 0xffff0000, v43
	v_and_b32_e32 v40, 0xffff0000, v40
	v_cmp_o_f32_e32 vcc, v41, v41
	v_cndmask_b32_e64 v40, v42, |v40|, vcc
	v_cndmask_b32_e64 v41, v42, |v43|, s[2:3]
	v_max3_f32 v5, v5, v41, v40
	v_mov_b32_e32 v40, s31
	v_add_co_u32_e32 v14, vcc, s30, v14
	v_addc_co_u32_e32 v1, vcc, v1, v40, vcc
	v_add_co_u32_e32 v16, vcc, s30, v16
	v_addc_co_u32_e32 v15, vcc, v15, v40, vcc
	;; [unrolled: 2-line block ×12, first 2 shown]
	v_cmp_ge_i64_e32 vcc, v[38:39], v[10:11]
	s_orn2_b64 s[2:3], vcc, exec
	s_branch .LBB79_18
.LBB79_25:
	s_or_b64 exec, exec, s[16:17]
.LBB79_26:
	s_or_b64 exec, exec, s[28:29]
	s_lshr_b32 s11, s44, 6
	v_cvt_f32_u32_e32 v10, s11
	v_lshlrev_b32_e32 v1, 2, v0
	ds_write_b32 v1, v5
	s_sub_i32 s8, 0, s11
	v_rcp_iflag_f32_e32 v5, v10
	s_add_i32 s2, s24, s11
	s_add_i32 s2, s2, -1
	s_ashr_i32 s3, s2, 31
	v_mul_f32_e32 v5, 0x4f7ffffe, v5
	v_cvt_u32_f32_e32 v5, v5
	s_abs_i32 s2, s2
	s_waitcnt lgkmcnt(0)
	s_barrier
	v_readfirstlane_b32 s9, v5
	s_mul_i32 s8, s8, s9
	s_mul_hi_u32 s8, s9, s8
	s_add_i32 s9, s9, s8
	s_mul_hi_u32 s8, s2, s9
	s_mul_i32 s9, s8, s11
	s_sub_i32 s2, s2, s9
	s_add_i32 s9, s8, 1
	s_sub_i32 s16, s2, s11
	s_cmp_ge_u32 s2, s11
	s_cselect_b32 s8, s9, s8
	s_cselect_b32 s2, s16, s2
	s_add_i32 s9, s8, 1
	s_cmp_ge_u32 s2, s11
	s_cselect_b32 s2, s9, s8
	s_xor_b32 s2, s2, s3
	s_sub_i32 s2, s2, s3
	s_ashr_i32 s3, s2, 31
	v_cmp_lt_i64_e64 s[8:9], s[2:3], 1
	s_and_b64 vcc, exec, s[8:9]
	s_cbranch_vccnz .LBB79_48
; %bb.27:
	v_and_b32_e32 v12, 63, v0
	v_add_co_u32_e32 v14, vcc, 32, v12
	v_addc_co_u32_e64 v15, s[8:9], 0, 0, vcc
	v_add_co_u32_e32 v16, vcc, 16, v12
	v_addc_co_u32_e64 v17, s[8:9], 0, 0, vcc
	;; [unrolled: 2-line block ×4, first 2 shown]
	v_add_co_u32_e32 v22, vcc, 2, v12
	v_lshrrev_b32_e32 v10, 6, v0
	v_addc_co_u32_e64 v23, s[8:9], 0, 0, vcc
	v_add_co_u32_e32 v24, vcc, 1, v12
	v_addc_co_u32_e64 v25, s[8:9], 0, 0, vcc
	v_mul_lo_u32 v5, s26, v10
	v_lshlrev_b32_e32 v5, 2, v5
	v_lshlrev_b32_e32 v26, 2, v12
	s_movk_i32 s8, 0x100
	v_mov_b32_e32 v11, 0
	v_add3_u32 v5, v5, v26, s8
	s_mul_i32 s8, s26, s11
	s_ashr_i32 s25, s24, 31
	v_mov_b32_e32 v13, v11
	s_lshl_b32 s36, s8, 2
	s_mov_b64 s[8:9], 0
	v_mov_b32_e32 v36, s11
	s_mov_b64 s[16:17], src_shared_base
	s_branch .LBB79_30
.LBB79_28:                              ;   in Loop: Header=BB79_30 Depth=1
	s_or_b64 exec, exec, s[30:31]
	v_mov_b32_e32 v27, s17
	flat_load_dword v26, v[26:27] glc
	s_waitcnt vmcnt(0)
.LBB79_29:                              ;   in Loop: Header=BB79_30 Depth=1
	s_or_b64 exec, exec, s[28:29]
	s_add_u32 s8, s8, 1
	s_addc_u32 s9, s9, 0
	s_cmp_eq_u64 s[8:9], s[2:3]
	v_add_u32_e32 v5, s36, v5
	s_cbranch_scc1 .LBB79_48
.LBB79_30:                              ; =>This Loop Header: Depth=1
                                        ;     Child Loop BB79_33 Depth 2
	v_mad_u64_u32 v[30:31], s[28:29], s8, v36, v[10:11]
	s_mul_i32 s16, s9, s11
	v_add_u32_e32 v31, s16, v31
	v_cmp_gt_i64_e32 vcc, s[24:25], v[30:31]
	s_and_saveexec_b64 s[28:29], vcc
	s_cbranch_execz .LBB79_29
; %bb.31:                               ;   in Loop: Header=BB79_30 Depth=1
	v_pk_mov_b32 v[32:33], s[26:27], s[26:27] op_sel:[0,1]
	v_mul_lo_u32 v29, v31, s26
	v_mul_lo_u32 v38, v30, s27
	v_mad_u64_u32 v[32:33], s[30:31], v30, s26, v[32:33]
	v_add3_u32 v33, v29, v33, v38
	v_mov_b32_e32 v28, s23
	v_cmp_gt_i64_e32 vcc, s[22:23], v[32:33]
	s_waitcnt lgkmcnt(0)
	v_mad_u64_u32 v[26:27], s[30:31], v30, s26, v[12:13]
	v_cndmask_b32_e32 v33, v28, v33, vcc
	v_mov_b32_e32 v28, s22
	v_add3_u32 v27, v29, v27, v38
	v_cndmask_b32_e32 v32, v28, v32, vcc
	v_add_co_u32_e32 v34, vcc, 64, v26
	v_addc_co_u32_e32 v35, vcc, 0, v27, vcc
	v_cmp_lt_i64_e32 vcc, v[34:35], v[32:33]
	v_lshlrev_b32_e32 v28, 2, v26
	s_and_saveexec_b64 s[30:31], vcc
	s_cbranch_execz .LBB79_34
; %bb.32:                               ;   in Loop: Header=BB79_30 Depth=1
	ds_read_b32 v31, v28
	s_mov_b64 s[34:35], 0
	v_mov_b32_e32 v27, v5
.LBB79_33:                              ;   Parent Loop BB79_30 Depth=1
                                        ; =>  This Inner Loop Header: Depth=2
	ds_read_b32 v39, v27
	v_add_co_u32_e32 v34, vcc, 64, v34
	v_addc_co_u32_e32 v35, vcc, 0, v35, vcc
	s_waitcnt lgkmcnt(1)
	v_max_f32_e32 v31, v31, v31
	v_cmp_ge_i64_e32 vcc, v[34:35], v[32:33]
	s_waitcnt lgkmcnt(0)
	v_max_f32_e32 v39, v39, v39
	v_add_u32_e32 v27, 0x100, v27
	s_or_b64 s[34:35], vcc, s[34:35]
	v_max_f32_e32 v31, v31, v39
	ds_write_b32 v28, v31
	s_andn2_b64 exec, exec, s[34:35]
	s_cbranch_execnz .LBB79_33
.LBB79_34:                              ;   in Loop: Header=BB79_30 Depth=1
	s_or_b64 exec, exec, s[30:31]
	v_mad_u64_u32 v[30:31], s[30:31], v30, s26, 0
	v_add3_u32 v27, v31, v38, v29
	v_sub_co_u32_e32 v30, vcc, v32, v30
	v_subb_co_u32_e32 v31, vcc, v33, v27, vcc
	v_cmp_gt_i64_e32 vcc, 64, v[30:31]
	v_cndmask_b32_e32 v31, 0, v31, vcc
	v_cndmask_b32_e32 v30, 64, v30, vcc
	v_cmp_lt_i64_e32 vcc, v[14:15], v[30:31]
	s_and_saveexec_b64 s[30:31], vcc
	s_cbranch_execnz .LBB79_46
; %bb.35:                               ;   in Loop: Header=BB79_30 Depth=1
	s_or_b64 exec, exec, s[30:31]
	v_cmp_lt_i64_e32 vcc, v[16:17], v[30:31]
	s_and_saveexec_b64 s[30:31], vcc
	s_cbranch_execnz .LBB79_47
.LBB79_36:                              ;   in Loop: Header=BB79_30 Depth=1
	s_or_b64 exec, exec, s[30:31]
	v_cmp_lt_i64_e32 vcc, v[18:19], v[30:31]
	s_and_saveexec_b64 s[30:31], vcc
	s_cbranch_execz .LBB79_38
.LBB79_37:                              ;   in Loop: Header=BB79_30 Depth=1
	v_mov_b32_e32 v29, s17
	v_add_u32_e32 v32, 32, v28
	v_mov_b32_e32 v33, s17
	flat_load_dword v27, v[28:29] glc
	s_waitcnt vmcnt(0)
	flat_load_dword v34, v[32:33] glc
	s_waitcnt vmcnt(0) lgkmcnt(0)
	v_max_f32_e32 v27, v27, v27
	v_max_f32_e32 v32, v34, v34
	;; [unrolled: 1-line block ×3, first 2 shown]
	flat_store_dword v[28:29], v27
	s_waitcnt vmcnt(0)
.LBB79_38:                              ;   in Loop: Header=BB79_30 Depth=1
	s_or_b64 exec, exec, s[30:31]
	v_cmp_ge_i64_e32 vcc, v[20:21], v[30:31]
	s_and_saveexec_b64 s[30:31], vcc
	s_xor_b64 s[30:31], exec, s[30:31]
; %bb.39:                               ;   in Loop: Header=BB79_30 Depth=1
                                        ; implicit-def: $vgpr28
; %bb.40:                               ;   in Loop: Header=BB79_30 Depth=1
	s_andn2_saveexec_b64 s[30:31], s[30:31]
	s_cbranch_execz .LBB79_42
; %bb.41:                               ;   in Loop: Header=BB79_30 Depth=1
	v_mov_b32_e32 v29, s17
	v_add_u32_e32 v32, 16, v28
	v_mov_b32_e32 v33, s17
	flat_load_dword v27, v[28:29] glc
	s_waitcnt vmcnt(0)
	flat_load_dword v34, v[32:33] glc
	s_waitcnt vmcnt(0) lgkmcnt(0)
	v_max_f32_e32 v27, v27, v27
	v_max_f32_e32 v32, v34, v34
	;; [unrolled: 1-line block ×3, first 2 shown]
	flat_store_dword v[28:29], v27
	s_waitcnt vmcnt(0)
.LBB79_42:                              ;   in Loop: Header=BB79_30 Depth=1
	s_or_b64 exec, exec, s[30:31]
	v_cmp_lt_i64_e32 vcc, v[22:23], v[30:31]
	v_lshlrev_b32_e32 v26, 2, v26
	s_and_saveexec_b64 s[30:31], vcc
	s_cbranch_execz .LBB79_44
; %bb.43:                               ;   in Loop: Header=BB79_30 Depth=1
	v_mov_b32_e32 v27, s17
	v_add_u32_e32 v28, 8, v26
	v_mov_b32_e32 v29, s17
	flat_load_dword v32, v[26:27] glc
	s_waitcnt vmcnt(0)
	flat_load_dword v33, v[28:29] glc
	s_waitcnt vmcnt(0) lgkmcnt(0)
	v_max_f32_e32 v28, v32, v32
	v_max_f32_e32 v29, v33, v33
	;; [unrolled: 1-line block ×3, first 2 shown]
	flat_store_dword v[26:27], v28
	s_waitcnt vmcnt(0)
.LBB79_44:                              ;   in Loop: Header=BB79_30 Depth=1
	s_or_b64 exec, exec, s[30:31]
	v_cmp_lt_i64_e32 vcc, v[24:25], v[30:31]
	s_and_saveexec_b64 s[30:31], vcc
	s_cbranch_execz .LBB79_28
; %bb.45:                               ;   in Loop: Header=BB79_30 Depth=1
	v_mov_b32_e32 v27, s17
	v_add_u32_e32 v28, 4, v26
	v_mov_b32_e32 v29, s17
	flat_load_dword v30, v[26:27] glc
	s_waitcnt vmcnt(0)
	flat_load_dword v31, v[28:29] glc
	s_waitcnt vmcnt(0) lgkmcnt(0)
	v_max_f32_e32 v28, v30, v30
	v_max_f32_e32 v29, v31, v31
	v_max_f32_e32 v28, v28, v29
	flat_store_dword v[26:27], v28
	s_waitcnt vmcnt(0)
	s_branch .LBB79_28
.LBB79_46:                              ;   in Loop: Header=BB79_30 Depth=1
	v_mov_b32_e32 v29, s17
	v_add_u32_e32 v32, 0x80, v28
	v_mov_b32_e32 v33, s17
	flat_load_dword v27, v[28:29] glc
	s_waitcnt vmcnt(0)
	flat_load_dword v34, v[32:33] glc
	s_waitcnt vmcnt(0) lgkmcnt(0)
	v_max_f32_e32 v27, v27, v27
	v_max_f32_e32 v32, v34, v34
	;; [unrolled: 1-line block ×3, first 2 shown]
	flat_store_dword v[28:29], v27
	s_waitcnt vmcnt(0)
	s_or_b64 exec, exec, s[30:31]
	v_cmp_lt_i64_e32 vcc, v[16:17], v[30:31]
	s_and_saveexec_b64 s[30:31], vcc
	s_cbranch_execz .LBB79_36
.LBB79_47:                              ;   in Loop: Header=BB79_30 Depth=1
	v_mov_b32_e32 v29, s17
	v_add_u32_e32 v32, 64, v28
	v_mov_b32_e32 v33, s17
	flat_load_dword v27, v[28:29] glc
	s_waitcnt vmcnt(0)
	flat_load_dword v34, v[32:33] glc
	s_waitcnt vmcnt(0) lgkmcnt(0)
	v_max_f32_e32 v27, v27, v27
	v_max_f32_e32 v32, v34, v34
	;; [unrolled: 1-line block ×3, first 2 shown]
	flat_store_dword v[28:29], v27
	s_waitcnt vmcnt(0)
	s_or_b64 exec, exec, s[30:31]
	v_cmp_lt_i64_e32 vcc, v[18:19], v[30:31]
	s_and_saveexec_b64 s[30:31], vcc
	s_cbranch_execnz .LBB79_37
	s_branch .LBB79_38
.LBB79_48:
	s_load_dwordx2 s[8:9], s[4:5], 0x40
	v_cmp_eq_u32_e32 vcc, 0, v4
	v_cmp_lt_i64_e64 s[2:3], v[6:7], v[8:9]
	s_and_b64 s[2:3], vcc, s[2:3]
	s_waitcnt lgkmcnt(0)
	s_barrier
	s_and_saveexec_b64 s[16:17], s[2:3]
	s_cbranch_execz .LBB79_55
; %bb.49:
	s_load_dwordx2 s[2:3], s[4:5], 0x20
	ds_read_b32 v1, v1
	s_waitcnt lgkmcnt(0)
	s_cmp_eq_u64 s[2:3], 0
	s_cbranch_scc1 .LBB79_51
; %bb.50:
	s_load_dword s2, s[2:3], 0x0
	v_max_f32_e32 v1, v1, v1
	s_waitcnt lgkmcnt(0)
	v_max_f32_e64 v4, s2, s2
	v_min_f32_e32 v1, v1, v4
.LBB79_51:
	s_add_u32 s3, s8, s49
	s_addc_u32 s4, s9, 0
	s_add_u32 s22, s3, -1
	s_addc_u32 s23, s4, -1
	s_or_b64 s[4:5], s[22:23], s[8:9]
	s_mov_b32 s2, 0
	s_mov_b32 s3, s5
	s_cmp_lg_u64 s[2:3], 0
	s_mov_b64 s[24:25], -1
	s_cbranch_scc0 .LBB79_196
; %bb.52:
	s_ashr_i32 s2, s9, 31
	s_add_u32 s4, s8, s2
	s_mov_b32 s3, s2
	s_addc_u32 s5, s9, s2
	s_xor_b64 s[26:27], s[4:5], s[2:3]
	v_cvt_f32_u32_e32 v4, s26
	v_cvt_f32_u32_e32 v5, s27
	s_sub_u32 s2, 0, s26
	s_subb_u32 s3, 0, s27
	v_madmk_f32 v4, v5, 0x4f800000, v4
	v_rcp_f32_e32 v4, v4
	v_mul_f32_e32 v4, 0x5f7ffffc, v4
	v_mul_f32_e32 v5, 0x2f800000, v4
	v_trunc_f32_e32 v5, v5
	v_madmk_f32 v4, v5, 0xcf800000, v4
	v_cvt_u32_f32_e32 v5, v5
	v_cvt_u32_f32_e32 v4, v4
	v_readfirstlane_b32 s4, v5
	v_readfirstlane_b32 s5, v4
	s_mul_i32 s11, s2, s4
	s_mul_hi_u32 s29, s2, s5
	s_mul_i32 s28, s3, s5
	s_add_i32 s11, s29, s11
	s_add_i32 s11, s11, s28
	s_mul_i32 s30, s2, s5
	s_mul_hi_u32 s28, s5, s11
	s_mul_i32 s29, s5, s11
	s_mul_hi_u32 s5, s5, s30
	s_add_u32 s5, s5, s29
	s_addc_u32 s28, 0, s28
	s_mul_hi_u32 s31, s4, s30
	s_mul_i32 s30, s4, s30
	s_add_u32 s5, s5, s30
	s_mul_hi_u32 s29, s4, s11
	s_addc_u32 s5, s28, s31
	s_addc_u32 s28, s29, 0
	s_mul_i32 s11, s4, s11
	s_add_u32 s5, s5, s11
	s_addc_u32 s11, 0, s28
	v_add_co_u32_e32 v4, vcc, s5, v4
	s_cmp_lg_u64 vcc, 0
	s_addc_u32 s4, s4, s11
	v_readfirstlane_b32 s11, v4
	s_mul_i32 s5, s2, s4
	s_mul_hi_u32 s28, s2, s11
	s_add_i32 s5, s28, s5
	s_mul_i32 s3, s3, s11
	s_add_i32 s5, s5, s3
	s_mul_i32 s2, s2, s11
	s_mul_hi_u32 s28, s4, s2
	s_mul_i32 s29, s4, s2
	s_mul_i32 s31, s11, s5
	s_mul_hi_u32 s2, s11, s2
	s_mul_hi_u32 s30, s11, s5
	s_add_u32 s2, s2, s31
	s_addc_u32 s11, 0, s30
	s_add_u32 s2, s2, s29
	s_mul_hi_u32 s3, s4, s5
	s_addc_u32 s2, s11, s28
	s_addc_u32 s3, s3, 0
	s_mul_i32 s5, s4, s5
	s_add_u32 s2, s2, s5
	s_addc_u32 s3, 0, s3
	v_add_co_u32_e32 v4, vcc, s2, v4
	s_cmp_lg_u64 vcc, 0
	s_addc_u32 s4, s4, s3
	s_ashr_i32 s28, s23, 31
	s_add_u32 s2, s22, s28
	s_mov_b32 s29, s28
	s_addc_u32 s3, s23, s28
	s_xor_b64 s[30:31], s[2:3], s[28:29]
	v_readfirstlane_b32 s5, v4
	s_mul_i32 s3, s30, s4
	s_mul_hi_u32 s11, s30, s5
	s_mul_hi_u32 s2, s30, s4
	s_add_u32 s3, s11, s3
	s_addc_u32 s2, 0, s2
	s_mul_hi_u32 s29, s31, s5
	s_mul_i32 s5, s31, s5
	s_add_u32 s3, s3, s5
	s_mul_hi_u32 s11, s31, s4
	s_addc_u32 s2, s2, s29
	s_addc_u32 s3, s11, 0
	s_mul_i32 s4, s31, s4
	s_add_u32 s2, s2, s4
	s_addc_u32 s3, 0, s3
	s_mul_i32 s3, s26, s3
	s_mul_hi_u32 s4, s26, s2
	s_add_i32 s3, s4, s3
	s_mul_i32 s4, s27, s2
	s_mul_i32 s2, s26, s2
	s_add_i32 s11, s3, s4
	v_mov_b32_e32 v4, s2
	s_sub_i32 s3, s31, s11
	v_sub_co_u32_e32 v4, vcc, s30, v4
	s_cmp_lg_u64 vcc, 0
	s_subb_u32 s29, s3, s27
	v_subrev_co_u32_e64 v5, s[2:3], s26, v4
	s_cmp_lg_u64 s[2:3], 0
	s_subb_u32 s30, s29, 0
	s_cmp_ge_u32 s30, s27
	s_cselect_b32 s34, -1, 0
	v_cmp_le_u32_e64 s[4:5], s26, v5
	s_cmp_eq_u32 s30, s27
	v_cndmask_b32_e64 v6, 0, -1, s[4:5]
	v_mov_b32_e32 v7, s34
	s_cselect_b64 s[4:5], -1, 0
	s_cmp_lg_u64 s[2:3], 0
	v_cndmask_b32_e64 v6, v7, v6, s[4:5]
	s_subb_u32 s4, s29, s27
	v_subrev_co_u32_e64 v7, s[2:3], s26, v5
	s_cmp_lg_u64 s[2:3], 0
	s_subb_u32 s4, s4, 0
	v_cmp_ne_u32_e64 s[2:3], 0, v6
	v_cndmask_b32_e64 v5, v5, v7, s[2:3]
	v_mov_b32_e32 v6, s30
	v_mov_b32_e32 v7, s4
	s_cmp_lg_u64 vcc, 0
	v_cndmask_b32_e64 v6, v6, v7, s[2:3]
	s_subb_u32 s2, s31, s11
	s_cmp_ge_u32 s2, s27
	s_cselect_b32 s3, -1, 0
	v_cmp_le_u32_e32 vcc, s26, v4
	s_cmp_eq_u32 s2, s27
	v_cndmask_b32_e64 v7, 0, -1, vcc
	v_mov_b32_e32 v8, s3
	s_cselect_b64 vcc, -1, 0
	v_cndmask_b32_e32 v7, v8, v7, vcc
	v_cmp_ne_u32_e32 vcc, 0, v7
	v_mov_b32_e32 v8, s2
	v_cndmask_b32_e32 v4, v4, v5, vcc
	v_cndmask_b32_e32 v6, v8, v6, vcc
	v_xor_b32_e32 v4, s28, v4
	v_xor_b32_e32 v5, s28, v6
	v_mov_b32_e32 v6, s28
	v_subrev_co_u32_e32 v4, vcc, s28, v4
	v_subb_co_u32_e32 v5, vcc, v5, v6, vcc
	s_cbranch_execnz .LBB79_54
.LBB79_53:
	v_cvt_f32_u32_e32 v4, s8
	s_sub_i32 s2, 0, s8
	v_rcp_iflag_f32_e32 v4, v4
	v_mul_f32_e32 v4, 0x4f7ffffe, v4
	v_cvt_u32_f32_e32 v4, v4
	v_mul_lo_u32 v5, s2, v4
	v_mul_hi_u32 v5, v4, v5
	v_add_u32_e32 v4, v4, v5
	v_mul_hi_u32 v4, s22, v4
	v_mul_lo_u32 v4, v4, s8
	v_sub_u32_e32 v4, s22, v4
	v_subrev_u32_e32 v5, s8, v4
	v_cmp_le_u32_e32 vcc, s8, v4
	v_cndmask_b32_e32 v4, v4, v5, vcc
	v_subrev_u32_e32 v5, s8, v4
	v_cmp_le_u32_e32 vcc, s8, v4
	v_cndmask_b32_e32 v4, v4, v5, vcc
	v_mov_b32_e32 v5, 0
.LBB79_54:
	s_mov_b32 s4, 0x43600000
	v_div_scale_f32 v6, s[2:3], s4, s4, v1
	v_rcp_f32_e32 v7, v6
	v_div_scale_f32 v8, vcc, v1, s4, v1
	v_fma_f32 v9, -v6, v7, 1.0
	v_fmac_f32_e32 v7, v9, v7
	v_mul_f32_e32 v9, v8, v7
	v_fma_f32 v10, -v6, v9, v8
	v_fmac_f32_e32 v9, v10, v7
	v_fma_f32 v6, -v6, v9, v8
	v_div_fmas_f32 v6, v6, v7, v9
	v_div_fixup_f32 v1, v6, s4, v1
	v_mov_b32_e32 v6, s23
	v_sub_co_u32_e32 v4, vcc, s22, v4
	v_subb_co_u32_e32 v5, vcc, v6, v5, vcc
	v_mul_lo_u32 v5, v5, v2
	v_mul_lo_u32 v6, v4, v3
	v_mad_u64_u32 v[2:3], s[2:3], v4, v2, 0
	s_lshl_b64 s[2:3], s[6:7], 2
	v_add3_u32 v3, v3, v6, v5
	s_add_u32 s2, s2, s14
	v_lshlrev_b64 v[2:3], 2, v[2:3]
	s_addc_u32 s3, s3, s15
	v_mov_b32_e32 v4, s3
	v_add_co_u32_e32 v2, vcc, s2, v2
	v_max_f32_e32 v1, 0x37124925, v1
	v_addc_co_u32_e32 v3, vcc, v4, v3, vcc
	global_store_dword v[2:3], v1, off
.LBB79_55:
	s_or_b64 exec, exec, s[16:17]
	s_barrier
	s_and_saveexec_b64 s[2:3], s[0:1]
	s_cbranch_execz .LBB79_195
; %bb.56:
	s_add_u32 s1, s8, s49
	s_addc_u32 s2, s9, 0
	s_add_u32 s4, s1, -1
	s_addc_u32 s5, s2, -1
	s_or_b64 s[2:3], s[4:5], s[8:9]
	s_mov_b32 s0, 0
	s_mov_b32 s1, s3
	s_cmp_lg_u64 s[0:1], 0
	s_mov_b64 s[16:17], -1
	s_cbranch_scc0 .LBB79_197
; %bb.57:
	s_ashr_i32 s0, s9, 31
	s_add_u32 s2, s8, s0
	s_mov_b32 s1, s0
	s_addc_u32 s3, s9, s0
	s_xor_b64 s[22:23], s[2:3], s[0:1]
	v_cvt_f32_u32_e32 v1, s22
	v_cvt_f32_u32_e32 v2, s23
	s_sub_u32 s0, 0, s22
	s_subb_u32 s1, 0, s23
	v_madmk_f32 v1, v2, 0x4f800000, v1
	v_rcp_f32_e32 v1, v1
	v_mul_f32_e32 v1, 0x5f7ffffc, v1
	v_mul_f32_e32 v2, 0x2f800000, v1
	v_trunc_f32_e32 v2, v2
	v_madmk_f32 v1, v2, 0xcf800000, v1
	v_cvt_u32_f32_e32 v2, v2
	v_cvt_u32_f32_e32 v1, v1
	v_readfirstlane_b32 s2, v2
	v_readfirstlane_b32 s3, v1
	s_mul_i32 s9, s0, s2
	s_mul_hi_u32 s24, s0, s3
	s_mul_i32 s11, s1, s3
	s_add_i32 s9, s24, s9
	s_add_i32 s9, s9, s11
	s_mul_i32 s25, s0, s3
	s_mul_hi_u32 s11, s3, s9
	s_mul_i32 s24, s3, s9
	s_mul_hi_u32 s3, s3, s25
	s_add_u32 s3, s3, s24
	s_addc_u32 s11, 0, s11
	s_mul_hi_u32 s26, s2, s25
	s_mul_i32 s25, s2, s25
	s_add_u32 s3, s3, s25
	s_mul_hi_u32 s24, s2, s9
	s_addc_u32 s3, s11, s26
	s_addc_u32 s11, s24, 0
	s_mul_i32 s9, s2, s9
	s_add_u32 s3, s3, s9
	s_addc_u32 s9, 0, s11
	v_add_co_u32_e32 v1, vcc, s3, v1
	s_cmp_lg_u64 vcc, 0
	s_addc_u32 s2, s2, s9
	v_readfirstlane_b32 s9, v1
	s_mul_i32 s3, s0, s2
	s_mul_hi_u32 s11, s0, s9
	s_add_i32 s3, s11, s3
	s_mul_i32 s1, s1, s9
	s_add_i32 s3, s3, s1
	s_mul_i32 s0, s0, s9
	s_mul_hi_u32 s11, s2, s0
	s_mul_i32 s24, s2, s0
	s_mul_i32 s26, s9, s3
	s_mul_hi_u32 s0, s9, s0
	s_mul_hi_u32 s25, s9, s3
	s_add_u32 s0, s0, s26
	s_addc_u32 s9, 0, s25
	s_add_u32 s0, s0, s24
	s_mul_hi_u32 s1, s2, s3
	s_addc_u32 s0, s9, s11
	s_addc_u32 s1, s1, 0
	s_mul_i32 s3, s2, s3
	s_add_u32 s0, s0, s3
	s_addc_u32 s1, 0, s1
	v_add_co_u32_e32 v1, vcc, s0, v1
	s_cmp_lg_u64 vcc, 0
	s_addc_u32 s2, s2, s1
	s_ashr_i32 s24, s5, 31
	s_add_u32 s0, s4, s24
	s_mov_b32 s25, s24
	s_addc_u32 s1, s5, s24
	s_xor_b64 s[26:27], s[0:1], s[24:25]
	v_readfirstlane_b32 s3, v1
	s_mul_i32 s1, s26, s2
	s_mul_hi_u32 s9, s26, s3
	s_mul_hi_u32 s0, s26, s2
	s_add_u32 s1, s9, s1
	s_addc_u32 s0, 0, s0
	s_mul_hi_u32 s11, s27, s3
	s_mul_i32 s3, s27, s3
	s_add_u32 s1, s1, s3
	s_mul_hi_u32 s9, s27, s2
	s_addc_u32 s0, s0, s11
	s_addc_u32 s1, s9, 0
	s_mul_i32 s2, s27, s2
	s_add_u32 s0, s0, s2
	s_addc_u32 s1, 0, s1
	s_mul_i32 s1, s22, s1
	s_mul_hi_u32 s2, s22, s0
	s_add_i32 s1, s2, s1
	s_mul_i32 s2, s23, s0
	s_mul_i32 s0, s22, s0
	s_add_i32 s9, s1, s2
	v_mov_b32_e32 v1, s0
	s_sub_i32 s1, s27, s9
	v_sub_co_u32_e32 v1, vcc, s26, v1
	s_cmp_lg_u64 vcc, 0
	s_subb_u32 s11, s1, s23
	v_subrev_co_u32_e64 v2, s[0:1], s22, v1
	s_cmp_lg_u64 s[0:1], 0
	s_subb_u32 s25, s11, 0
	s_cmp_ge_u32 s25, s23
	s_cselect_b32 s26, -1, 0
	v_cmp_le_u32_e64 s[2:3], s22, v2
	s_cmp_eq_u32 s25, s23
	v_cndmask_b32_e64 v3, 0, -1, s[2:3]
	v_mov_b32_e32 v4, s26
	s_cselect_b64 s[2:3], -1, 0
	s_cmp_lg_u64 s[0:1], 0
	v_cndmask_b32_e64 v3, v4, v3, s[2:3]
	s_subb_u32 s2, s11, s23
	v_subrev_co_u32_e64 v4, s[0:1], s22, v2
	s_cmp_lg_u64 s[0:1], 0
	s_subb_u32 s2, s2, 0
	v_cmp_ne_u32_e64 s[0:1], 0, v3
	v_cndmask_b32_e64 v2, v2, v4, s[0:1]
	v_mov_b32_e32 v3, s25
	v_mov_b32_e32 v4, s2
	s_cmp_lg_u64 vcc, 0
	v_cndmask_b32_e64 v3, v3, v4, s[0:1]
	s_subb_u32 s0, s27, s9
	s_cmp_ge_u32 s0, s23
	s_cselect_b32 s1, -1, 0
	v_cmp_le_u32_e32 vcc, s22, v1
	s_cmp_eq_u32 s0, s23
	v_cndmask_b32_e64 v4, 0, -1, vcc
	v_mov_b32_e32 v5, s1
	s_cselect_b64 vcc, -1, 0
	v_cndmask_b32_e32 v4, v5, v4, vcc
	v_cmp_ne_u32_e32 vcc, 0, v4
	v_mov_b32_e32 v5, s0
	v_cndmask_b32_e32 v1, v1, v2, vcc
	v_cndmask_b32_e32 v3, v5, v3, vcc
	v_xor_b32_e32 v1, s24, v1
	v_xor_b32_e32 v3, s24, v3
	v_mov_b32_e32 v4, s24
	v_subrev_co_u32_e32 v2, vcc, s24, v1
	v_subb_co_u32_e32 v3, vcc, v3, v4, vcc
	s_cbranch_execnz .LBB79_59
.LBB79_58:
	v_cvt_f32_u32_e32 v1, s8
	s_sub_i32 s0, 0, s8
	v_mov_b32_e32 v3, 0
	v_rcp_iflag_f32_e32 v1, v1
	v_mul_f32_e32 v1, 0x4f7ffffe, v1
	v_cvt_u32_f32_e32 v1, v1
	v_mul_lo_u32 v2, s0, v1
	v_mul_hi_u32 v2, v1, v2
	v_add_u32_e32 v1, v1, v2
	v_mul_hi_u32 v1, s4, v1
	v_mul_lo_u32 v1, v1, s8
	v_sub_u32_e32 v1, s4, v1
	v_subrev_u32_e32 v2, s8, v1
	v_cmp_le_u32_e32 vcc, s8, v1
	v_cndmask_b32_e32 v1, v1, v2, vcc
	v_subrev_u32_e32 v2, s8, v1
	v_cmp_le_u32_e32 vcc, s8, v1
	v_cndmask_b32_e32 v2, v1, v2, vcc
.LBB79_59:
	s_add_u32 s11, s12, s20
	s_addc_u32 s16, s13, s21
	s_lshl_b64 s[0:1], s[6:7], 2
	s_add_u32 s17, s14, s0
	s_addc_u32 s20, s15, s1
	v_mov_b32_e32 v1, s5
	v_sub_co_u32_e32 v10, vcc, s4, v2
	v_subb_co_u32_e32 v11, vcc, v1, v3, vcc
	s_mul_i32 s21, s44, 3
	s_lshl_b32 s22, s44, 1
	s_mov_b64 s[0:1], 0
	v_mov_b32_e32 v12, s46
	v_mov_b32_e32 v13, s19
	v_mov_b32_e32 v14, s48
	s_movk_i32 s23, 0x7fff
	v_mov_b32_e32 v15, 0x7fc00000
	v_mov_b32_e32 v16, 0x7fc0
	;; [unrolled: 1-line block ×3, first 2 shown]
	s_mov_b32 s24, 0x43800000
	s_mov_b32 s25, 0x3bffffff
	;; [unrolled: 1-line block ×4, first 2 shown]
	s_movk_i32 s28, 0x80
	s_mov_b32 s29, 0x4020c0c
	v_mov_b32_e32 v1, 0
	s_branch .LBB79_65
.LBB79_60:                              ;   in Loop: Header=BB79_65 Depth=1
	s_or_b64 exec, exec, s[14:15]
.LBB79_61:                              ;   in Loop: Header=BB79_65 Depth=1
	s_or_b64 exec, exec, s[8:9]
	v_lshlrev_b64 v[8:9], 2, v[0:1]
	v_mov_b32_e32 v0, s16
	v_add_co_u32_e32 v8, vcc, s11, v8
	v_addc_co_u32_e32 v9, vcc, v0, v9, vcc
	v_lshlrev_b32_e32 v0, 16, v7
	v_lshlrev_b32_e32 v3, 8, v3
	v_perm_b32 v0, v4, v0, s29
	v_and_b32_e32 v3, 0xff00, v3
	v_and_b32_e32 v4, 0xff, v6
	s_add_i32 s8, s44, s44
	v_or3_b32 v0, v0, v3, v4
	s_add_i32 s8, s8, s44
	global_store_dword v[8:9], v0, off
	v_add_u32_e32 v0, s8, v2
	v_cmp_le_u32_e32 vcc, s10, v0
	s_orn2_b64 s[8:9], vcc, exec
.LBB79_62:                              ;   in Loop: Header=BB79_65 Depth=1
	s_or_b64 exec, exec, s[6:7]
	s_orn2_b64 s[6:7], s[8:9], exec
.LBB79_63:                              ;   in Loop: Header=BB79_65 Depth=1
	s_or_b64 exec, exec, s[4:5]
	s_orn2_b64 s[4:5], s[6:7], exec
.LBB79_64:                              ;   in Loop: Header=BB79_65 Depth=1
	s_or_b64 exec, exec, s[2:3]
	s_and_b64 s[2:3], exec, s[4:5]
	s_or_b64 s[0:1], s[2:3], s[0:1]
	s_andn2_b64 exec, exec, s[0:1]
	s_cbranch_execz .LBB79_195
.LBB79_65:                              ; =>This Inner Loop Header: Depth=1
	v_lshlrev_b64 v[2:3], 3, v[0:1]
	v_add_co_u32_e32 v4, vcc, s33, v2
	v_addc_co_u32_e32 v5, vcc, v12, v3, vcc
	global_load_dwordx2 v[8:9], v[4:5], off
	v_add_co_u32_e32 v4, vcc, s47, v2
	v_addc_co_u32_e32 v5, vcc, v14, v3, vcc
	global_load_dwordx2 v[18:19], v[4:5], off
	v_add_co_u32_e32 v2, vcc, s18, v2
	v_bfe_u32 v21, v0, 4, 26
	v_addc_co_u32_e32 v3, vcc, v13, v3, vcc
	v_mad_u64_u32 v[6:7], s[2:3], v10, v21, 0
	global_load_dwordx2 v[2:3], v[2:3], off
	v_mov_b32_e32 v20, v7
	v_mad_u64_u32 v[20:21], s[2:3], v11, v21, v[20:21]
	v_mov_b32_e32 v7, v20
	v_lshlrev_b64 v[6:7], 2, v[6:7]
	v_add_co_u32_e32 v6, vcc, s17, v6
	v_addc_co_u32_e32 v7, vcc, v17, v7, vcc
	global_load_dword v7, v[6:7], off
	v_mov_b32_e32 v6, 0x80
	s_waitcnt vmcnt(3)
	v_and_b32_e32 v20, 0xffff0000, v8
	v_lshlrev_b32_e32 v21, 16, v8
	v_alignbit_b32 v8, v9, v8, 16
	v_and_b32_e32 v9, 0xffff0000, v9
	v_and_b32_e32 v26, 0xffff0000, v8
	s_waitcnt vmcnt(2)
	v_alignbit_b32 v24, v19, v18, 16
	v_and_b32_e32 v19, 0xffff0000, v19
	v_and_b32_e32 v22, 0xffff0000, v18
	v_add_f32_e32 v8, v9, v19
	v_lshlrev_b32_e32 v23, 16, v18
	v_add_f32_e32 v18, v20, v22
	v_and_b32_e32 v20, 0xffff0000, v24
	v_bfe_u32 v22, v8, 16, 1
	v_add_f32_e32 v21, v21, v23
	v_add_f32_e32 v9, v26, v20
	v_bfe_u32 v20, v18, 16, 1
	v_add3_u32 v22, v8, v22, s23
	v_bfe_u32 v19, v21, 16, 1
	v_add3_u32 v20, v18, v20, s23
	v_and_b32_e32 v22, 0xffff0000, v22
	v_cmp_o_f32_e32 vcc, v8, v8
	v_mul_f32_e32 v23, v37, v21
	v_add3_u32 v19, v21, v19, s23
	v_bfe_u32 v24, v9, 16, 1
	v_and_b32_e32 v20, 0xffff0000, v20
	v_cndmask_b32_e32 v22, v15, v22, vcc
	v_cmp_o_f32_e32 vcc, v18, v18
	v_bfe_u32 v26, v23, 16, 1
	v_lshrrev_b32_e32 v19, 16, v19
	v_add3_u32 v24, v9, v24, s23
	v_cndmask_b32_e32 v20, v15, v20, vcc
	v_cmp_o_f32_e32 vcc, v21, v21
	v_add3_u32 v26, v23, v26, s23
	v_lshrrev_b32_e32 v24, 16, v24
	v_cndmask_b32_e32 v19, v16, v19, vcc
	v_cmp_o_f32_e32 vcc, v9, v9
	v_and_b32_e32 v21, 0xffff0000, v26
	v_cndmask_b32_e32 v24, v16, v24, vcc
	v_cmp_o_f32_e32 vcc, v23, v23
	s_waitcnt vmcnt(1)
	v_lshlrev_b32_e32 v25, 16, v2
	v_or_b32_e32 v19, v19, v20
	v_cndmask_b32_e32 v23, v15, v21, vcc
	v_or3_b32 v20, v19, 0, 0
	v_mul_f32_e32 v19, v23, v25
	v_or3_b32 v21, 0, v24, v22
	v_bfe_u32 v22, v19, 16, 1
	v_add3_u32 v22, v19, v22, s23
	v_and_b32_e32 v22, 0xffff0000, v22
	v_cmp_o_f32_e32 vcc, v19, v19
	v_cndmask_b32_e32 v19, v15, v22, vcc
	s_waitcnt vmcnt(0)
	v_div_scale_f32 v22, s[2:3], v7, v7, v19
	v_rcp_f32_e32 v23, v22
	global_store_dwordx2 v[4:5], v[20:21], off
	v_div_scale_f32 v4, vcc, v19, v7, v19
	v_fma_f32 v5, -v22, v23, 1.0
	v_fmac_f32_e32 v23, v5, v23
	v_mul_f32_e32 v5, v4, v23
	v_fma_f32 v20, -v22, v5, v4
	v_fmac_f32_e32 v5, v20, v23
	v_fma_f32 v4, -v22, v5, v4
	v_div_fmas_f32 v4, v4, v23, v5
	v_div_fixup_f32 v4, v4, v7, v19
	v_min_f32_e32 v4, 0x43600000, v4
	v_max_f32_e32 v5, 0xc3600000, v4
	v_and_b32_e32 v19, 0x7fffffff, v5
	v_cmp_gt_u32_e32 vcc, s24, v19
	v_mov_b32_e32 v4, 0x80
	s_and_saveexec_b64 s[2:3], vcc
	s_cbranch_execz .LBB79_71
; %bb.66:                               ;   in Loop: Header=BB79_65 Depth=1
	v_cmp_lt_u32_e32 vcc, s25, v19
	s_mov_b64 s[4:5], 0
                                        ; implicit-def: $vgpr19
	s_and_saveexec_b64 s[6:7], vcc
	s_xor_b64 s[6:7], exec, s[6:7]
	s_cbranch_execnz .LBB79_162
; %bb.67:                               ;   in Loop: Header=BB79_65 Depth=1
	s_or_saveexec_b64 s[6:7], s[6:7]
                                        ; implicit-def: $sgpr8
	s_xor_b64 exec, exec, s[6:7]
	s_cbranch_execnz .LBB79_163
.LBB79_68:                              ;   in Loop: Header=BB79_65 Depth=1
	s_or_b64 exec, exec, s[6:7]
	v_mov_b32_e32 v4, s8
	s_and_saveexec_b64 s[6:7], s[4:5]
.LBB79_69:                              ;   in Loop: Header=BB79_65 Depth=1
	v_lshrrev_b32_e32 v4, 24, v5
	v_and_or_b32 v4, v4, s28, v19
.LBB79_70:                              ;   in Loop: Header=BB79_65 Depth=1
	s_or_b64 exec, exec, s[6:7]
.LBB79_71:                              ;   in Loop: Header=BB79_65 Depth=1
	s_or_b64 exec, exec, s[2:3]
	v_mul_f32_e32 v18, v37, v18
	v_bfe_u32 v19, v18, 16, 1
	v_add3_u32 v19, v18, v19, s23
	v_and_b32_e32 v19, 0xffff0000, v19
	v_cmp_o_f32_e32 vcc, v18, v18
	v_and_b32_e32 v5, 0xffff0000, v2
	v_cndmask_b32_e32 v18, v15, v19, vcc
	v_mul_f32_e32 v5, v18, v5
	v_bfe_u32 v18, v5, 16, 1
	v_add3_u32 v18, v5, v18, s23
	v_and_b32_e32 v18, 0xffff0000, v18
	v_cmp_o_f32_e32 vcc, v5, v5
	v_cndmask_b32_e32 v5, v15, v18, vcc
	v_div_scale_f32 v18, s[2:3], v7, v7, v5
	v_rcp_f32_e32 v19, v18
	v_fma_f32 v20, -v18, v19, 1.0
	v_fmac_f32_e32 v19, v20, v19
	v_div_scale_f32 v20, vcc, v5, v7, v5
	v_mul_f32_e32 v21, v20, v19
	v_fma_f32 v22, -v18, v21, v20
	v_fmac_f32_e32 v21, v22, v19
	v_fma_f32 v18, -v18, v21, v20
	v_div_fmas_f32 v18, v18, v19, v21
	v_div_fixup_f32 v5, v18, v7, v5
	v_min_f32_e32 v5, 0x43600000, v5
	v_max_f32_e32 v5, 0xc3600000, v5
	v_and_b32_e32 v18, 0x7fffffff, v5
	v_cmp_gt_u32_e32 vcc, s24, v18
	s_and_saveexec_b64 s[2:3], vcc
	s_cbranch_execz .LBB79_77
; %bb.72:                               ;   in Loop: Header=BB79_65 Depth=1
	v_cmp_lt_u32_e32 vcc, s25, v18
	s_mov_b64 s[4:5], 0
                                        ; implicit-def: $vgpr18
	s_and_saveexec_b64 s[6:7], vcc
	s_xor_b64 s[6:7], exec, s[6:7]
	s_cbranch_execnz .LBB79_164
; %bb.73:                               ;   in Loop: Header=BB79_65 Depth=1
	s_or_saveexec_b64 s[6:7], s[6:7]
                                        ; implicit-def: $sgpr8
	s_xor_b64 exec, exec, s[6:7]
	s_cbranch_execnz .LBB79_165
.LBB79_74:                              ;   in Loop: Header=BB79_65 Depth=1
	s_or_b64 exec, exec, s[6:7]
	v_mov_b32_e32 v6, s8
	s_and_saveexec_b64 s[6:7], s[4:5]
.LBB79_75:                              ;   in Loop: Header=BB79_65 Depth=1
	v_lshrrev_b32_e32 v5, 24, v5
	v_and_or_b32 v6, v5, s28, v18
.LBB79_76:                              ;   in Loop: Header=BB79_65 Depth=1
	s_or_b64 exec, exec, s[6:7]
.LBB79_77:                              ;   in Loop: Header=BB79_65 Depth=1
	s_or_b64 exec, exec, s[2:3]
	v_mul_f32_e32 v5, v37, v9
	v_bfe_u32 v9, v5, 16, 1
	v_add3_u32 v9, v5, v9, s23
	v_and_b32_e32 v9, 0xffff0000, v9
	v_cmp_o_f32_e32 vcc, v5, v5
	v_alignbit_b32 v2, v3, v2, 16
	v_cndmask_b32_e32 v5, v15, v9, vcc
	v_and_b32_e32 v2, 0xffff0000, v2
	v_mul_f32_e32 v2, v5, v2
	v_bfe_u32 v5, v2, 16, 1
	v_add3_u32 v5, v2, v5, s23
	v_and_b32_e32 v5, 0xffff0000, v5
	v_cmp_o_f32_e32 vcc, v2, v2
	v_cndmask_b32_e32 v2, v15, v5, vcc
	v_div_scale_f32 v5, s[2:3], v7, v7, v2
	v_rcp_f32_e32 v9, v5
	v_fma_f32 v18, -v5, v9, 1.0
	v_fmac_f32_e32 v9, v18, v9
	v_div_scale_f32 v18, vcc, v2, v7, v2
	v_mul_f32_e32 v19, v18, v9
	v_fma_f32 v20, -v5, v19, v18
	v_fmac_f32_e32 v19, v20, v9
	v_fma_f32 v5, -v5, v19, v18
	v_div_fmas_f32 v5, v5, v9, v19
	v_div_fixup_f32 v2, v5, v7, v2
	v_min_f32_e32 v2, 0x43600000, v2
	v_max_f32_e32 v9, 0xc3600000, v2
	v_and_b32_e32 v18, 0x7fffffff, v9
	v_cmp_gt_u32_e32 vcc, s24, v18
	v_mov_b32_e32 v2, 0x80
	v_mov_b32_e32 v5, 0x80
	s_and_saveexec_b64 s[2:3], vcc
	s_cbranch_execz .LBB79_83
; %bb.78:                               ;   in Loop: Header=BB79_65 Depth=1
	v_cmp_lt_u32_e32 vcc, s25, v18
	s_mov_b64 s[4:5], 0
                                        ; implicit-def: $vgpr18
	s_and_saveexec_b64 s[6:7], vcc
	s_xor_b64 s[6:7], exec, s[6:7]
	s_cbranch_execnz .LBB79_166
; %bb.79:                               ;   in Loop: Header=BB79_65 Depth=1
	s_or_saveexec_b64 s[6:7], s[6:7]
                                        ; implicit-def: $sgpr8
	s_xor_b64 exec, exec, s[6:7]
	s_cbranch_execnz .LBB79_167
.LBB79_80:                              ;   in Loop: Header=BB79_65 Depth=1
	s_or_b64 exec, exec, s[6:7]
	v_mov_b32_e32 v5, s8
	s_and_saveexec_b64 s[6:7], s[4:5]
.LBB79_81:                              ;   in Loop: Header=BB79_65 Depth=1
	v_lshrrev_b32_e32 v5, 24, v9
	v_and_or_b32 v5, v5, s28, v18
.LBB79_82:                              ;   in Loop: Header=BB79_65 Depth=1
	s_or_b64 exec, exec, s[6:7]
.LBB79_83:                              ;   in Loop: Header=BB79_65 Depth=1
	s_or_b64 exec, exec, s[2:3]
	v_mul_f32_e32 v8, v37, v8
	v_bfe_u32 v9, v8, 16, 1
	v_add3_u32 v9, v8, v9, s23
	v_and_b32_e32 v9, 0xffff0000, v9
	v_cmp_o_f32_e32 vcc, v8, v8
	v_cndmask_b32_e32 v8, v15, v9, vcc
	v_and_b32_e32 v3, 0xffff0000, v3
	v_mul_f32_e32 v3, v8, v3
	v_bfe_u32 v8, v3, 16, 1
	v_add3_u32 v8, v3, v8, s23
	v_and_b32_e32 v8, 0xffff0000, v8
	v_cmp_o_f32_e32 vcc, v3, v3
	v_cndmask_b32_e32 v3, v15, v8, vcc
	v_div_scale_f32 v8, s[2:3], v7, v7, v3
	v_rcp_f32_e32 v9, v8
	v_fma_f32 v18, -v8, v9, 1.0
	v_fmac_f32_e32 v9, v18, v9
	v_div_scale_f32 v18, vcc, v3, v7, v3
	v_mul_f32_e32 v19, v18, v9
	v_fma_f32 v20, -v8, v19, v18
	v_fmac_f32_e32 v19, v20, v9
	v_fma_f32 v8, -v8, v19, v18
	v_div_fmas_f32 v8, v8, v9, v19
	v_div_fixup_f32 v3, v8, v7, v3
	v_min_f32_e32 v3, 0x43600000, v3
	v_max_f32_e32 v3, 0xc3600000, v3
	v_and_b32_e32 v7, 0x7fffffff, v3
	v_cmp_gt_u32_e32 vcc, s24, v7
	s_and_saveexec_b64 s[2:3], vcc
	s_cbranch_execz .LBB79_89
; %bb.84:                               ;   in Loop: Header=BB79_65 Depth=1
	v_cmp_lt_u32_e32 vcc, s25, v7
	s_mov_b64 s[4:5], 0
                                        ; implicit-def: $vgpr7
	s_and_saveexec_b64 s[6:7], vcc
	s_xor_b64 s[6:7], exec, s[6:7]
	s_cbranch_execnz .LBB79_168
; %bb.85:                               ;   in Loop: Header=BB79_65 Depth=1
	s_or_saveexec_b64 s[6:7], s[6:7]
                                        ; implicit-def: $sgpr8
	s_xor_b64 exec, exec, s[6:7]
	s_cbranch_execnz .LBB79_169
.LBB79_86:                              ;   in Loop: Header=BB79_65 Depth=1
	s_or_b64 exec, exec, s[6:7]
	v_mov_b32_e32 v2, s8
	s_and_saveexec_b64 s[6:7], s[4:5]
.LBB79_87:                              ;   in Loop: Header=BB79_65 Depth=1
	v_lshrrev_b32_e32 v2, 24, v3
	v_and_or_b32 v2, v2, s28, v7
.LBB79_88:                              ;   in Loop: Header=BB79_65 Depth=1
	s_or_b64 exec, exec, s[6:7]
.LBB79_89:                              ;   in Loop: Header=BB79_65 Depth=1
	s_or_b64 exec, exec, s[2:3]
	v_lshlrev_b64 v[8:9], 2, v[0:1]
	v_mov_b32_e32 v3, s16
	v_add_co_u32_e32 v8, vcc, s11, v8
	v_addc_co_u32_e32 v9, vcc, v3, v9, vcc
	v_lshlrev_b32_e32 v3, 16, v5
	v_perm_b32 v2, v2, v3, s29
	v_lshlrev_b32_e32 v3, 8, v6
	v_and_b32_e32 v3, 0xff00, v3
	v_and_b32_e32 v4, 0xff, v4
	v_or3_b32 v2, v2, v3, v4
	global_store_dword v[8:9], v2, off
	v_add_u32_e32 v2, s44, v0
	v_cmp_gt_u32_e32 vcc, s10, v2
	s_mov_b64 s[4:5], -1
	s_and_saveexec_b64 s[2:3], vcc
	s_cbranch_execz .LBB79_64
; %bb.90:                               ;   in Loop: Header=BB79_65 Depth=1
	v_mov_b32_e32 v3, v1
	v_lshlrev_b64 v[4:5], 3, v[2:3]
	v_mov_b32_e32 v7, s46
	v_add_co_u32_e32 v6, vcc, s33, v4
	v_addc_co_u32_e32 v7, vcc, v7, v5, vcc
	global_load_dwordx2 v[18:19], v[6:7], off
	v_mov_b32_e32 v7, s48
	v_add_co_u32_e32 v6, vcc, s47, v4
	v_addc_co_u32_e32 v7, vcc, v7, v5, vcc
	global_load_dwordx2 v[20:21], v[6:7], off
	v_mov_b32_e32 v8, s19
	v_add_co_u32_e32 v4, vcc, s18, v4
	v_bfe_u32 v23, v2, 4, 26
	v_addc_co_u32_e32 v5, vcc, v8, v5, vcc
	v_mad_u64_u32 v[8:9], s[4:5], v10, v23, 0
	global_load_dwordx2 v[4:5], v[4:5], off
	v_mov_b32_e32 v22, v9
	v_mad_u64_u32 v[22:23], s[4:5], v11, v23, v[22:23]
	v_mov_b32_e32 v9, v22
	v_lshlrev_b64 v[8:9], 2, v[8:9]
	v_mov_b32_e32 v24, s20
	v_add_co_u32_e32 v8, vcc, s17, v8
	v_addc_co_u32_e32 v9, vcc, v24, v9, vcc
	global_load_dword v9, v[8:9], off
	v_mov_b32_e32 v8, 0x80
	s_waitcnt vmcnt(3)
	v_and_b32_e32 v22, 0xffff0000, v18
	v_lshlrev_b32_e32 v23, 16, v18
	v_alignbit_b32 v18, v19, v18, 16
	v_and_b32_e32 v19, 0xffff0000, v19
	v_and_b32_e32 v28, 0xffff0000, v18
	s_waitcnt vmcnt(2)
	v_alignbit_b32 v26, v21, v20, 16
	v_and_b32_e32 v21, 0xffff0000, v21
	v_and_b32_e32 v24, 0xffff0000, v20
	v_add_f32_e32 v18, v19, v21
	v_lshlrev_b32_e32 v25, 16, v20
	v_add_f32_e32 v20, v22, v24
	v_and_b32_e32 v22, 0xffff0000, v26
	v_bfe_u32 v24, v18, 16, 1
	v_add_f32_e32 v23, v23, v25
	v_add_f32_e32 v19, v28, v22
	v_bfe_u32 v22, v20, 16, 1
	v_add3_u32 v24, v18, v24, s23
	v_bfe_u32 v21, v23, 16, 1
	v_add3_u32 v22, v20, v22, s23
	v_and_b32_e32 v24, 0xffff0000, v24
	v_cmp_o_f32_e32 vcc, v18, v18
	v_mul_f32_e32 v25, v37, v23
	v_add3_u32 v21, v23, v21, s23
	v_bfe_u32 v26, v19, 16, 1
	v_and_b32_e32 v22, 0xffff0000, v22
	v_cndmask_b32_e32 v24, v15, v24, vcc
	v_cmp_o_f32_e32 vcc, v20, v20
	v_bfe_u32 v28, v25, 16, 1
	v_lshrrev_b32_e32 v21, 16, v21
	v_add3_u32 v26, v19, v26, s23
	v_cndmask_b32_e32 v22, v15, v22, vcc
	v_cmp_o_f32_e32 vcc, v23, v23
	v_add3_u32 v28, v25, v28, s23
	v_lshrrev_b32_e32 v26, 16, v26
	v_cndmask_b32_e32 v21, v16, v21, vcc
	v_cmp_o_f32_e32 vcc, v19, v19
	v_and_b32_e32 v23, 0xffff0000, v28
	v_cndmask_b32_e32 v26, v16, v26, vcc
	v_cmp_o_f32_e32 vcc, v25, v25
	s_waitcnt vmcnt(1)
	v_lshlrev_b32_e32 v27, 16, v4
	v_or_b32_e32 v21, v21, v22
	v_cndmask_b32_e32 v25, v15, v23, vcc
	v_or3_b32 v22, v21, 0, 0
	v_mul_f32_e32 v21, v25, v27
	v_or3_b32 v23, 0, v26, v24
	v_bfe_u32 v24, v21, 16, 1
	v_add3_u32 v24, v21, v24, s23
	v_and_b32_e32 v24, 0xffff0000, v24
	v_cmp_o_f32_e32 vcc, v21, v21
	v_cndmask_b32_e32 v21, v15, v24, vcc
	s_waitcnt vmcnt(0)
	v_div_scale_f32 v24, s[4:5], v9, v9, v21
	v_rcp_f32_e32 v25, v24
	global_store_dwordx2 v[6:7], v[22:23], off
	v_div_scale_f32 v6, vcc, v21, v9, v21
	v_fma_f32 v7, -v24, v25, 1.0
	v_fmac_f32_e32 v25, v7, v25
	v_mul_f32_e32 v7, v6, v25
	v_fma_f32 v22, -v24, v7, v6
	v_fmac_f32_e32 v7, v22, v25
	v_fma_f32 v6, -v24, v7, v6
	v_div_fmas_f32 v6, v6, v25, v7
	v_div_fixup_f32 v6, v6, v9, v21
	v_min_f32_e32 v6, 0x43600000, v6
	v_max_f32_e32 v7, 0xc3600000, v6
	v_and_b32_e32 v21, 0x7fffffff, v7
	v_cmp_gt_u32_e32 vcc, s24, v21
	v_mov_b32_e32 v6, 0x80
	s_and_saveexec_b64 s[4:5], vcc
	s_cbranch_execz .LBB79_96
; %bb.91:                               ;   in Loop: Header=BB79_65 Depth=1
	v_cmp_lt_u32_e32 vcc, s25, v21
	s_mov_b64 s[6:7], 0
                                        ; implicit-def: $vgpr21
	s_and_saveexec_b64 s[8:9], vcc
	s_xor_b64 s[8:9], exec, s[8:9]
	s_cbranch_execnz .LBB79_170
; %bb.92:                               ;   in Loop: Header=BB79_65 Depth=1
	s_or_saveexec_b64 s[8:9], s[8:9]
                                        ; implicit-def: $sgpr12
	s_xor_b64 exec, exec, s[8:9]
	s_cbranch_execnz .LBB79_171
.LBB79_93:                              ;   in Loop: Header=BB79_65 Depth=1
	s_or_b64 exec, exec, s[8:9]
	v_mov_b32_e32 v6, s12
	s_and_saveexec_b64 s[8:9], s[6:7]
.LBB79_94:                              ;   in Loop: Header=BB79_65 Depth=1
	v_lshrrev_b32_e32 v6, 24, v7
	v_and_or_b32 v6, v6, s28, v21
.LBB79_95:                              ;   in Loop: Header=BB79_65 Depth=1
	s_or_b64 exec, exec, s[8:9]
.LBB79_96:                              ;   in Loop: Header=BB79_65 Depth=1
	s_or_b64 exec, exec, s[4:5]
	v_mul_f32_e32 v20, v37, v20
	v_bfe_u32 v21, v20, 16, 1
	v_add3_u32 v21, v20, v21, s23
	v_and_b32_e32 v21, 0xffff0000, v21
	v_cmp_o_f32_e32 vcc, v20, v20
	v_and_b32_e32 v7, 0xffff0000, v4
	v_cndmask_b32_e32 v20, v15, v21, vcc
	v_mul_f32_e32 v7, v20, v7
	v_bfe_u32 v20, v7, 16, 1
	v_add3_u32 v20, v7, v20, s23
	v_and_b32_e32 v20, 0xffff0000, v20
	v_cmp_o_f32_e32 vcc, v7, v7
	v_cndmask_b32_e32 v7, v15, v20, vcc
	v_div_scale_f32 v20, s[4:5], v9, v9, v7
	v_rcp_f32_e32 v21, v20
	v_fma_f32 v22, -v20, v21, 1.0
	v_fmac_f32_e32 v21, v22, v21
	v_div_scale_f32 v22, vcc, v7, v9, v7
	v_mul_f32_e32 v23, v22, v21
	v_fma_f32 v24, -v20, v23, v22
	v_fmac_f32_e32 v23, v24, v21
	v_fma_f32 v20, -v20, v23, v22
	v_div_fmas_f32 v20, v20, v21, v23
	v_div_fixup_f32 v7, v20, v9, v7
	v_min_f32_e32 v7, 0x43600000, v7
	v_max_f32_e32 v7, 0xc3600000, v7
	v_and_b32_e32 v20, 0x7fffffff, v7
	v_cmp_gt_u32_e32 vcc, s24, v20
	s_and_saveexec_b64 s[4:5], vcc
	s_cbranch_execz .LBB79_102
; %bb.97:                               ;   in Loop: Header=BB79_65 Depth=1
	v_cmp_lt_u32_e32 vcc, s25, v20
	s_mov_b64 s[6:7], 0
                                        ; implicit-def: $vgpr20
	s_and_saveexec_b64 s[8:9], vcc
	s_xor_b64 s[8:9], exec, s[8:9]
	s_cbranch_execnz .LBB79_172
; %bb.98:                               ;   in Loop: Header=BB79_65 Depth=1
	s_or_saveexec_b64 s[8:9], s[8:9]
                                        ; implicit-def: $sgpr12
	s_xor_b64 exec, exec, s[8:9]
	s_cbranch_execnz .LBB79_173
.LBB79_99:                              ;   in Loop: Header=BB79_65 Depth=1
	s_or_b64 exec, exec, s[8:9]
	v_mov_b32_e32 v8, s12
	s_and_saveexec_b64 s[8:9], s[6:7]
.LBB79_100:                             ;   in Loop: Header=BB79_65 Depth=1
	v_lshrrev_b32_e32 v7, 24, v7
	v_and_or_b32 v8, v7, s28, v20
.LBB79_101:                             ;   in Loop: Header=BB79_65 Depth=1
	s_or_b64 exec, exec, s[8:9]
.LBB79_102:                             ;   in Loop: Header=BB79_65 Depth=1
	s_or_b64 exec, exec, s[4:5]
	v_mul_f32_e32 v7, v37, v19
	v_bfe_u32 v19, v7, 16, 1
	v_add3_u32 v19, v7, v19, s23
	v_and_b32_e32 v19, 0xffff0000, v19
	v_cmp_o_f32_e32 vcc, v7, v7
	v_alignbit_b32 v4, v5, v4, 16
	v_cndmask_b32_e32 v7, v15, v19, vcc
	v_and_b32_e32 v4, 0xffff0000, v4
	v_mul_f32_e32 v4, v7, v4
	v_bfe_u32 v7, v4, 16, 1
	v_add3_u32 v7, v4, v7, s23
	v_and_b32_e32 v7, 0xffff0000, v7
	v_cmp_o_f32_e32 vcc, v4, v4
	v_cndmask_b32_e32 v4, v15, v7, vcc
	v_div_scale_f32 v7, s[4:5], v9, v9, v4
	v_rcp_f32_e32 v19, v7
	v_fma_f32 v20, -v7, v19, 1.0
	v_fmac_f32_e32 v19, v20, v19
	v_div_scale_f32 v20, vcc, v4, v9, v4
	v_mul_f32_e32 v21, v20, v19
	v_fma_f32 v22, -v7, v21, v20
	v_fmac_f32_e32 v21, v22, v19
	v_fma_f32 v7, -v7, v21, v20
	v_div_fmas_f32 v7, v7, v19, v21
	v_div_fixup_f32 v4, v7, v9, v4
	v_min_f32_e32 v4, 0x43600000, v4
	v_max_f32_e32 v19, 0xc3600000, v4
	v_and_b32_e32 v20, 0x7fffffff, v19
	v_cmp_gt_u32_e32 vcc, s24, v20
	v_mov_b32_e32 v4, 0x80
	v_mov_b32_e32 v7, 0x80
	s_and_saveexec_b64 s[4:5], vcc
	s_cbranch_execz .LBB79_108
; %bb.103:                              ;   in Loop: Header=BB79_65 Depth=1
	v_cmp_lt_u32_e32 vcc, s25, v20
	s_mov_b64 s[6:7], 0
                                        ; implicit-def: $vgpr20
	s_and_saveexec_b64 s[8:9], vcc
	s_xor_b64 s[8:9], exec, s[8:9]
	s_cbranch_execnz .LBB79_174
; %bb.104:                              ;   in Loop: Header=BB79_65 Depth=1
	s_or_saveexec_b64 s[8:9], s[8:9]
                                        ; implicit-def: $sgpr12
	s_xor_b64 exec, exec, s[8:9]
	s_cbranch_execnz .LBB79_175
.LBB79_105:                             ;   in Loop: Header=BB79_65 Depth=1
	s_or_b64 exec, exec, s[8:9]
	v_mov_b32_e32 v7, s12
	s_and_saveexec_b64 s[8:9], s[6:7]
.LBB79_106:                             ;   in Loop: Header=BB79_65 Depth=1
	v_lshrrev_b32_e32 v7, 24, v19
	v_and_or_b32 v7, v7, s28, v20
.LBB79_107:                             ;   in Loop: Header=BB79_65 Depth=1
	s_or_b64 exec, exec, s[8:9]
.LBB79_108:                             ;   in Loop: Header=BB79_65 Depth=1
	s_or_b64 exec, exec, s[4:5]
	v_mul_f32_e32 v18, v37, v18
	v_bfe_u32 v19, v18, 16, 1
	v_add3_u32 v19, v18, v19, s23
	v_and_b32_e32 v19, 0xffff0000, v19
	v_cmp_o_f32_e32 vcc, v18, v18
	v_cndmask_b32_e32 v18, v15, v19, vcc
	v_and_b32_e32 v5, 0xffff0000, v5
	v_mul_f32_e32 v5, v18, v5
	v_bfe_u32 v18, v5, 16, 1
	v_add3_u32 v18, v5, v18, s23
	v_and_b32_e32 v18, 0xffff0000, v18
	v_cmp_o_f32_e32 vcc, v5, v5
	v_cndmask_b32_e32 v5, v15, v18, vcc
	v_div_scale_f32 v18, s[4:5], v9, v9, v5
	v_rcp_f32_e32 v19, v18
	v_fma_f32 v20, -v18, v19, 1.0
	v_fmac_f32_e32 v19, v20, v19
	v_div_scale_f32 v20, vcc, v5, v9, v5
	v_mul_f32_e32 v21, v20, v19
	v_fma_f32 v22, -v18, v21, v20
	v_fmac_f32_e32 v21, v22, v19
	v_fma_f32 v18, -v18, v21, v20
	v_div_fmas_f32 v18, v18, v19, v21
	v_div_fixup_f32 v5, v18, v9, v5
	v_min_f32_e32 v5, 0x43600000, v5
	v_max_f32_e32 v5, 0xc3600000, v5
	v_and_b32_e32 v9, 0x7fffffff, v5
	v_cmp_gt_u32_e32 vcc, s24, v9
	s_and_saveexec_b64 s[4:5], vcc
	s_cbranch_execz .LBB79_114
; %bb.109:                              ;   in Loop: Header=BB79_65 Depth=1
	v_cmp_lt_u32_e32 vcc, s25, v9
	s_mov_b64 s[6:7], 0
                                        ; implicit-def: $vgpr9
	s_and_saveexec_b64 s[8:9], vcc
	s_xor_b64 s[8:9], exec, s[8:9]
	s_cbranch_execnz .LBB79_176
; %bb.110:                              ;   in Loop: Header=BB79_65 Depth=1
	s_or_saveexec_b64 s[8:9], s[8:9]
                                        ; implicit-def: $sgpr12
	s_xor_b64 exec, exec, s[8:9]
	s_cbranch_execnz .LBB79_177
.LBB79_111:                             ;   in Loop: Header=BB79_65 Depth=1
	s_or_b64 exec, exec, s[8:9]
	v_mov_b32_e32 v4, s12
	s_and_saveexec_b64 s[8:9], s[6:7]
.LBB79_112:                             ;   in Loop: Header=BB79_65 Depth=1
	v_lshrrev_b32_e32 v4, 24, v5
	v_and_or_b32 v4, v4, s28, v9
.LBB79_113:                             ;   in Loop: Header=BB79_65 Depth=1
	s_or_b64 exec, exec, s[8:9]
.LBB79_114:                             ;   in Loop: Header=BB79_65 Depth=1
	s_or_b64 exec, exec, s[4:5]
	v_lshlrev_b64 v[18:19], 2, v[2:3]
	v_mov_b32_e32 v3, s16
	v_add_co_u32_e32 v18, vcc, s11, v18
	v_addc_co_u32_e32 v19, vcc, v3, v19, vcc
	v_lshlrev_b32_e32 v3, 16, v7
	v_perm_b32 v3, v4, v3, s29
	v_lshlrev_b32_e32 v4, 8, v8
	v_and_b32_e32 v4, 0xff00, v4
	v_and_b32_e32 v5, 0xff, v6
	v_or3_b32 v3, v3, v4, v5
	v_add_u32_e32 v4, s22, v0
	v_cmp_gt_u32_e32 vcc, s10, v4
	s_mov_b64 s[6:7], -1
	global_store_dword v[18:19], v3, off
	s_and_saveexec_b64 s[4:5], vcc
	s_cbranch_execz .LBB79_63
; %bb.115:                              ;   in Loop: Header=BB79_65 Depth=1
	v_mov_b32_e32 v5, v1
	v_lshlrev_b64 v[6:7], 3, v[4:5]
	v_mov_b32_e32 v3, s46
	v_add_co_u32_e32 v8, vcc, s33, v6
	v_addc_co_u32_e32 v9, vcc, v3, v7, vcc
	global_load_dwordx2 v[20:21], v[8:9], off
	v_mov_b32_e32 v9, s48
	v_add_co_u32_e32 v8, vcc, s47, v6
	v_addc_co_u32_e32 v9, vcc, v9, v7, vcc
	global_load_dwordx2 v[22:23], v[8:9], off
	v_mov_b32_e32 v3, s19
	v_add_co_u32_e32 v6, vcc, s18, v6
	v_addc_co_u32_e32 v7, vcc, v3, v7, vcc
	v_bfe_u32 v3, v4, 4, 26
	v_mad_u64_u32 v[18:19], s[6:7], v10, v3, 0
	global_load_dwordx2 v[6:7], v[6:7], off
	v_mov_b32_e32 v24, v19
	v_mad_u64_u32 v[24:25], s[6:7], v11, v3, v[24:25]
	v_mov_b32_e32 v19, v24
	v_lshlrev_b64 v[18:19], 2, v[18:19]
	v_mov_b32_e32 v26, s20
	v_add_co_u32_e32 v18, vcc, s17, v18
	v_addc_co_u32_e32 v19, vcc, v26, v19, vcc
	global_load_dword v18, v[18:19], off
	v_mov_b32_e32 v3, 0x80
	s_waitcnt vmcnt(3)
	v_and_b32_e32 v19, 0xffff0000, v20
	v_lshlrev_b32_e32 v24, 16, v20
	v_alignbit_b32 v20, v21, v20, 16
	v_and_b32_e32 v25, 0xffff0000, v21
	v_and_b32_e32 v20, 0xffff0000, v20
	s_waitcnt vmcnt(2)
	v_and_b32_e32 v21, 0xffff0000, v22
	v_lshlrev_b32_e32 v26, 16, v22
	v_alignbit_b32 v22, v23, v22, 16
	v_and_b32_e32 v23, 0xffff0000, v23
	v_add_f32_e32 v21, v19, v21
	v_add_f32_e32 v19, v25, v23
	v_bfe_u32 v25, v19, 16, 1
	v_add_f32_e32 v24, v24, v26
	v_and_b32_e32 v22, 0xffff0000, v22
	v_bfe_u32 v23, v21, 16, 1
	v_add3_u32 v25, v19, v25, s23
	v_add_f32_e32 v20, v20, v22
	v_bfe_u32 v22, v24, 16, 1
	v_add3_u32 v23, v21, v23, s23
	v_and_b32_e32 v25, 0xffff0000, v25
	v_cmp_o_f32_e32 vcc, v19, v19
	v_mul_f32_e32 v26, v37, v24
	v_add3_u32 v22, v24, v22, s23
	v_bfe_u32 v28, v20, 16, 1
	v_and_b32_e32 v23, 0xffff0000, v23
	v_cndmask_b32_e32 v25, v15, v25, vcc
	v_cmp_o_f32_e32 vcc, v21, v21
	v_bfe_u32 v29, v26, 16, 1
	v_lshrrev_b32_e32 v22, 16, v22
	v_add3_u32 v28, v20, v28, s23
	v_cndmask_b32_e32 v23, v15, v23, vcc
	v_cmp_o_f32_e32 vcc, v24, v24
	v_add3_u32 v29, v26, v29, s23
	v_lshrrev_b32_e32 v28, 16, v28
	v_cndmask_b32_e32 v22, v16, v22, vcc
	v_cmp_o_f32_e32 vcc, v20, v20
	v_and_b32_e32 v24, 0xffff0000, v29
	v_cndmask_b32_e32 v28, v16, v28, vcc
	v_cmp_o_f32_e32 vcc, v26, v26
	s_waitcnt vmcnt(1)
	v_lshlrev_b32_e32 v27, 16, v6
	v_cndmask_b32_e32 v24, v15, v24, vcc
	v_mul_f32_e32 v24, v24, v27
	v_or_b32_e32 v22, v22, v23
	v_or3_b32 v23, 0, v28, v25
	v_bfe_u32 v25, v24, 16, 1
	v_add3_u32 v25, v24, v25, s23
	v_and_b32_e32 v25, 0xffff0000, v25
	v_cmp_o_f32_e32 vcc, v24, v24
	v_cndmask_b32_e32 v24, v15, v25, vcc
	s_waitcnt vmcnt(0)
	v_div_scale_f32 v25, s[6:7], v18, v18, v24
	v_rcp_f32_e32 v26, v25
	v_or3_b32 v22, v22, 0, 0
	global_store_dwordx2 v[8:9], v[22:23], off
	v_div_scale_f32 v8, vcc, v24, v18, v24
	v_fma_f32 v9, -v25, v26, 1.0
	v_fmac_f32_e32 v26, v9, v26
	v_mul_f32_e32 v9, v8, v26
	v_fma_f32 v22, -v25, v9, v8
	v_fmac_f32_e32 v9, v22, v26
	v_fma_f32 v8, -v25, v9, v8
	v_div_fmas_f32 v8, v8, v26, v9
	v_div_fixup_f32 v8, v8, v18, v24
	v_min_f32_e32 v8, 0x43600000, v8
	v_max_f32_e32 v9, 0xc3600000, v8
	v_and_b32_e32 v22, 0x7fffffff, v9
	v_cmp_gt_u32_e32 vcc, s24, v22
	v_mov_b32_e32 v8, 0x80
	s_and_saveexec_b64 s[6:7], vcc
	s_cbranch_execz .LBB79_121
; %bb.116:                              ;   in Loop: Header=BB79_65 Depth=1
	v_cmp_lt_u32_e32 vcc, s25, v22
	s_mov_b64 s[8:9], 0
                                        ; implicit-def: $vgpr22
	s_and_saveexec_b64 s[12:13], vcc
	s_xor_b64 s[12:13], exec, s[12:13]
	s_cbranch_execnz .LBB79_178
; %bb.117:                              ;   in Loop: Header=BB79_65 Depth=1
	s_or_saveexec_b64 s[12:13], s[12:13]
                                        ; implicit-def: $sgpr14
	s_xor_b64 exec, exec, s[12:13]
	s_cbranch_execnz .LBB79_179
.LBB79_118:                             ;   in Loop: Header=BB79_65 Depth=1
	s_or_b64 exec, exec, s[12:13]
	v_mov_b32_e32 v8, s14
	s_and_saveexec_b64 s[12:13], s[8:9]
.LBB79_119:                             ;   in Loop: Header=BB79_65 Depth=1
	v_lshrrev_b32_e32 v8, 24, v9
	v_and_or_b32 v8, v8, s28, v22
.LBB79_120:                             ;   in Loop: Header=BB79_65 Depth=1
	s_or_b64 exec, exec, s[12:13]
.LBB79_121:                             ;   in Loop: Header=BB79_65 Depth=1
	s_or_b64 exec, exec, s[6:7]
	v_mul_f32_e32 v21, v37, v21
	v_bfe_u32 v22, v21, 16, 1
	v_add3_u32 v22, v21, v22, s23
	v_and_b32_e32 v22, 0xffff0000, v22
	v_cmp_o_f32_e32 vcc, v21, v21
	v_and_b32_e32 v9, 0xffff0000, v6
	v_cndmask_b32_e32 v21, v15, v22, vcc
	v_mul_f32_e32 v9, v21, v9
	v_bfe_u32 v21, v9, 16, 1
	v_add3_u32 v21, v9, v21, s23
	v_and_b32_e32 v21, 0xffff0000, v21
	v_cmp_o_f32_e32 vcc, v9, v9
	v_cndmask_b32_e32 v9, v15, v21, vcc
	v_div_scale_f32 v21, s[6:7], v18, v18, v9
	v_rcp_f32_e32 v22, v21
	v_fma_f32 v23, -v21, v22, 1.0
	v_fmac_f32_e32 v22, v23, v22
	v_div_scale_f32 v23, vcc, v9, v18, v9
	v_mul_f32_e32 v24, v23, v22
	v_fma_f32 v25, -v21, v24, v23
	v_fmac_f32_e32 v24, v25, v22
	v_fma_f32 v21, -v21, v24, v23
	v_div_fmas_f32 v21, v21, v22, v24
	v_div_fixup_f32 v9, v21, v18, v9
	v_min_f32_e32 v9, 0x43600000, v9
	v_max_f32_e32 v9, 0xc3600000, v9
	v_and_b32_e32 v21, 0x7fffffff, v9
	v_cmp_gt_u32_e32 vcc, s24, v21
	s_and_saveexec_b64 s[6:7], vcc
	s_cbranch_execz .LBB79_127
; %bb.122:                              ;   in Loop: Header=BB79_65 Depth=1
	v_cmp_lt_u32_e32 vcc, s25, v21
	s_mov_b64 s[8:9], 0
                                        ; implicit-def: $vgpr21
	s_and_saveexec_b64 s[12:13], vcc
	s_xor_b64 s[12:13], exec, s[12:13]
	s_cbranch_execnz .LBB79_180
; %bb.123:                              ;   in Loop: Header=BB79_65 Depth=1
	s_or_saveexec_b64 s[12:13], s[12:13]
                                        ; implicit-def: $sgpr14
	s_xor_b64 exec, exec, s[12:13]
	s_cbranch_execnz .LBB79_181
.LBB79_124:                             ;   in Loop: Header=BB79_65 Depth=1
	s_or_b64 exec, exec, s[12:13]
	v_mov_b32_e32 v3, s14
	s_and_saveexec_b64 s[12:13], s[8:9]
.LBB79_125:                             ;   in Loop: Header=BB79_65 Depth=1
	v_lshrrev_b32_e32 v3, 24, v9
	v_and_or_b32 v3, v3, s28, v21
.LBB79_126:                             ;   in Loop: Header=BB79_65 Depth=1
	s_or_b64 exec, exec, s[12:13]
.LBB79_127:                             ;   in Loop: Header=BB79_65 Depth=1
	s_or_b64 exec, exec, s[6:7]
	v_mul_f32_e32 v9, v37, v20
	v_bfe_u32 v20, v9, 16, 1
	v_add3_u32 v20, v9, v20, s23
	v_and_b32_e32 v20, 0xffff0000, v20
	v_cmp_o_f32_e32 vcc, v9, v9
	v_alignbit_b32 v6, v7, v6, 16
	v_cndmask_b32_e32 v9, v15, v20, vcc
	v_and_b32_e32 v6, 0xffff0000, v6
	v_mul_f32_e32 v6, v9, v6
	v_bfe_u32 v9, v6, 16, 1
	v_add3_u32 v9, v6, v9, s23
	v_and_b32_e32 v9, 0xffff0000, v9
	v_cmp_o_f32_e32 vcc, v6, v6
	v_cndmask_b32_e32 v6, v15, v9, vcc
	v_div_scale_f32 v9, s[6:7], v18, v18, v6
	v_rcp_f32_e32 v20, v9
	v_fma_f32 v21, -v9, v20, 1.0
	v_fmac_f32_e32 v20, v21, v20
	v_div_scale_f32 v21, vcc, v6, v18, v6
	v_mul_f32_e32 v22, v21, v20
	v_fma_f32 v23, -v9, v22, v21
	v_fmac_f32_e32 v22, v23, v20
	v_fma_f32 v9, -v9, v22, v21
	v_div_fmas_f32 v9, v9, v20, v22
	v_div_fixup_f32 v6, v9, v18, v6
	v_min_f32_e32 v6, 0x43600000, v6
	v_max_f32_e32 v20, 0xc3600000, v6
	v_and_b32_e32 v21, 0x7fffffff, v20
	v_cmp_gt_u32_e32 vcc, s24, v21
	v_mov_b32_e32 v6, 0x80
	v_mov_b32_e32 v9, 0x80
	s_and_saveexec_b64 s[6:7], vcc
	s_cbranch_execz .LBB79_133
; %bb.128:                              ;   in Loop: Header=BB79_65 Depth=1
	v_cmp_lt_u32_e32 vcc, s25, v21
	s_mov_b64 s[8:9], 0
                                        ; implicit-def: $vgpr21
	s_and_saveexec_b64 s[12:13], vcc
	s_xor_b64 s[12:13], exec, s[12:13]
	s_cbranch_execnz .LBB79_182
; %bb.129:                              ;   in Loop: Header=BB79_65 Depth=1
	s_or_saveexec_b64 s[12:13], s[12:13]
                                        ; implicit-def: $sgpr14
	s_xor_b64 exec, exec, s[12:13]
	s_cbranch_execnz .LBB79_183
.LBB79_130:                             ;   in Loop: Header=BB79_65 Depth=1
	s_or_b64 exec, exec, s[12:13]
	v_mov_b32_e32 v9, s14
	s_and_saveexec_b64 s[12:13], s[8:9]
.LBB79_131:                             ;   in Loop: Header=BB79_65 Depth=1
	v_lshrrev_b32_e32 v9, 24, v20
	v_and_or_b32 v9, v9, s28, v21
.LBB79_132:                             ;   in Loop: Header=BB79_65 Depth=1
	s_or_b64 exec, exec, s[12:13]
.LBB79_133:                             ;   in Loop: Header=BB79_65 Depth=1
	s_or_b64 exec, exec, s[6:7]
	v_mul_f32_e32 v19, v37, v19
	v_bfe_u32 v20, v19, 16, 1
	v_add3_u32 v20, v19, v20, s23
	v_and_b32_e32 v20, 0xffff0000, v20
	v_cmp_o_f32_e32 vcc, v19, v19
	v_cndmask_b32_e32 v19, v15, v20, vcc
	v_and_b32_e32 v7, 0xffff0000, v7
	v_mul_f32_e32 v7, v19, v7
	v_bfe_u32 v19, v7, 16, 1
	v_add3_u32 v19, v7, v19, s23
	v_and_b32_e32 v19, 0xffff0000, v19
	v_cmp_o_f32_e32 vcc, v7, v7
	v_cndmask_b32_e32 v7, v15, v19, vcc
	v_div_scale_f32 v19, s[6:7], v18, v18, v7
	v_rcp_f32_e32 v20, v19
	v_fma_f32 v21, -v19, v20, 1.0
	v_fmac_f32_e32 v20, v21, v20
	v_div_scale_f32 v21, vcc, v7, v18, v7
	v_mul_f32_e32 v22, v21, v20
	v_fma_f32 v23, -v19, v22, v21
	v_fmac_f32_e32 v22, v23, v20
	v_fma_f32 v19, -v19, v22, v21
	v_div_fmas_f32 v19, v19, v20, v22
	v_div_fixup_f32 v7, v19, v18, v7
	v_min_f32_e32 v7, 0x43600000, v7
	v_max_f32_e32 v7, 0xc3600000, v7
	v_and_b32_e32 v18, 0x7fffffff, v7
	v_cmp_gt_u32_e32 vcc, s24, v18
	s_and_saveexec_b64 s[6:7], vcc
	s_cbranch_execz .LBB79_139
; %bb.134:                              ;   in Loop: Header=BB79_65 Depth=1
	v_cmp_lt_u32_e32 vcc, s25, v18
	s_mov_b64 s[8:9], 0
                                        ; implicit-def: $vgpr18
	s_and_saveexec_b64 s[12:13], vcc
	s_xor_b64 s[12:13], exec, s[12:13]
	s_cbranch_execnz .LBB79_184
; %bb.135:                              ;   in Loop: Header=BB79_65 Depth=1
	s_or_saveexec_b64 s[12:13], s[12:13]
                                        ; implicit-def: $sgpr14
	s_xor_b64 exec, exec, s[12:13]
	s_cbranch_execnz .LBB79_185
.LBB79_136:                             ;   in Loop: Header=BB79_65 Depth=1
	s_or_b64 exec, exec, s[12:13]
	v_mov_b32_e32 v6, s14
	s_and_saveexec_b64 s[12:13], s[8:9]
.LBB79_137:                             ;   in Loop: Header=BB79_65 Depth=1
	v_lshrrev_b32_e32 v6, 24, v7
	v_and_or_b32 v6, v6, s28, v18
.LBB79_138:                             ;   in Loop: Header=BB79_65 Depth=1
	s_or_b64 exec, exec, s[12:13]
.LBB79_139:                             ;   in Loop: Header=BB79_65 Depth=1
	s_or_b64 exec, exec, s[6:7]
	v_lshlrev_b64 v[4:5], 2, v[4:5]
	v_mov_b32_e32 v7, s16
	v_add_co_u32_e32 v4, vcc, s11, v4
	v_addc_co_u32_e32 v5, vcc, v7, v5, vcc
	v_lshlrev_b32_e32 v7, 16, v9
	v_lshlrev_b32_e32 v3, 8, v3
	v_perm_b32 v6, v6, v7, s29
	v_and_b32_e32 v3, 0xff00, v3
	v_and_b32_e32 v7, 0xff, v8
	v_add_u32_e32 v0, s21, v0
	v_or3_b32 v3, v6, v3, v7
	v_cmp_gt_u32_e32 vcc, s10, v0
	s_mov_b64 s[8:9], -1
	global_store_dword v[4:5], v3, off
	s_and_saveexec_b64 s[6:7], vcc
	s_cbranch_execz .LBB79_62
; %bb.140:                              ;   in Loop: Header=BB79_65 Depth=1
	v_lshlrev_b64 v[4:5], 3, v[0:1]
	v_mov_b32_e32 v3, s46
	v_add_co_u32_e32 v6, vcc, s33, v4
	v_addc_co_u32_e32 v7, vcc, v3, v5, vcc
	global_load_dwordx2 v[18:19], v[6:7], off
	v_mov_b32_e32 v7, s48
	v_add_co_u32_e32 v6, vcc, s47, v4
	v_addc_co_u32_e32 v7, vcc, v7, v5, vcc
	global_load_dwordx2 v[20:21], v[6:7], off
	v_mov_b32_e32 v3, s19
	v_add_co_u32_e32 v4, vcc, s18, v4
	v_addc_co_u32_e32 v5, vcc, v3, v5, vcc
	v_bfe_u32 v3, v0, 4, 26
	v_mad_u64_u32 v[8:9], s[8:9], v10, v3, 0
	global_load_dwordx2 v[4:5], v[4:5], off
	v_mov_b32_e32 v22, v9
	v_mad_u64_u32 v[22:23], s[8:9], v11, v3, v[22:23]
	v_mov_b32_e32 v9, v22
	v_lshlrev_b64 v[8:9], 2, v[8:9]
	v_mov_b32_e32 v24, s20
	v_add_co_u32_e32 v8, vcc, s17, v8
	v_addc_co_u32_e32 v9, vcc, v24, v9, vcc
	global_load_dword v8, v[8:9], off
	v_mov_b32_e32 v3, 0x80
	s_waitcnt vmcnt(3)
	v_and_b32_e32 v9, 0xffff0000, v18
	v_lshlrev_b32_e32 v22, 16, v18
	v_alignbit_b32 v18, v19, v18, 16
	v_and_b32_e32 v23, 0xffff0000, v19
	v_and_b32_e32 v18, 0xffff0000, v18
	s_waitcnt vmcnt(2)
	v_and_b32_e32 v19, 0xffff0000, v20
	v_lshlrev_b32_e32 v24, 16, v20
	v_alignbit_b32 v20, v21, v20, 16
	v_and_b32_e32 v21, 0xffff0000, v21
	v_add_f32_e32 v19, v9, v19
	v_add_f32_e32 v9, v23, v21
	v_bfe_u32 v23, v9, 16, 1
	v_add_f32_e32 v22, v22, v24
	v_and_b32_e32 v20, 0xffff0000, v20
	v_bfe_u32 v21, v19, 16, 1
	v_add3_u32 v23, v9, v23, s23
	v_add_f32_e32 v18, v18, v20
	v_bfe_u32 v20, v22, 16, 1
	v_add3_u32 v21, v19, v21, s23
	v_and_b32_e32 v23, 0xffff0000, v23
	v_cmp_o_f32_e32 vcc, v9, v9
	v_mul_f32_e32 v24, v37, v22
	v_add3_u32 v20, v22, v20, s23
	v_bfe_u32 v26, v18, 16, 1
	v_and_b32_e32 v21, 0xffff0000, v21
	v_cndmask_b32_e32 v23, v15, v23, vcc
	v_cmp_o_f32_e32 vcc, v19, v19
	v_bfe_u32 v27, v24, 16, 1
	v_lshrrev_b32_e32 v20, 16, v20
	v_add3_u32 v26, v18, v26, s23
	v_cndmask_b32_e32 v21, v15, v21, vcc
	v_cmp_o_f32_e32 vcc, v22, v22
	v_add3_u32 v27, v24, v27, s23
	v_lshrrev_b32_e32 v26, 16, v26
	v_cndmask_b32_e32 v20, v16, v20, vcc
	v_cmp_o_f32_e32 vcc, v18, v18
	v_and_b32_e32 v22, 0xffff0000, v27
	v_cndmask_b32_e32 v26, v16, v26, vcc
	v_cmp_o_f32_e32 vcc, v24, v24
	s_waitcnt vmcnt(1)
	v_lshlrev_b32_e32 v25, 16, v4
	v_cndmask_b32_e32 v22, v15, v22, vcc
	v_mul_f32_e32 v22, v22, v25
	v_or_b32_e32 v20, v20, v21
	v_or3_b32 v21, 0, v26, v23
	v_bfe_u32 v23, v22, 16, 1
	v_add3_u32 v23, v22, v23, s23
	v_and_b32_e32 v23, 0xffff0000, v23
	v_cmp_o_f32_e32 vcc, v22, v22
	v_cndmask_b32_e32 v22, v15, v23, vcc
	s_waitcnt vmcnt(0)
	v_div_scale_f32 v23, s[8:9], v8, v8, v22
	v_rcp_f32_e32 v24, v23
	v_or3_b32 v20, v20, 0, 0
	global_store_dwordx2 v[6:7], v[20:21], off
	v_div_scale_f32 v6, vcc, v22, v8, v22
	v_fma_f32 v7, -v23, v24, 1.0
	v_fmac_f32_e32 v24, v7, v24
	v_mul_f32_e32 v7, v6, v24
	v_fma_f32 v20, -v23, v7, v6
	v_fmac_f32_e32 v7, v20, v24
	v_fma_f32 v6, -v23, v7, v6
	v_div_fmas_f32 v6, v6, v24, v7
	v_div_fixup_f32 v6, v6, v8, v22
	v_min_f32_e32 v6, 0x43600000, v6
	v_max_f32_e32 v7, 0xc3600000, v6
	v_and_b32_e32 v20, 0x7fffffff, v7
	v_cmp_gt_u32_e32 vcc, s24, v20
	v_mov_b32_e32 v6, 0x80
	s_and_saveexec_b64 s[8:9], vcc
	s_cbranch_execz .LBB79_146
; %bb.141:                              ;   in Loop: Header=BB79_65 Depth=1
	v_cmp_lt_u32_e32 vcc, s25, v20
	s_mov_b64 s[12:13], 0
                                        ; implicit-def: $vgpr20
	s_and_saveexec_b64 s[14:15], vcc
	s_xor_b64 s[14:15], exec, s[14:15]
	s_cbranch_execnz .LBB79_186
; %bb.142:                              ;   in Loop: Header=BB79_65 Depth=1
	s_or_saveexec_b64 s[14:15], s[14:15]
                                        ; implicit-def: $sgpr30
	s_xor_b64 exec, exec, s[14:15]
	s_cbranch_execnz .LBB79_187
.LBB79_143:                             ;   in Loop: Header=BB79_65 Depth=1
	s_or_b64 exec, exec, s[14:15]
	v_mov_b32_e32 v6, s30
	s_and_saveexec_b64 s[14:15], s[12:13]
.LBB79_144:                             ;   in Loop: Header=BB79_65 Depth=1
	v_lshrrev_b32_e32 v6, 24, v7
	v_and_or_b32 v6, v6, s28, v20
.LBB79_145:                             ;   in Loop: Header=BB79_65 Depth=1
	s_or_b64 exec, exec, s[14:15]
.LBB79_146:                             ;   in Loop: Header=BB79_65 Depth=1
	s_or_b64 exec, exec, s[8:9]
	v_mul_f32_e32 v19, v37, v19
	v_bfe_u32 v20, v19, 16, 1
	v_add3_u32 v20, v19, v20, s23
	v_and_b32_e32 v20, 0xffff0000, v20
	v_cmp_o_f32_e32 vcc, v19, v19
	v_and_b32_e32 v7, 0xffff0000, v4
	v_cndmask_b32_e32 v19, v15, v20, vcc
	v_mul_f32_e32 v7, v19, v7
	v_bfe_u32 v19, v7, 16, 1
	v_add3_u32 v19, v7, v19, s23
	v_and_b32_e32 v19, 0xffff0000, v19
	v_cmp_o_f32_e32 vcc, v7, v7
	v_cndmask_b32_e32 v7, v15, v19, vcc
	v_div_scale_f32 v19, s[8:9], v8, v8, v7
	v_rcp_f32_e32 v20, v19
	v_fma_f32 v21, -v19, v20, 1.0
	v_fmac_f32_e32 v20, v21, v20
	v_div_scale_f32 v21, vcc, v7, v8, v7
	v_mul_f32_e32 v22, v21, v20
	v_fma_f32 v23, -v19, v22, v21
	v_fmac_f32_e32 v22, v23, v20
	v_fma_f32 v19, -v19, v22, v21
	v_div_fmas_f32 v19, v19, v20, v22
	v_div_fixup_f32 v7, v19, v8, v7
	v_min_f32_e32 v7, 0x43600000, v7
	v_max_f32_e32 v7, 0xc3600000, v7
	v_and_b32_e32 v19, 0x7fffffff, v7
	v_cmp_gt_u32_e32 vcc, s24, v19
	s_and_saveexec_b64 s[8:9], vcc
	s_cbranch_execz .LBB79_152
; %bb.147:                              ;   in Loop: Header=BB79_65 Depth=1
	v_cmp_lt_u32_e32 vcc, s25, v19
	s_mov_b64 s[12:13], 0
                                        ; implicit-def: $vgpr19
	s_and_saveexec_b64 s[14:15], vcc
	s_xor_b64 s[14:15], exec, s[14:15]
	s_cbranch_execnz .LBB79_188
; %bb.148:                              ;   in Loop: Header=BB79_65 Depth=1
	s_or_saveexec_b64 s[14:15], s[14:15]
                                        ; implicit-def: $sgpr30
	s_xor_b64 exec, exec, s[14:15]
	s_cbranch_execnz .LBB79_189
.LBB79_149:                             ;   in Loop: Header=BB79_65 Depth=1
	s_or_b64 exec, exec, s[14:15]
	v_mov_b32_e32 v3, s30
	s_and_saveexec_b64 s[14:15], s[12:13]
.LBB79_150:                             ;   in Loop: Header=BB79_65 Depth=1
	v_lshrrev_b32_e32 v3, 24, v7
	v_and_or_b32 v3, v3, s28, v19
.LBB79_151:                             ;   in Loop: Header=BB79_65 Depth=1
	s_or_b64 exec, exec, s[14:15]
.LBB79_152:                             ;   in Loop: Header=BB79_65 Depth=1
	s_or_b64 exec, exec, s[8:9]
	v_mul_f32_e32 v7, v37, v18
	v_bfe_u32 v18, v7, 16, 1
	v_add3_u32 v18, v7, v18, s23
	v_and_b32_e32 v18, 0xffff0000, v18
	v_cmp_o_f32_e32 vcc, v7, v7
	v_alignbit_b32 v4, v5, v4, 16
	v_cndmask_b32_e32 v7, v15, v18, vcc
	v_and_b32_e32 v4, 0xffff0000, v4
	v_mul_f32_e32 v4, v7, v4
	v_bfe_u32 v7, v4, 16, 1
	v_add3_u32 v7, v4, v7, s23
	v_and_b32_e32 v7, 0xffff0000, v7
	v_cmp_o_f32_e32 vcc, v4, v4
	v_cndmask_b32_e32 v4, v15, v7, vcc
	v_div_scale_f32 v7, s[8:9], v8, v8, v4
	v_rcp_f32_e32 v18, v7
	v_fma_f32 v19, -v7, v18, 1.0
	v_fmac_f32_e32 v18, v19, v18
	v_div_scale_f32 v19, vcc, v4, v8, v4
	v_mul_f32_e32 v20, v19, v18
	v_fma_f32 v21, -v7, v20, v19
	v_fmac_f32_e32 v20, v21, v18
	v_fma_f32 v7, -v7, v20, v19
	v_div_fmas_f32 v7, v7, v18, v20
	v_div_fixup_f32 v4, v7, v8, v4
	v_min_f32_e32 v4, 0x43600000, v4
	v_max_f32_e32 v18, 0xc3600000, v4
	v_and_b32_e32 v19, 0x7fffffff, v18
	v_cmp_gt_u32_e32 vcc, s24, v19
	v_mov_b32_e32 v4, 0x80
	v_mov_b32_e32 v7, 0x80
	s_and_saveexec_b64 s[8:9], vcc
	s_cbranch_execz .LBB79_158
; %bb.153:                              ;   in Loop: Header=BB79_65 Depth=1
	v_cmp_lt_u32_e32 vcc, s25, v19
	s_mov_b64 s[12:13], 0
                                        ; implicit-def: $vgpr19
	s_and_saveexec_b64 s[14:15], vcc
	s_xor_b64 s[14:15], exec, s[14:15]
	s_cbranch_execnz .LBB79_190
; %bb.154:                              ;   in Loop: Header=BB79_65 Depth=1
	s_or_saveexec_b64 s[14:15], s[14:15]
                                        ; implicit-def: $sgpr30
	s_xor_b64 exec, exec, s[14:15]
	s_cbranch_execnz .LBB79_191
.LBB79_155:                             ;   in Loop: Header=BB79_65 Depth=1
	s_or_b64 exec, exec, s[14:15]
	v_mov_b32_e32 v7, s30
	s_and_saveexec_b64 s[14:15], s[12:13]
.LBB79_156:                             ;   in Loop: Header=BB79_65 Depth=1
	v_lshrrev_b32_e32 v7, 24, v18
	v_and_or_b32 v7, v7, s28, v19
.LBB79_157:                             ;   in Loop: Header=BB79_65 Depth=1
	s_or_b64 exec, exec, s[14:15]
.LBB79_158:                             ;   in Loop: Header=BB79_65 Depth=1
	s_or_b64 exec, exec, s[8:9]
	v_mul_f32_e32 v9, v37, v9
	v_bfe_u32 v18, v9, 16, 1
	v_add3_u32 v18, v9, v18, s23
	v_and_b32_e32 v18, 0xffff0000, v18
	v_cmp_o_f32_e32 vcc, v9, v9
	v_cndmask_b32_e32 v9, v15, v18, vcc
	v_and_b32_e32 v5, 0xffff0000, v5
	v_mul_f32_e32 v5, v9, v5
	v_bfe_u32 v9, v5, 16, 1
	v_add3_u32 v9, v5, v9, s23
	v_and_b32_e32 v9, 0xffff0000, v9
	v_cmp_o_f32_e32 vcc, v5, v5
	v_cndmask_b32_e32 v5, v15, v9, vcc
	v_div_scale_f32 v9, s[8:9], v8, v8, v5
	v_rcp_f32_e32 v18, v9
	v_fma_f32 v19, -v9, v18, 1.0
	v_fmac_f32_e32 v18, v19, v18
	v_div_scale_f32 v19, vcc, v5, v8, v5
	v_mul_f32_e32 v20, v19, v18
	v_fma_f32 v21, -v9, v20, v19
	v_fmac_f32_e32 v20, v21, v18
	v_fma_f32 v9, -v9, v20, v19
	v_div_fmas_f32 v9, v9, v18, v20
	v_div_fixup_f32 v5, v9, v8, v5
	v_min_f32_e32 v5, 0x43600000, v5
	v_max_f32_e32 v5, 0xc3600000, v5
	v_and_b32_e32 v8, 0x7fffffff, v5
	v_cmp_gt_u32_e32 vcc, s24, v8
	s_and_saveexec_b64 s[8:9], vcc
	s_cbranch_execz .LBB79_61
; %bb.159:                              ;   in Loop: Header=BB79_65 Depth=1
	v_cmp_lt_u32_e32 vcc, s25, v8
	s_mov_b64 s[12:13], 0
                                        ; implicit-def: $vgpr8
	s_and_saveexec_b64 s[14:15], vcc
	s_xor_b64 s[14:15], exec, s[14:15]
	s_cbranch_execnz .LBB79_192
; %bb.160:                              ;   in Loop: Header=BB79_65 Depth=1
	s_or_saveexec_b64 s[14:15], s[14:15]
                                        ; implicit-def: $sgpr30
	s_xor_b64 exec, exec, s[14:15]
	s_cbranch_execnz .LBB79_193
.LBB79_161:                             ;   in Loop: Header=BB79_65 Depth=1
	s_or_b64 exec, exec, s[14:15]
	v_mov_b32_e32 v4, s30
	s_and_saveexec_b64 s[14:15], s[12:13]
	s_cbranch_execz .LBB79_60
	s_branch .LBB79_194
.LBB79_162:                             ;   in Loop: Header=BB79_65 Depth=1
	v_bfe_u32 v4, v5, 20, 1
	v_add3_u32 v4, v5, v4, s26
	s_mov_b64 s[4:5], exec
	v_lshrrev_b32_e32 v19, 20, v4
	s_or_saveexec_b64 s[6:7], s[6:7]
                                        ; implicit-def: $sgpr8
	s_xor_b64 exec, exec, s[6:7]
	s_cbranch_execz .LBB79_68
.LBB79_163:                             ;   in Loop: Header=BB79_65 Depth=1
	v_add_f32_e64 v4, |v5|, s27
	v_and_b32_e32 v19, 0xff, v4
	v_cmp_ne_u32_e32 vcc, 0, v19
	s_andn2_b64 s[4:5], s[4:5], exec
	s_and_b64 s[12:13], vcc, exec
	s_mov_b32 s8, 0
	s_or_b64 s[4:5], s[4:5], s[12:13]
	s_or_b64 exec, exec, s[6:7]
	v_mov_b32_e32 v4, s8
	s_and_saveexec_b64 s[6:7], s[4:5]
	s_cbranch_execnz .LBB79_69
	s_branch .LBB79_70
.LBB79_164:                             ;   in Loop: Header=BB79_65 Depth=1
	v_bfe_u32 v6, v5, 20, 1
	v_add3_u32 v6, v5, v6, s26
	s_mov_b64 s[4:5], exec
	v_lshrrev_b32_e32 v18, 20, v6
	s_or_saveexec_b64 s[6:7], s[6:7]
                                        ; implicit-def: $sgpr8
	s_xor_b64 exec, exec, s[6:7]
	s_cbranch_execz .LBB79_74
.LBB79_165:                             ;   in Loop: Header=BB79_65 Depth=1
	v_add_f32_e64 v6, |v5|, s27
	v_and_b32_e32 v18, 0xff, v6
	v_cmp_ne_u32_e32 vcc, 0, v18
	s_andn2_b64 s[4:5], s[4:5], exec
	s_and_b64 s[12:13], vcc, exec
	s_mov_b32 s8, 0
	s_or_b64 s[4:5], s[4:5], s[12:13]
	s_or_b64 exec, exec, s[6:7]
	v_mov_b32_e32 v6, s8
	s_and_saveexec_b64 s[6:7], s[4:5]
	s_cbranch_execnz .LBB79_75
	s_branch .LBB79_76
.LBB79_166:                             ;   in Loop: Header=BB79_65 Depth=1
	v_bfe_u32 v5, v9, 20, 1
	v_add3_u32 v5, v9, v5, s26
	s_mov_b64 s[4:5], exec
	v_lshrrev_b32_e32 v18, 20, v5
	s_or_saveexec_b64 s[6:7], s[6:7]
                                        ; implicit-def: $sgpr8
	s_xor_b64 exec, exec, s[6:7]
	s_cbranch_execz .LBB79_80
.LBB79_167:                             ;   in Loop: Header=BB79_65 Depth=1
	v_add_f32_e64 v5, |v9|, s27
	v_and_b32_e32 v18, 0xff, v5
	v_cmp_ne_u32_e32 vcc, 0, v18
	s_andn2_b64 s[4:5], s[4:5], exec
	s_and_b64 s[12:13], vcc, exec
	s_mov_b32 s8, 0
	s_or_b64 s[4:5], s[4:5], s[12:13]
	s_or_b64 exec, exec, s[6:7]
	v_mov_b32_e32 v5, s8
	s_and_saveexec_b64 s[6:7], s[4:5]
	s_cbranch_execnz .LBB79_81
	s_branch .LBB79_82
.LBB79_168:                             ;   in Loop: Header=BB79_65 Depth=1
	v_bfe_u32 v2, v3, 20, 1
	v_add3_u32 v2, v3, v2, s26
	s_mov_b64 s[4:5], exec
	v_lshrrev_b32_e32 v7, 20, v2
	s_or_saveexec_b64 s[6:7], s[6:7]
                                        ; implicit-def: $sgpr8
	s_xor_b64 exec, exec, s[6:7]
	s_cbranch_execz .LBB79_86
.LBB79_169:                             ;   in Loop: Header=BB79_65 Depth=1
	v_add_f32_e64 v2, |v3|, s27
	v_and_b32_e32 v7, 0xff, v2
	v_cmp_ne_u32_e32 vcc, 0, v7
	s_andn2_b64 s[4:5], s[4:5], exec
	s_and_b64 s[12:13], vcc, exec
	s_mov_b32 s8, 0
	s_or_b64 s[4:5], s[4:5], s[12:13]
	s_or_b64 exec, exec, s[6:7]
	v_mov_b32_e32 v2, s8
	s_and_saveexec_b64 s[6:7], s[4:5]
	s_cbranch_execnz .LBB79_87
	s_branch .LBB79_88
.LBB79_170:                             ;   in Loop: Header=BB79_65 Depth=1
	v_bfe_u32 v6, v7, 20, 1
	v_add3_u32 v6, v7, v6, s26
	s_mov_b64 s[6:7], exec
	v_lshrrev_b32_e32 v21, 20, v6
	s_or_saveexec_b64 s[8:9], s[8:9]
                                        ; implicit-def: $sgpr12
	s_xor_b64 exec, exec, s[8:9]
	s_cbranch_execz .LBB79_93
.LBB79_171:                             ;   in Loop: Header=BB79_65 Depth=1
	v_add_f32_e64 v6, |v7|, s27
	v_and_b32_e32 v21, 0xff, v6
	v_cmp_ne_u32_e32 vcc, 0, v21
	s_andn2_b64 s[6:7], s[6:7], exec
	s_and_b64 s[14:15], vcc, exec
	s_mov_b32 s12, 0
	s_or_b64 s[6:7], s[6:7], s[14:15]
	s_or_b64 exec, exec, s[8:9]
	v_mov_b32_e32 v6, s12
	s_and_saveexec_b64 s[8:9], s[6:7]
	s_cbranch_execnz .LBB79_94
	s_branch .LBB79_95
.LBB79_172:                             ;   in Loop: Header=BB79_65 Depth=1
	v_bfe_u32 v8, v7, 20, 1
	v_add3_u32 v8, v7, v8, s26
	s_mov_b64 s[6:7], exec
	v_lshrrev_b32_e32 v20, 20, v8
	s_or_saveexec_b64 s[8:9], s[8:9]
                                        ; implicit-def: $sgpr12
	s_xor_b64 exec, exec, s[8:9]
	s_cbranch_execz .LBB79_99
.LBB79_173:                             ;   in Loop: Header=BB79_65 Depth=1
	v_add_f32_e64 v8, |v7|, s27
	v_and_b32_e32 v20, 0xff, v8
	v_cmp_ne_u32_e32 vcc, 0, v20
	s_andn2_b64 s[6:7], s[6:7], exec
	s_and_b64 s[14:15], vcc, exec
	s_mov_b32 s12, 0
	s_or_b64 s[6:7], s[6:7], s[14:15]
	s_or_b64 exec, exec, s[8:9]
	v_mov_b32_e32 v8, s12
	s_and_saveexec_b64 s[8:9], s[6:7]
	s_cbranch_execnz .LBB79_100
	s_branch .LBB79_101
.LBB79_174:                             ;   in Loop: Header=BB79_65 Depth=1
	v_bfe_u32 v7, v19, 20, 1
	v_add3_u32 v7, v19, v7, s26
	s_mov_b64 s[6:7], exec
	v_lshrrev_b32_e32 v20, 20, v7
	s_or_saveexec_b64 s[8:9], s[8:9]
                                        ; implicit-def: $sgpr12
	s_xor_b64 exec, exec, s[8:9]
	s_cbranch_execz .LBB79_105
.LBB79_175:                             ;   in Loop: Header=BB79_65 Depth=1
	v_add_f32_e64 v7, |v19|, s27
	v_and_b32_e32 v20, 0xff, v7
	v_cmp_ne_u32_e32 vcc, 0, v20
	s_andn2_b64 s[6:7], s[6:7], exec
	s_and_b64 s[14:15], vcc, exec
	s_mov_b32 s12, 0
	s_or_b64 s[6:7], s[6:7], s[14:15]
	s_or_b64 exec, exec, s[8:9]
	v_mov_b32_e32 v7, s12
	s_and_saveexec_b64 s[8:9], s[6:7]
	s_cbranch_execnz .LBB79_106
	s_branch .LBB79_107
.LBB79_176:                             ;   in Loop: Header=BB79_65 Depth=1
	v_bfe_u32 v4, v5, 20, 1
	v_add3_u32 v4, v5, v4, s26
	s_mov_b64 s[6:7], exec
	v_lshrrev_b32_e32 v9, 20, v4
	s_or_saveexec_b64 s[8:9], s[8:9]
                                        ; implicit-def: $sgpr12
	s_xor_b64 exec, exec, s[8:9]
	s_cbranch_execz .LBB79_111
.LBB79_177:                             ;   in Loop: Header=BB79_65 Depth=1
	v_add_f32_e64 v4, |v5|, s27
	v_and_b32_e32 v9, 0xff, v4
	v_cmp_ne_u32_e32 vcc, 0, v9
	s_andn2_b64 s[6:7], s[6:7], exec
	s_and_b64 s[14:15], vcc, exec
	s_mov_b32 s12, 0
	s_or_b64 s[6:7], s[6:7], s[14:15]
	s_or_b64 exec, exec, s[8:9]
	v_mov_b32_e32 v4, s12
	s_and_saveexec_b64 s[8:9], s[6:7]
	s_cbranch_execnz .LBB79_112
	s_branch .LBB79_113
.LBB79_178:                             ;   in Loop: Header=BB79_65 Depth=1
	v_bfe_u32 v8, v9, 20, 1
	v_add3_u32 v8, v9, v8, s26
	s_mov_b64 s[8:9], exec
	v_lshrrev_b32_e32 v22, 20, v8
	s_or_saveexec_b64 s[12:13], s[12:13]
                                        ; implicit-def: $sgpr14
	s_xor_b64 exec, exec, s[12:13]
	s_cbranch_execz .LBB79_118
.LBB79_179:                             ;   in Loop: Header=BB79_65 Depth=1
	v_add_f32_e64 v8, |v9|, s27
	v_and_b32_e32 v22, 0xff, v8
	v_cmp_ne_u32_e32 vcc, 0, v22
	s_andn2_b64 s[8:9], s[8:9], exec
	s_and_b64 s[30:31], vcc, exec
	s_mov_b32 s14, 0
	s_or_b64 s[8:9], s[8:9], s[30:31]
	s_or_b64 exec, exec, s[12:13]
	v_mov_b32_e32 v8, s14
	s_and_saveexec_b64 s[12:13], s[8:9]
	s_cbranch_execnz .LBB79_119
	s_branch .LBB79_120
.LBB79_180:                             ;   in Loop: Header=BB79_65 Depth=1
	v_bfe_u32 v3, v9, 20, 1
	v_add3_u32 v3, v9, v3, s26
	s_mov_b64 s[8:9], exec
	v_lshrrev_b32_e32 v21, 20, v3
	s_or_saveexec_b64 s[12:13], s[12:13]
                                        ; implicit-def: $sgpr14
	s_xor_b64 exec, exec, s[12:13]
	s_cbranch_execz .LBB79_124
.LBB79_181:                             ;   in Loop: Header=BB79_65 Depth=1
	v_add_f32_e64 v3, |v9|, s27
	v_and_b32_e32 v21, 0xff, v3
	v_cmp_ne_u32_e32 vcc, 0, v21
	s_andn2_b64 s[8:9], s[8:9], exec
	s_and_b64 s[30:31], vcc, exec
	s_mov_b32 s14, 0
	s_or_b64 s[8:9], s[8:9], s[30:31]
	s_or_b64 exec, exec, s[12:13]
	v_mov_b32_e32 v3, s14
	s_and_saveexec_b64 s[12:13], s[8:9]
	s_cbranch_execnz .LBB79_125
	s_branch .LBB79_126
.LBB79_182:                             ;   in Loop: Header=BB79_65 Depth=1
	v_bfe_u32 v9, v20, 20, 1
	v_add3_u32 v9, v20, v9, s26
	s_mov_b64 s[8:9], exec
	v_lshrrev_b32_e32 v21, 20, v9
	s_or_saveexec_b64 s[12:13], s[12:13]
                                        ; implicit-def: $sgpr14
	s_xor_b64 exec, exec, s[12:13]
	s_cbranch_execz .LBB79_130
.LBB79_183:                             ;   in Loop: Header=BB79_65 Depth=1
	v_add_f32_e64 v9, |v20|, s27
	v_and_b32_e32 v21, 0xff, v9
	v_cmp_ne_u32_e32 vcc, 0, v21
	s_andn2_b64 s[8:9], s[8:9], exec
	s_and_b64 s[30:31], vcc, exec
	s_mov_b32 s14, 0
	s_or_b64 s[8:9], s[8:9], s[30:31]
	s_or_b64 exec, exec, s[12:13]
	v_mov_b32_e32 v9, s14
	s_and_saveexec_b64 s[12:13], s[8:9]
	s_cbranch_execnz .LBB79_131
	s_branch .LBB79_132
.LBB79_184:                             ;   in Loop: Header=BB79_65 Depth=1
	v_bfe_u32 v6, v7, 20, 1
	v_add3_u32 v6, v7, v6, s26
	s_mov_b64 s[8:9], exec
	v_lshrrev_b32_e32 v18, 20, v6
	s_or_saveexec_b64 s[12:13], s[12:13]
                                        ; implicit-def: $sgpr14
	s_xor_b64 exec, exec, s[12:13]
	s_cbranch_execz .LBB79_136
.LBB79_185:                             ;   in Loop: Header=BB79_65 Depth=1
	v_add_f32_e64 v6, |v7|, s27
	v_and_b32_e32 v18, 0xff, v6
	v_cmp_ne_u32_e32 vcc, 0, v18
	s_andn2_b64 s[8:9], s[8:9], exec
	s_and_b64 s[30:31], vcc, exec
	s_mov_b32 s14, 0
	s_or_b64 s[8:9], s[8:9], s[30:31]
	s_or_b64 exec, exec, s[12:13]
	v_mov_b32_e32 v6, s14
	s_and_saveexec_b64 s[12:13], s[8:9]
	s_cbranch_execnz .LBB79_137
	s_branch .LBB79_138
.LBB79_186:                             ;   in Loop: Header=BB79_65 Depth=1
	v_bfe_u32 v6, v7, 20, 1
	v_add3_u32 v6, v7, v6, s26
	s_mov_b64 s[12:13], exec
	v_lshrrev_b32_e32 v20, 20, v6
	s_or_saveexec_b64 s[14:15], s[14:15]
                                        ; implicit-def: $sgpr30
	s_xor_b64 exec, exec, s[14:15]
	s_cbranch_execz .LBB79_143
.LBB79_187:                             ;   in Loop: Header=BB79_65 Depth=1
	v_add_f32_e64 v6, |v7|, s27
	v_and_b32_e32 v20, 0xff, v6
	v_cmp_ne_u32_e32 vcc, 0, v20
	s_andn2_b64 s[12:13], s[12:13], exec
	s_and_b64 s[34:35], vcc, exec
	s_mov_b32 s30, 0
	s_or_b64 s[12:13], s[12:13], s[34:35]
	s_or_b64 exec, exec, s[14:15]
	v_mov_b32_e32 v6, s30
	s_and_saveexec_b64 s[14:15], s[12:13]
	s_cbranch_execnz .LBB79_144
	s_branch .LBB79_145
.LBB79_188:                             ;   in Loop: Header=BB79_65 Depth=1
	v_bfe_u32 v3, v7, 20, 1
	v_add3_u32 v3, v7, v3, s26
	s_mov_b64 s[12:13], exec
	v_lshrrev_b32_e32 v19, 20, v3
	s_or_saveexec_b64 s[14:15], s[14:15]
                                        ; implicit-def: $sgpr30
	s_xor_b64 exec, exec, s[14:15]
	s_cbranch_execz .LBB79_149
.LBB79_189:                             ;   in Loop: Header=BB79_65 Depth=1
	v_add_f32_e64 v3, |v7|, s27
	v_and_b32_e32 v19, 0xff, v3
	v_cmp_ne_u32_e32 vcc, 0, v19
	s_andn2_b64 s[12:13], s[12:13], exec
	s_and_b64 s[34:35], vcc, exec
	s_mov_b32 s30, 0
	s_or_b64 s[12:13], s[12:13], s[34:35]
	s_or_b64 exec, exec, s[14:15]
	v_mov_b32_e32 v3, s30
	s_and_saveexec_b64 s[14:15], s[12:13]
	s_cbranch_execnz .LBB79_150
	s_branch .LBB79_151
.LBB79_190:                             ;   in Loop: Header=BB79_65 Depth=1
	v_bfe_u32 v7, v18, 20, 1
	v_add3_u32 v7, v18, v7, s26
	s_mov_b64 s[12:13], exec
	v_lshrrev_b32_e32 v19, 20, v7
	s_or_saveexec_b64 s[14:15], s[14:15]
                                        ; implicit-def: $sgpr30
	s_xor_b64 exec, exec, s[14:15]
	s_cbranch_execz .LBB79_155
.LBB79_191:                             ;   in Loop: Header=BB79_65 Depth=1
	v_add_f32_e64 v7, |v18|, s27
	v_and_b32_e32 v19, 0xff, v7
	v_cmp_ne_u32_e32 vcc, 0, v19
	s_andn2_b64 s[12:13], s[12:13], exec
	s_and_b64 s[34:35], vcc, exec
	s_mov_b32 s30, 0
	s_or_b64 s[12:13], s[12:13], s[34:35]
	s_or_b64 exec, exec, s[14:15]
	v_mov_b32_e32 v7, s30
	s_and_saveexec_b64 s[14:15], s[12:13]
	s_cbranch_execnz .LBB79_156
	s_branch .LBB79_157
.LBB79_192:                             ;   in Loop: Header=BB79_65 Depth=1
	v_bfe_u32 v4, v5, 20, 1
	v_add3_u32 v4, v5, v4, s26
	s_mov_b64 s[12:13], exec
	v_lshrrev_b32_e32 v8, 20, v4
	s_or_saveexec_b64 s[14:15], s[14:15]
                                        ; implicit-def: $sgpr30
	s_xor_b64 exec, exec, s[14:15]
	s_cbranch_execz .LBB79_161
.LBB79_193:                             ;   in Loop: Header=BB79_65 Depth=1
	v_add_f32_e64 v4, |v5|, s27
	v_and_b32_e32 v8, 0xff, v4
	v_cmp_ne_u32_e32 vcc, 0, v8
	s_andn2_b64 s[12:13], s[12:13], exec
	s_and_b64 s[34:35], vcc, exec
	s_mov_b32 s30, 0
	s_or_b64 s[12:13], s[12:13], s[34:35]
	s_or_b64 exec, exec, s[14:15]
	v_mov_b32_e32 v4, s30
	s_and_saveexec_b64 s[14:15], s[12:13]
	s_cbranch_execz .LBB79_60
.LBB79_194:                             ;   in Loop: Header=BB79_65 Depth=1
	v_lshrrev_b32_e32 v4, 24, v5
	v_and_or_b32 v4, v4, s28, v8
	s_branch .LBB79_60
.LBB79_195:
	s_endpgm
.LBB79_196:
                                        ; implicit-def: $vgpr4_vgpr5
	s_andn2_b64 vcc, exec, s[24:25]
	s_cbranch_vccz .LBB79_53
	s_branch .LBB79_54
.LBB79_197:
                                        ; implicit-def: $vgpr2_vgpr3
	s_andn2_b64 vcc, exec, s[16:17]
	s_cbranch_vccz .LBB79_58
	s_branch .LBB79_59
	.section	.rodata,"a",@progbits
	.p2align	6, 0x0
	.amdhsa_kernel _ZN4vllm31rms_norm_per_block_quant_kernelIN3c108BFloat16ENS1_15Float8_e4m3fnuzELb1ELb1ELi64EEEvPT0_PfPKT_S9_PKffiiPS7_l
		.amdhsa_group_segment_fixed_size 4164
		.amdhsa_private_segment_fixed_size 0
		.amdhsa_kernarg_size 328
		.amdhsa_user_sgpr_count 6
		.amdhsa_user_sgpr_private_segment_buffer 1
		.amdhsa_user_sgpr_dispatch_ptr 0
		.amdhsa_user_sgpr_queue_ptr 0
		.amdhsa_user_sgpr_kernarg_segment_ptr 1
		.amdhsa_user_sgpr_dispatch_id 0
		.amdhsa_user_sgpr_flat_scratch_init 0
		.amdhsa_user_sgpr_kernarg_preload_length 0
		.amdhsa_user_sgpr_kernarg_preload_offset 0
		.amdhsa_user_sgpr_private_segment_size 0
		.amdhsa_uses_dynamic_stack 0
		.amdhsa_system_sgpr_private_segment_wavefront_offset 0
		.amdhsa_system_sgpr_workgroup_id_x 1
		.amdhsa_system_sgpr_workgroup_id_y 0
		.amdhsa_system_sgpr_workgroup_id_z 0
		.amdhsa_system_sgpr_workgroup_info 0
		.amdhsa_system_vgpr_workitem_id 0
		.amdhsa_next_free_vgpr 55
		.amdhsa_next_free_sgpr 50
		.amdhsa_accum_offset 56
		.amdhsa_reserve_vcc 1
		.amdhsa_reserve_flat_scratch 0
		.amdhsa_float_round_mode_32 0
		.amdhsa_float_round_mode_16_64 0
		.amdhsa_float_denorm_mode_32 3
		.amdhsa_float_denorm_mode_16_64 3
		.amdhsa_dx10_clamp 1
		.amdhsa_ieee_mode 1
		.amdhsa_fp16_overflow 0
		.amdhsa_tg_split 0
		.amdhsa_exception_fp_ieee_invalid_op 0
		.amdhsa_exception_fp_denorm_src 0
		.amdhsa_exception_fp_ieee_div_zero 0
		.amdhsa_exception_fp_ieee_overflow 0
		.amdhsa_exception_fp_ieee_underflow 0
		.amdhsa_exception_fp_ieee_inexact 0
		.amdhsa_exception_int_div_zero 0
	.end_amdhsa_kernel
	.section	.text._ZN4vllm31rms_norm_per_block_quant_kernelIN3c108BFloat16ENS1_15Float8_e4m3fnuzELb1ELb1ELi64EEEvPT0_PfPKT_S9_PKffiiPS7_l,"axG",@progbits,_ZN4vllm31rms_norm_per_block_quant_kernelIN3c108BFloat16ENS1_15Float8_e4m3fnuzELb1ELb1ELi64EEEvPT0_PfPKT_S9_PKffiiPS7_l,comdat
.Lfunc_end79:
	.size	_ZN4vllm31rms_norm_per_block_quant_kernelIN3c108BFloat16ENS1_15Float8_e4m3fnuzELb1ELb1ELi64EEEvPT0_PfPKT_S9_PKffiiPS7_l, .Lfunc_end79-_ZN4vllm31rms_norm_per_block_quant_kernelIN3c108BFloat16ENS1_15Float8_e4m3fnuzELb1ELb1ELi64EEEvPT0_PfPKT_S9_PKffiiPS7_l
                                        ; -- End function
	.section	.AMDGPU.csdata,"",@progbits
; Kernel info:
; codeLenInByte = 15524
; NumSgprs: 54
; NumVgprs: 55
; NumAgprs: 0
; TotalNumVgprs: 55
; ScratchSize: 0
; MemoryBound: 0
; FloatMode: 240
; IeeeMode: 1
; LDSByteSize: 4164 bytes/workgroup (compile time only)
; SGPRBlocks: 6
; VGPRBlocks: 6
; NumSGPRsForWavesPerEU: 54
; NumVGPRsForWavesPerEU: 55
; AccumOffset: 56
; Occupancy: 8
; WaveLimiterHint : 0
; COMPUTE_PGM_RSRC2:SCRATCH_EN: 0
; COMPUTE_PGM_RSRC2:USER_SGPR: 6
; COMPUTE_PGM_RSRC2:TRAP_HANDLER: 0
; COMPUTE_PGM_RSRC2:TGID_X_EN: 1
; COMPUTE_PGM_RSRC2:TGID_Y_EN: 0
; COMPUTE_PGM_RSRC2:TGID_Z_EN: 0
; COMPUTE_PGM_RSRC2:TIDIG_COMP_CNT: 0
; COMPUTE_PGM_RSRC3_GFX90A:ACCUM_OFFSET: 13
; COMPUTE_PGM_RSRC3_GFX90A:TG_SPLIT: 0
	.section	.text._ZN4vllm31rms_norm_per_block_quant_kernelIN3c108BFloat16EaLb1ELb1ELi64EEEvPT0_PfPKT_S8_PKffiiPS6_l,"axG",@progbits,_ZN4vllm31rms_norm_per_block_quant_kernelIN3c108BFloat16EaLb1ELb1ELi64EEEvPT0_PfPKT_S8_PKffiiPS6_l,comdat
	.protected	_ZN4vllm31rms_norm_per_block_quant_kernelIN3c108BFloat16EaLb1ELb1ELi64EEEvPT0_PfPKT_S8_PKffiiPS6_l ; -- Begin function _ZN4vllm31rms_norm_per_block_quant_kernelIN3c108BFloat16EaLb1ELb1ELi64EEEvPT0_PfPKT_S8_PKffiiPS6_l
	.globl	_ZN4vllm31rms_norm_per_block_quant_kernelIN3c108BFloat16EaLb1ELb1ELi64EEEvPT0_PfPKT_S8_PKffiiPS6_l
	.p2align	8
	.type	_ZN4vllm31rms_norm_per_block_quant_kernelIN3c108BFloat16EaLb1ELb1ELi64EEEvPT0_PfPKT_S8_PKffiiPS6_l,@function
_ZN4vllm31rms_norm_per_block_quant_kernelIN3c108BFloat16EaLb1ELb1ELi64EEEvPT0_PfPKT_S8_PKffiiPS6_l: ; @_ZN4vllm31rms_norm_per_block_quant_kernelIN3c108BFloat16EaLb1ELb1ELi64EEEvPT0_PfPKT_S8_PKffiiPS6_l
; %bb.0:
	s_load_dwordx4 s[8:11], s[4:5], 0x28
	s_load_dwordx8 s[12:19], s[4:5], 0x0
	s_load_dwordx2 s[34:35], s[4:5], 0x38
	s_load_dword s49, s[4:5], 0x48
	s_mov_b32 s7, 0
	s_waitcnt lgkmcnt(0)
	s_ashr_i32 s0, s10, 31
	s_mul_hi_u32 s1, s10, s6
	s_mul_i32 s0, s0, s6
	s_ashr_i32 s23, s9, 31
	s_add_i32 s1, s1, s0
	s_mul_i32 s0, s10, s6
	s_mul_hi_u32 s2, s9, s6
	s_mul_i32 s3, s23, s6
	s_add_i32 s21, s2, s3
	s_lshl_b64 s[30:31], s[0:1], 1
	s_mul_i32 s20, s9, s6
	s_add_u32 s33, s16, s30
	s_addc_u32 s46, s17, s31
	s_lshl_b64 s[36:37], s[20:21], 1
	s_add_u32 s47, s34, s36
	s_addc_u32 s48, s35, s37
	s_ashr_i32 s10, s9, 2
	s_add_u32 s26, s4, 0x48
	s_mov_b32 s22, s9
	v_cmp_gt_u32_e64 s[0:1], s10, v0
	s_addc_u32 s27, s5, 0
	v_mov_b32_e32 v1, 0
	s_and_saveexec_b64 s[2:3], s[0:1]
	s_cbranch_execz .LBB80_10
; %bb.1:
	s_cmp_lt_u32 s6, s49
	s_cselect_b32 s9, 12, 18
	s_add_u32 s24, s26, s9
	s_addc_u32 s25, s27, 0
	v_mov_b32_e32 v3, 0
	global_load_ushort v8, v3, s[24:25]
	s_mov_b64 s[24:25], 0
	v_mov_b32_e32 v9, s46
	v_mov_b32_e32 v10, s48
	;; [unrolled: 1-line block ×3, first 2 shown]
                                        ; implicit-def: $sgpr28_sgpr29
	s_waitcnt vmcnt(0)
	v_add_u32_e32 v1, v8, v8
	v_mul_lo_u32 v11, v8, 3
	v_lshlrev_b32_e32 v12, 1, v8
	v_add_u32_e32 v13, v1, v8
	v_mov_b32_e32 v1, v3
	s_branch .LBB80_5
.LBB80_2:                               ;   in Loop: Header=BB80_5 Depth=1
	s_or_b64 exec, exec, s[42:43]
	s_orn2_b64 s[42:43], s[44:45], exec
.LBB80_3:                               ;   in Loop: Header=BB80_5 Depth=1
	s_or_b64 exec, exec, s[40:41]
	s_andn2_b64 s[28:29], s[28:29], exec
	s_and_b64 s[40:41], s[42:43], exec
	s_or_b64 s[28:29], s[28:29], s[40:41]
.LBB80_4:                               ;   in Loop: Header=BB80_5 Depth=1
	s_or_b64 exec, exec, s[38:39]
	s_and_b64 s[38:39], exec, s[28:29]
	s_or_b64 s[24:25], s[38:39], s[24:25]
	s_andn2_b64 exec, exec, s[24:25]
	s_cbranch_execz .LBB80_9
.LBB80_5:                               ; =>This Inner Loop Header: Depth=1
	v_lshlrev_b64 v[4:5], 3, v[2:3]
	v_add_co_u32_e32 v6, vcc, s33, v4
	v_addc_co_u32_e32 v7, vcc, v9, v5, vcc
	v_add_co_u32_e32 v4, vcc, s47, v4
	v_addc_co_u32_e32 v5, vcc, v10, v5, vcc
	global_load_dwordx2 v[6:7], v[6:7], off
	s_or_b64 s[28:29], s[28:29], exec
	global_load_dwordx2 v[14:15], v[4:5], off
	v_add_u32_e32 v4, v2, v8
	v_cmp_gt_u32_e32 vcc, s10, v4
	s_waitcnt vmcnt(1)
	v_lshlrev_b32_e32 v16, 16, v6
	v_and_b32_e32 v5, 0xffff0000, v6
	s_waitcnt vmcnt(0)
	v_lshlrev_b32_e32 v18, 16, v14
	v_alignbit_b32 v6, v7, v6, 16
	v_and_b32_e32 v17, 0xffff0000, v14
	v_alignbit_b32 v14, v15, v14, 16
	v_add_f32_e32 v16, v16, v18
	v_and_b32_e32 v6, 0xffff0000, v6
	v_add_f32_e32 v5, v5, v17
	v_and_b32_e32 v14, 0xffff0000, v14
	v_fmac_f32_e32 v1, v16, v16
	v_and_b32_e32 v7, 0xffff0000, v7
	v_and_b32_e32 v15, 0xffff0000, v15
	v_add_f32_e32 v6, v6, v14
	v_fmac_f32_e32 v1, v5, v5
	v_add_f32_e32 v7, v7, v15
	v_fmac_f32_e32 v1, v6, v6
	v_fmac_f32_e32 v1, v7, v7
	s_and_saveexec_b64 s[38:39], vcc
	s_cbranch_execz .LBB80_4
; %bb.6:                                ;   in Loop: Header=BB80_5 Depth=1
	v_mov_b32_e32 v5, v3
	v_lshlrev_b64 v[6:7], 3, v[4:5]
	v_add_co_u32_e32 v14, vcc, s33, v6
	v_addc_co_u32_e32 v15, vcc, v9, v7, vcc
	v_add_co_u32_e32 v6, vcc, s47, v6
	v_addc_co_u32_e32 v7, vcc, v10, v7, vcc
	global_load_dwordx2 v[14:15], v[14:15], off
	s_mov_b64 s[42:43], -1
	global_load_dwordx2 v[16:17], v[6:7], off
	v_add_u32_e32 v6, v12, v2
	v_cmp_gt_u32_e32 vcc, s10, v6
	s_waitcnt vmcnt(1)
	v_lshlrev_b32_e32 v7, 16, v14
	v_and_b32_e32 v5, 0xffff0000, v14
	s_waitcnt vmcnt(0)
	v_lshlrev_b32_e32 v19, 16, v16
	v_alignbit_b32 v14, v15, v14, 16
	v_and_b32_e32 v18, 0xffff0000, v16
	v_alignbit_b32 v16, v17, v16, 16
	v_add_f32_e32 v7, v7, v19
	v_and_b32_e32 v14, 0xffff0000, v14
	v_add_f32_e32 v5, v5, v18
	v_and_b32_e32 v16, 0xffff0000, v16
	v_fmac_f32_e32 v1, v7, v7
	v_and_b32_e32 v15, 0xffff0000, v15
	v_and_b32_e32 v17, 0xffff0000, v17
	v_add_f32_e32 v14, v14, v16
	v_fmac_f32_e32 v1, v5, v5
	v_add_f32_e32 v15, v15, v17
	v_fmac_f32_e32 v1, v14, v14
	v_fmac_f32_e32 v1, v15, v15
	s_and_saveexec_b64 s[40:41], vcc
	s_cbranch_execz .LBB80_3
; %bb.7:                                ;   in Loop: Header=BB80_5 Depth=1
	v_mov_b32_e32 v7, v3
	v_lshlrev_b64 v[6:7], 3, v[6:7]
	v_add_co_u32_e32 v14, vcc, s33, v6
	v_addc_co_u32_e32 v15, vcc, v9, v7, vcc
	v_add_co_u32_e32 v6, vcc, s47, v6
	v_addc_co_u32_e32 v7, vcc, v10, v7, vcc
	global_load_dwordx2 v[14:15], v[14:15], off
	v_add_u32_e32 v2, v11, v2
	global_load_dwordx2 v[6:7], v[6:7], off
	v_cmp_gt_u32_e32 vcc, s10, v2
	s_mov_b64 s[44:45], -1
	s_waitcnt vmcnt(1)
	v_lshlrev_b32_e32 v16, 16, v14
	v_and_b32_e32 v5, 0xffff0000, v14
	s_waitcnt vmcnt(0)
	v_lshlrev_b32_e32 v18, 16, v6
	v_alignbit_b32 v14, v15, v14, 16
	v_and_b32_e32 v17, 0xffff0000, v6
	v_alignbit_b32 v6, v7, v6, 16
	v_add_f32_e32 v16, v16, v18
	v_and_b32_e32 v14, 0xffff0000, v14
	v_add_f32_e32 v5, v5, v17
	v_and_b32_e32 v6, 0xffff0000, v6
	v_fmac_f32_e32 v1, v16, v16
	v_and_b32_e32 v15, 0xffff0000, v15
	v_and_b32_e32 v7, 0xffff0000, v7
	v_add_f32_e32 v6, v14, v6
	v_fmac_f32_e32 v1, v5, v5
	v_add_f32_e32 v7, v15, v7
	v_fmac_f32_e32 v1, v6, v6
	v_fmac_f32_e32 v1, v7, v7
	s_and_saveexec_b64 s[42:43], vcc
	s_xor_b64 s[42:43], exec, s[42:43]
	s_cbranch_execz .LBB80_2
; %bb.8:                                ;   in Loop: Header=BB80_5 Depth=1
	v_lshlrev_b64 v[6:7], 3, v[2:3]
	v_mov_b32_e32 v2, s46
	v_add_co_u32_e32 v14, vcc, s33, v6
	v_addc_co_u32_e32 v15, vcc, v2, v7, vcc
	v_mov_b32_e32 v2, s48
	v_add_co_u32_e32 v6, vcc, s47, v6
	v_addc_co_u32_e32 v7, vcc, v2, v7, vcc
	global_load_dwordx2 v[14:15], v[14:15], off
	v_add_u32_e32 v2, v13, v4
	global_load_dwordx2 v[6:7], v[6:7], off
	v_cmp_le_u32_e32 vcc, s10, v2
	s_orn2_b64 s[44:45], vcc, exec
	s_waitcnt vmcnt(1)
	v_lshlrev_b32_e32 v5, 16, v14
	v_and_b32_e32 v4, 0xffff0000, v14
	s_waitcnt vmcnt(0)
	v_lshlrev_b32_e32 v17, 16, v6
	v_alignbit_b32 v14, v15, v14, 16
	v_and_b32_e32 v16, 0xffff0000, v6
	v_alignbit_b32 v6, v7, v6, 16
	v_add_f32_e32 v5, v5, v17
	v_and_b32_e32 v14, 0xffff0000, v14
	v_add_f32_e32 v4, v4, v16
	v_and_b32_e32 v6, 0xffff0000, v6
	v_fmac_f32_e32 v1, v5, v5
	v_and_b32_e32 v15, 0xffff0000, v15
	v_and_b32_e32 v7, 0xffff0000, v7
	v_add_f32_e32 v6, v14, v6
	v_fmac_f32_e32 v1, v4, v4
	v_add_f32_e32 v7, v15, v7
	v_fmac_f32_e32 v1, v6, v6
	v_fmac_f32_e32 v1, v7, v7
	s_branch .LBB80_2
.LBB80_9:
	s_or_b64 exec, exec, s[24:25]
.LBB80_10:
	s_or_b64 exec, exec, s[2:3]
	v_mbcnt_lo_u32_b32 v2, -1, 0
	v_mbcnt_hi_u32_b32 v2, -1, v2
	v_and_b32_e32 v3, 63, v2
	v_cmp_ne_u32_e32 vcc, 63, v3
	s_load_dword s2, s[26:27], 0xc
	v_addc_co_u32_e32 v4, vcc, 0, v2, vcc
	v_lshlrev_b32_e32 v4, 2, v4
	ds_bpermute_b32 v4, v4, v1
	s_waitcnt lgkmcnt(0)
	s_and_b32 s9, s2, 0xffff
	v_and_b32_e32 v5, 0x3c0, v0
	v_sub_u32_e64 v5, s9, v5 clamp
	v_add_u32_e32 v6, 1, v2
	v_add_f32_e32 v4, v1, v4
	v_cmp_lt_u32_e32 vcc, v6, v5
	v_cndmask_b32_e32 v1, v1, v4, vcc
	v_cmp_gt_u32_e32 vcc, 62, v3
	v_cndmask_b32_e64 v4, 0, 1, vcc
	v_lshlrev_b32_e32 v4, 1, v4
	v_add_lshl_u32 v4, v4, v2, 2
	ds_bpermute_b32 v4, v4, v1
	v_add_u32_e32 v6, 2, v2
	v_cmp_lt_u32_e32 vcc, v6, v5
	v_add_u32_e32 v6, 4, v2
	s_waitcnt lgkmcnt(0)
	v_add_f32_e32 v4, v1, v4
	v_cndmask_b32_e32 v1, v1, v4, vcc
	v_cmp_gt_u32_e32 vcc, 60, v3
	v_cndmask_b32_e64 v4, 0, 1, vcc
	v_lshlrev_b32_e32 v4, 2, v4
	v_add_lshl_u32 v4, v4, v2, 2
	ds_bpermute_b32 v4, v4, v1
	v_cmp_lt_u32_e32 vcc, v6, v5
	v_add_u32_e32 v6, 8, v2
	s_waitcnt lgkmcnt(0)
	v_add_f32_e32 v4, v1, v4
	v_cndmask_b32_e32 v1, v1, v4, vcc
	v_cmp_gt_u32_e32 vcc, 56, v3
	v_cndmask_b32_e64 v4, 0, 1, vcc
	v_lshlrev_b32_e32 v4, 3, v4
	v_add_lshl_u32 v4, v4, v2, 2
	ds_bpermute_b32 v4, v4, v1
	v_cmp_lt_u32_e32 vcc, v6, v5
	v_add_u32_e32 v6, 16, v2
	s_waitcnt lgkmcnt(0)
	v_add_f32_e32 v4, v1, v4
	v_cndmask_b32_e32 v1, v1, v4, vcc
	v_cmp_gt_u32_e32 vcc, 48, v3
	v_cndmask_b32_e64 v4, 0, 1, vcc
	v_lshlrev_b32_e32 v4, 4, v4
	v_add_lshl_u32 v4, v4, v2, 2
	ds_bpermute_b32 v4, v4, v1
	v_cmp_lt_u32_e32 vcc, v6, v5
	s_waitcnt lgkmcnt(0)
	v_add_f32_e32 v4, v1, v4
	v_cndmask_b32_e32 v1, v1, v4, vcc
	v_cmp_gt_u32_e32 vcc, 32, v3
	v_cndmask_b32_e64 v3, 0, 1, vcc
	v_lshlrev_b32_e32 v3, 5, v3
	v_add_lshl_u32 v3, v3, v2, 2
	ds_bpermute_b32 v3, v3, v1
	v_add_u32_e32 v4, 32, v2
	v_cmp_lt_u32_e32 vcc, v4, v5
	s_waitcnt lgkmcnt(0)
	v_add_f32_e32 v3, v1, v3
	v_cndmask_b32_e32 v1, v1, v3, vcc
	v_cmp_eq_u32_e32 vcc, 0, v2
	s_and_saveexec_b64 s[2:3], vcc
	s_cbranch_execz .LBB80_12
; %bb.11:
	v_lshrrev_b32_e32 v3, 4, v0
	v_and_b32_e32 v3, 60, v3
	ds_write_b32 v3, v1 offset:4096
.LBB80_12:
	s_or_b64 exec, exec, s[2:3]
	v_cmp_gt_u32_e32 vcc, 16, v0
	s_waitcnt lgkmcnt(0)
	s_barrier
	s_and_saveexec_b64 s[24:25], vcc
	s_cbranch_execz .LBB80_14
; %bb.13:
	v_lshlrev_b32_e32 v1, 2, v2
	ds_read_b32 v1, v1 offset:4096
	v_and_b32_e32 v3, 15, v2
	v_cmp_ne_u32_e32 vcc, 15, v3
	v_addc_co_u32_e32 v4, vcc, 0, v2, vcc
	v_lshlrev_b32_e32 v4, 2, v4
	s_waitcnt lgkmcnt(0)
	ds_bpermute_b32 v4, v4, v1
	s_add_i32 s9, s9, 63
	s_lshr_b32 s9, s9, 6
	v_add_u32_e32 v5, 1, v3
	v_cmp_gt_u32_e64 s[2:3], 14, v3
	v_cmp_gt_u32_e32 vcc, s9, v5
	v_cndmask_b32_e64 v5, 0, 1, s[2:3]
	s_waitcnt lgkmcnt(0)
	v_add_f32_e32 v4, v1, v4
	v_lshlrev_b32_e32 v5, 1, v5
	v_cndmask_b32_e32 v4, v1, v4, vcc
	v_add_lshl_u32 v5, v5, v2, 2
	ds_bpermute_b32 v5, v5, v4
	v_add_u32_e32 v6, 2, v3
	v_cmp_gt_u32_e64 s[2:3], s9, v6
	v_add_u32_e32 v6, 4, v3
	s_waitcnt lgkmcnt(0)
	v_add_f32_e32 v5, v4, v5
	v_cndmask_b32_e64 v4, v4, v5, s[2:3]
	v_cmp_gt_u32_e64 s[2:3], 12, v3
	v_cndmask_b32_e64 v5, 0, 1, s[2:3]
	v_lshlrev_b32_e32 v5, 2, v5
	v_add_lshl_u32 v5, v5, v2, 2
	ds_bpermute_b32 v5, v5, v4
	v_cmp_gt_u32_e64 s[2:3], s9, v6
	s_waitcnt lgkmcnt(0)
	v_add_f32_e32 v5, v4, v5
	v_cndmask_b32_e64 v4, v4, v5, s[2:3]
	v_cmp_gt_u32_e64 s[2:3], 8, v3
	v_cndmask_b32_e64 v5, 0, 1, s[2:3]
	v_lshlrev_b32_e32 v5, 3, v5
	v_add_lshl_u32 v2, v5, v2, 2
	ds_bpermute_b32 v2, v2, v4
	v_add_u32_e32 v3, 8, v3
	v_cmp_gt_u32_e64 s[2:3], s9, v3
	s_waitcnt lgkmcnt(0)
	v_add_f32_e32 v2, v4, v2
	v_cndmask_b32_e64 v2, v4, v2, s[2:3]
	v_cndmask_b32_e32 v1, v1, v2, vcc
.LBB80_14:
	s_or_b64 exec, exec, s[24:25]
	v_cmp_eq_u32_e32 vcc, 0, v0
	s_and_saveexec_b64 s[2:3], vcc
	s_cbranch_execz .LBB80_16
; %bb.15:
	v_cvt_f32_i32_e32 v2, s22
	s_mov_b32 s9, 0x800000
	v_div_scale_f32 v3, s[24:25], v2, v2, v1
	v_rcp_f32_e32 v4, v3
	v_div_scale_f32 v5, vcc, v1, v2, v1
	v_fma_f32 v6, -v3, v4, 1.0
	v_fmac_f32_e32 v4, v6, v4
	v_mul_f32_e32 v6, v5, v4
	v_fma_f32 v7, -v3, v6, v5
	v_fmac_f32_e32 v6, v7, v4
	v_fma_f32 v3, -v3, v6, v5
	v_div_fmas_f32 v3, v3, v4, v6
	v_div_fixup_f32 v1, v3, v2, v1
	v_add_f32_e32 v1, s8, v1
	v_mul_f32_e32 v2, 0x4b800000, v1
	v_cmp_gt_f32_e32 vcc, s9, v1
	v_cndmask_b32_e32 v1, v1, v2, vcc
	v_rsq_f32_e32 v1, v1
	v_mul_f32_e32 v2, 0x45800000, v1
	v_cndmask_b32_e32 v1, v1, v2, vcc
	v_mov_b32_e32 v2, 0
	ds_write_b32 v2, v1 offset:4160
.LBB80_16:
	s_or_b64 exec, exec, s[2:3]
	s_ashr_i32 s2, s22, 31
	s_lshr_b32 s2, s2, 26
	s_add_i32 s8, s22, s2
	s_ashr_i32 s24, s8, 6
	s_cmp_lt_u32 s6, s49
	s_cselect_b32 s2, 12, 18
	s_add_u32 s2, s26, s2
	v_mov_b32_e32 v5, 0
	s_addc_u32 s3, s27, 0
	s_waitcnt lgkmcnt(0)
	s_barrier
	global_load_ushort v1, v5, s[2:3]
	ds_read_b32 v37, v5 offset:4160
	s_abs_i32 s2, s24
	v_cvt_f32_u32_e32 v2, s2
	s_ashr_i32 s3, s8, 31
	s_sub_i32 s8, 0, s2
	v_mov_b32_e32 v10, s10
	v_rcp_iflag_f32_e32 v2, v2
	v_mul_f32_e32 v2, 0x4f7ffffe, v2
	v_cvt_u32_f32_e32 v2, v2
	v_readfirstlane_b32 s9, v2
	s_mul_i32 s8, s8, s9
	s_mul_hi_u32 s8, s9, s8
	s_add_i32 s9, s9, s8
	s_waitcnt vmcnt(0)
	v_readfirstlane_b32 s44, v1
	s_mul_hi_u32 s8, s44, s9
	s_mul_i32 s9, s8, s2
	s_sub_i32 s9, s44, s9
	s_add_i32 s11, s8, 1
	s_sub_i32 s25, s9, s2
	s_cmp_ge_u32 s9, s2
	s_cselect_b32 s8, s11, s8
	s_cselect_b32 s9, s25, s9
	s_add_i32 s11, s8, 1
	s_cmp_ge_u32 s9, s2
	s_cselect_b32 s2, s11, s8
	s_xor_b32 s2, s2, s3
	s_sub_i32 s26, s2, s3
	s_abs_i32 s2, s26
	v_cvt_f32_u32_e32 v1, s2
	s_sub_i32 s3, 0, s2
	s_ashr_i32 s27, s26, 31
	s_ashr_i32 s11, s10, 31
	v_rcp_iflag_f32_e32 v1, v1
	v_mov_b32_e32 v11, s11
	v_mul_f32_e32 v1, 0x4f7ffffe, v1
	v_cvt_u32_f32_e32 v1, v1
	v_mul_lo_u32 v2, s3, v1
	v_mul_hi_u32 v2, v1, v2
	v_add_u32_e32 v1, v1, v2
	v_mul_hi_u32 v1, v0, v1
	v_mul_lo_u32 v2, v1, s2
	v_sub_u32_e32 v2, v0, v2
	v_add_u32_e32 v3, 1, v1
	v_cmp_le_u32_e32 vcc, s2, v2
	v_cndmask_b32_e32 v1, v1, v3, vcc
	v_subrev_u32_e32 v3, s2, v2
	v_cndmask_b32_e32 v2, v2, v3, vcc
	v_add_u32_e32 v3, 1, v1
	v_cmp_le_u32_e32 vcc, s2, v2
	v_cndmask_b32_e32 v1, v1, v3, vcc
	v_xor_b32_e32 v1, s27, v1
	v_subrev_u32_e32 v2, s27, v1
	v_mul_lo_u32 v1, v2, s26
	v_ashrrev_i32_e32 v3, 31, v2
	v_sub_u32_e32 v4, v0, v1
	v_lshlrev_b64 v[8:9], 4, v[2:3]
	v_add_co_u32_e32 v6, vcc, v8, v4
	v_addc_co_u32_e32 v7, vcc, 0, v9, vcc
	v_add_co_u32_e32 v8, vcc, 16, v8
	v_addc_co_u32_e32 v9, vcc, 0, v9, vcc
	v_cmp_gt_i64_e32 vcc, s[10:11], v[8:9]
	v_cndmask_b32_e32 v8, v10, v8, vcc
	v_cndmask_b32_e32 v9, v11, v9, vcc
	v_ashrrev_i32_e32 v11, 31, v8
	v_mov_b32_e32 v10, v8
	v_cmp_lt_i64_e32 vcc, v[6:7], v[10:11]
	s_and_saveexec_b64 s[28:29], vcc
	s_cbranch_execz .LBB80_26
; %bb.17:
	v_lshlrev_b64 v[30:31], 7, v[2:3]
	s_mul_i32 s25, s26, 24
	v_lshlrev_b64 v[12:13], 3, v[4:5]
	v_mov_b32_e32 v1, s31
	v_add_co_u32_e32 v5, vcc, s30, v30
	s_mul_hi_i32 s11, s26, 24
	s_add_u32 s2, s16, s25
	v_addc_co_u32_e32 v19, vcc, v1, v31, vcc
	s_addc_u32 s3, s17, s11
	v_mov_b32_e32 v1, s3
	v_add_co_u32_e32 v14, vcc, s2, v5
	s_lshl_b64 s[30:31], s[26:27], 5
	s_lshl_b64 s[2:3], s[26:27], 4
	s_add_u32 s8, s16, s2
	v_addc_co_u32_e32 v1, vcc, v1, v19, vcc
	s_addc_u32 s9, s17, s3
	v_mov_b32_e32 v15, s9
	v_add_co_u32_e32 v16, vcc, s8, v5
	s_lshl_b64 s[8:9], s[26:27], 3
	s_add_u32 s38, s16, s8
	v_addc_co_u32_e32 v15, vcc, v15, v19, vcc
	s_addc_u32 s39, s17, s9
	v_mov_b32_e32 v17, s39
	v_add_co_u32_e32 v18, vcc, s38, v5
	v_addc_co_u32_e32 v17, vcc, v17, v19, vcc
	v_mov_b32_e32 v21, s17
	v_add_co_u32_e32 v20, vcc, s16, v5
	s_add_u32 s16, s18, s25
	v_addc_co_u32_e32 v19, vcc, v21, v19, vcc
	s_addc_u32 s17, s19, s11
	v_mov_b32_e32 v5, s17
	v_add_co_u32_e32 v22, vcc, s16, v30
	s_add_u32 s16, s18, s2
	v_addc_co_u32_e32 v21, vcc, v5, v31, vcc
	s_addc_u32 s17, s19, s3
	v_mov_b32_e32 v5, s17
	v_add_co_u32_e32 v24, vcc, s16, v30
	s_add_u32 s16, s18, s8
	v_addc_co_u32_e32 v23, vcc, v5, v31, vcc
	s_addc_u32 s17, s19, s9
	v_mov_b32_e32 v5, s17
	v_add_co_u32_e32 v26, vcc, s16, v30
	v_addc_co_u32_e32 v25, vcc, v5, v31, vcc
	v_mov_b32_e32 v5, s19
	v_add_co_u32_e32 v28, vcc, s18, v30
	v_addc_co_u32_e32 v27, vcc, v5, v31, vcc
	v_mov_b32_e32 v5, s37
	v_add_co_u32_e32 v35, vcc, s36, v30
	s_add_u32 s16, s34, s25
	v_addc_co_u32_e32 v5, vcc, v5, v31, vcc
	s_addc_u32 s11, s35, s11
	v_mov_b32_e32 v29, s11
	v_add_co_u32_e32 v30, vcc, s16, v35
	s_add_u32 s2, s34, s2
	v_addc_co_u32_e32 v29, vcc, v29, v5, vcc
	s_addc_u32 s3, s35, s3
	;; [unrolled: 5-line block ×3, first 2 shown]
	v_mov_b32_e32 v33, s3
	v_add_co_u32_e32 v34, vcc, s2, v35
	v_addc_co_u32_e32 v33, vcc, v33, v5, vcc
	v_mov_b32_e32 v38, s35
	v_add_co_u32_e32 v36, vcc, s34, v35
	v_addc_co_u32_e32 v35, vcc, v38, v5, vcc
	s_mul_hi_i32 s11, s26, 3
	s_mul_i32 s25, s26, 3
	s_lshl_b64 s[34:35], s[26:27], 1
	s_mov_b64 s[16:17], 0
	v_mov_b32_e32 v5, 0
	s_movk_i32 s45, 0x7fff
	v_mov_b32_e32 v42, 0x7fc00000
	v_pk_mov_b32 v[38:39], v[6:7], v[6:7] op_sel:[0,1]
                                        ; implicit-def: $sgpr36_sgpr37
	s_branch .LBB80_21
.LBB80_18:                              ;   in Loop: Header=BB80_21 Depth=1
	s_or_b64 exec, exec, s[42:43]
	s_orn2_b64 s[2:3], s[2:3], exec
.LBB80_19:                              ;   in Loop: Header=BB80_21 Depth=1
	s_or_b64 exec, exec, s[40:41]
	s_andn2_b64 s[8:9], s[36:37], exec
	s_and_b64 s[2:3], s[2:3], exec
	s_or_b64 s[36:37], s[8:9], s[2:3]
.LBB80_20:                              ;   in Loop: Header=BB80_21 Depth=1
	s_or_b64 exec, exec, s[38:39]
	s_and_b64 s[2:3], exec, s[36:37]
	s_or_b64 s[16:17], s[2:3], s[16:17]
	s_andn2_b64 exec, exec, s[16:17]
	s_cbranch_execz .LBB80_25
.LBB80_21:                              ; =>This Inner Loop Header: Depth=1
	v_add_co_u32_e32 v40, vcc, v20, v12
	v_addc_co_u32_e32 v41, vcc, v19, v13, vcc
	global_load_dwordx2 v[44:45], v[40:41], off
	v_add_co_u32_e32 v40, vcc, v28, v12
	v_addc_co_u32_e32 v41, vcc, v27, v13, vcc
	global_load_dwordx2 v[46:47], v[40:41], off
	;; [unrolled: 3-line block ×3, first 2 shown]
	v_mov_b32_e32 v41, s27
	v_add_co_u32_e32 v40, vcc, s26, v38
	v_addc_co_u32_e32 v41, vcc, v39, v41, vcc
	v_cmp_lt_i64_e32 vcc, v[40:41], v[10:11]
	s_or_b64 s[36:37], s[36:37], exec
	s_waitcnt vmcnt(2)
	v_and_b32_e32 v43, 0xffff0000, v44
	v_lshlrev_b32_e32 v51, 16, v44
	v_alignbit_b32 v44, v45, v44, 16
	v_and_b32_e32 v44, 0xffff0000, v44
	v_and_b32_e32 v45, 0xffff0000, v45
	s_waitcnt vmcnt(1)
	v_lshlrev_b32_e32 v54, 16, v46
	v_and_b32_e32 v50, 0xffff0000, v46
	v_alignbit_b32 v46, v47, v46, 16
	v_and_b32_e32 v47, 0xffff0000, v47
	v_and_b32_e32 v46, 0xffff0000, v46
	s_waitcnt vmcnt(0)
	v_and_b32_e32 v52, 0xffff0000, v48
	v_lshlrev_b32_e32 v53, 16, v48
	v_alignbit_b32 v48, v49, v48, 16
	v_add_f32_e32 v51, v51, v53
	v_and_b32_e32 v48, 0xffff0000, v48
	v_and_b32_e32 v49, 0xffff0000, v49
	v_add_f32_e32 v43, v43, v52
	v_add_f32_e32 v44, v44, v48
	s_waitcnt lgkmcnt(0)
	v_mul_f32_e32 v48, v37, v51
	v_add_f32_e32 v45, v45, v49
	v_mul_f32_e32 v43, v37, v43
	v_bfe_u32 v49, v48, 16, 1
	v_mul_f32_e32 v45, v37, v45
	v_bfe_u32 v51, v43, 16, 1
	v_add3_u32 v49, v48, v49, s45
	v_bfe_u32 v52, v45, 16, 1
	v_add3_u32 v51, v43, v51, s45
	v_and_b32_e32 v49, 0xffff0000, v49
	v_cmp_o_f32_e64 s[2:3], v48, v48
	v_mul_f32_e32 v44, v37, v44
	v_add3_u32 v52, v45, v52, s45
	v_and_b32_e32 v51, 0xffff0000, v51
	v_cndmask_b32_e64 v48, v42, v49, s[2:3]
	v_cmp_o_f32_e64 s[2:3], v43, v43
	v_bfe_u32 v53, v44, 16, 1
	v_and_b32_e32 v52, 0xffff0000, v52
	v_cndmask_b32_e64 v43, v42, v51, s[2:3]
	v_cmp_o_f32_e64 s[2:3], v45, v45
	v_add3_u32 v53, v44, v53, s45
	v_cndmask_b32_e64 v45, v42, v52, s[2:3]
	v_mul_f32_e32 v48, v48, v54
	v_and_b32_e32 v49, 0xffff0000, v53
	v_mul_f32_e32 v43, v43, v50
	v_cmp_o_f32_e64 s[2:3], v44, v44
	v_mul_f32_e32 v45, v45, v47
	v_bfe_u32 v47, v48, 16, 1
	v_cndmask_b32_e64 v44, v42, v49, s[2:3]
	v_bfe_u32 v49, v43, 16, 1
	v_add3_u32 v47, v48, v47, s45
	v_mul_f32_e32 v44, v44, v46
	v_bfe_u32 v46, v45, 16, 1
	v_add3_u32 v49, v43, v49, s45
	v_and_b32_e32 v47, 0xffff0000, v47
	v_cmp_o_f32_e64 s[2:3], v48, v48
	v_bfe_u32 v50, v44, 16, 1
	v_add3_u32 v46, v45, v46, s45
	v_and_b32_e32 v49, 0xffff0000, v49
	v_cndmask_b32_e64 v47, v42, |v47|, s[2:3]
	v_cmp_o_f32_e64 s[2:3], v43, v43
	v_add3_u32 v50, v44, v50, s45
	v_and_b32_e32 v46, 0xffff0000, v46
	v_cndmask_b32_e64 v43, v42, |v49|, s[2:3]
	v_cmp_o_f32_e64 s[2:3], v45, v45
	v_and_b32_e32 v48, 0xffff0000, v50
	v_cndmask_b32_e64 v45, v42, |v46|, s[2:3]
	v_cmp_o_f32_e64 s[2:3], v44, v44
	v_max3_f32 v5, v5, v47, v43
	v_cndmask_b32_e64 v43, v42, |v48|, s[2:3]
	v_max3_f32 v5, v5, v43, v45
	s_and_saveexec_b64 s[38:39], vcc
	s_cbranch_execz .LBB80_20
; %bb.22:                               ;   in Loop: Header=BB80_21 Depth=1
	v_add_co_u32_e32 v44, vcc, v18, v12
	v_addc_co_u32_e32 v45, vcc, v17, v13, vcc
	v_add_co_u32_e32 v46, vcc, v26, v12
	v_addc_co_u32_e32 v47, vcc, v25, v13, vcc
	;; [unrolled: 2-line block ×3, first 2 shown]
	global_load_dwordx2 v[44:45], v[44:45], off
	v_mov_b32_e32 v43, s35
	global_load_dwordx2 v[48:49], v[48:49], off
	v_add_co_u32_e32 v50, vcc, s34, v38
	global_load_dwordx2 v[46:47], v[46:47], off
	v_addc_co_u32_e32 v51, vcc, v43, v39, vcc
	v_cmp_lt_i64_e32 vcc, v[50:51], v[10:11]
	s_waitcnt vmcnt(2)
	v_and_b32_e32 v43, 0xffff0000, v44
	v_lshlrev_b32_e32 v51, 16, v44
	v_alignbit_b32 v44, v45, v44, 16
	s_waitcnt vmcnt(1)
	v_and_b32_e32 v52, 0xffff0000, v48
	v_lshlrev_b32_e32 v53, 16, v48
	v_alignbit_b32 v48, v49, v48, 16
	v_and_b32_e32 v44, 0xffff0000, v44
	v_add_f32_e32 v51, v51, v53
	v_and_b32_e32 v48, 0xffff0000, v48
	v_and_b32_e32 v45, 0xffff0000, v45
	v_and_b32_e32 v49, 0xffff0000, v49
	v_add_f32_e32 v43, v43, v52
	v_add_f32_e32 v44, v44, v48
	v_mul_f32_e32 v48, v37, v51
	v_add_f32_e32 v45, v45, v49
	v_mul_f32_e32 v43, v37, v43
	v_bfe_u32 v49, v48, 16, 1
	v_mul_f32_e32 v45, v37, v45
	v_bfe_u32 v51, v43, 16, 1
	v_add3_u32 v49, v48, v49, s45
	v_bfe_u32 v52, v45, 16, 1
	v_add3_u32 v51, v43, v51, s45
	v_and_b32_e32 v49, 0xffff0000, v49
	v_cmp_o_f32_e64 s[2:3], v48, v48
	v_mul_f32_e32 v44, v37, v44
	v_add3_u32 v52, v45, v52, s45
	v_and_b32_e32 v51, 0xffff0000, v51
	v_cndmask_b32_e64 v48, v42, v49, s[2:3]
	v_cmp_o_f32_e64 s[2:3], v43, v43
	s_waitcnt vmcnt(0)
	v_lshlrev_b32_e32 v54, 16, v46
	v_bfe_u32 v53, v44, 16, 1
	v_and_b32_e32 v52, 0xffff0000, v52
	v_cndmask_b32_e64 v43, v42, v51, s[2:3]
	v_cmp_o_f32_e64 s[2:3], v45, v45
	v_and_b32_e32 v50, 0xffff0000, v46
	v_alignbit_b32 v46, v47, v46, 16
	v_and_b32_e32 v47, 0xffff0000, v47
	v_add3_u32 v53, v44, v53, s45
	v_cndmask_b32_e64 v45, v42, v52, s[2:3]
	v_mul_f32_e32 v48, v48, v54
	v_and_b32_e32 v49, 0xffff0000, v53
	v_mul_f32_e32 v43, v43, v50
	v_cmp_o_f32_e64 s[2:3], v44, v44
	v_mul_f32_e32 v45, v45, v47
	v_bfe_u32 v47, v48, 16, 1
	v_and_b32_e32 v46, 0xffff0000, v46
	v_cndmask_b32_e64 v44, v42, v49, s[2:3]
	v_bfe_u32 v49, v43, 16, 1
	v_add3_u32 v47, v48, v47, s45
	v_mul_f32_e32 v44, v44, v46
	v_bfe_u32 v46, v45, 16, 1
	v_add3_u32 v49, v43, v49, s45
	v_and_b32_e32 v47, 0xffff0000, v47
	v_cmp_o_f32_e64 s[2:3], v48, v48
	v_bfe_u32 v50, v44, 16, 1
	v_add3_u32 v46, v45, v46, s45
	v_and_b32_e32 v49, 0xffff0000, v49
	v_cndmask_b32_e64 v47, v42, |v47|, s[2:3]
	v_cmp_o_f32_e64 s[2:3], v43, v43
	v_add3_u32 v50, v44, v50, s45
	v_and_b32_e32 v46, 0xffff0000, v46
	v_cndmask_b32_e64 v43, v42, |v49|, s[2:3]
	v_cmp_o_f32_e64 s[2:3], v45, v45
	v_and_b32_e32 v48, 0xffff0000, v50
	v_cndmask_b32_e64 v45, v42, |v46|, s[2:3]
	v_cmp_o_f32_e64 s[2:3], v44, v44
	v_max3_f32 v5, v5, v47, v43
	v_cndmask_b32_e64 v43, v42, |v48|, s[2:3]
	v_max3_f32 v5, v5, v43, v45
	s_mov_b64 s[2:3], -1
	s_and_saveexec_b64 s[40:41], vcc
	s_cbranch_execz .LBB80_19
; %bb.23:                               ;   in Loop: Header=BB80_21 Depth=1
	v_add_co_u32_e32 v44, vcc, v16, v12
	v_addc_co_u32_e32 v45, vcc, v15, v13, vcc
	v_add_co_u32_e32 v46, vcc, v24, v12
	v_addc_co_u32_e32 v47, vcc, v23, v13, vcc
	;; [unrolled: 2-line block ×3, first 2 shown]
	global_load_dwordx2 v[44:45], v[44:45], off
	v_mov_b32_e32 v43, s11
	global_load_dwordx2 v[48:49], v[48:49], off
	v_add_co_u32_e32 v38, vcc, s25, v38
	global_load_dwordx2 v[46:47], v[46:47], off
	v_addc_co_u32_e32 v39, vcc, v43, v39, vcc
	v_cmp_lt_i64_e32 vcc, v[38:39], v[10:11]
	s_waitcnt vmcnt(2)
	v_lshlrev_b32_e32 v43, 16, v44
	v_and_b32_e32 v38, 0xffff0000, v44
	s_waitcnt vmcnt(1)
	v_lshlrev_b32_e32 v51, 16, v48
	v_alignbit_b32 v44, v45, v44, 16
	v_and_b32_e32 v50, 0xffff0000, v48
	v_alignbit_b32 v48, v49, v48, 16
	v_add_f32_e32 v43, v43, v51
	v_and_b32_e32 v45, 0xffff0000, v45
	v_and_b32_e32 v49, 0xffff0000, v49
	;; [unrolled: 1-line block ×3, first 2 shown]
	v_add_f32_e32 v38, v38, v50
	v_and_b32_e32 v48, 0xffff0000, v48
	v_mul_f32_e32 v43, v37, v43
	v_add_f32_e32 v45, v45, v49
	v_add_f32_e32 v44, v44, v48
	v_mul_f32_e32 v38, v37, v38
	v_bfe_u32 v48, v43, 16, 1
	v_mul_f32_e32 v45, v37, v45
	v_bfe_u32 v49, v38, 16, 1
	v_add3_u32 v48, v43, v48, s45
	v_bfe_u32 v50, v45, 16, 1
	v_add3_u32 v49, v38, v49, s45
	v_and_b32_e32 v48, 0xffff0000, v48
	v_cmp_o_f32_e64 s[2:3], v43, v43
	v_mul_f32_e32 v44, v37, v44
	v_add3_u32 v50, v45, v50, s45
	v_and_b32_e32 v49, 0xffff0000, v49
	v_cndmask_b32_e64 v43, v42, v48, s[2:3]
	v_cmp_o_f32_e64 s[2:3], v38, v38
	s_waitcnt vmcnt(0)
	v_lshlrev_b32_e32 v52, 16, v46
	v_bfe_u32 v51, v44, 16, 1
	v_and_b32_e32 v50, 0xffff0000, v50
	v_cndmask_b32_e64 v38, v42, v49, s[2:3]
	v_cmp_o_f32_e64 s[2:3], v45, v45
	v_and_b32_e32 v39, 0xffff0000, v46
	v_alignbit_b32 v46, v47, v46, 16
	v_and_b32_e32 v47, 0xffff0000, v47
	v_add3_u32 v51, v44, v51, s45
	v_cndmask_b32_e64 v45, v42, v50, s[2:3]
	v_mul_f32_e32 v43, v43, v52
	v_and_b32_e32 v48, 0xffff0000, v51
	v_mul_f32_e32 v38, v38, v39
	v_cmp_o_f32_e64 s[2:3], v44, v44
	v_mul_f32_e32 v44, v45, v47
	v_bfe_u32 v45, v43, 16, 1
	v_and_b32_e32 v46, 0xffff0000, v46
	v_cndmask_b32_e64 v39, v42, v48, s[2:3]
	v_bfe_u32 v47, v38, 16, 1
	v_add3_u32 v45, v43, v45, s45
	v_mul_f32_e32 v39, v39, v46
	v_bfe_u32 v46, v44, 16, 1
	v_add3_u32 v47, v38, v47, s45
	v_and_b32_e32 v45, 0xffff0000, v45
	v_cmp_o_f32_e64 s[2:3], v43, v43
	v_bfe_u32 v48, v39, 16, 1
	v_add3_u32 v46, v44, v46, s45
	v_and_b32_e32 v47, 0xffff0000, v47
	v_cndmask_b32_e64 v43, v42, |v45|, s[2:3]
	v_cmp_o_f32_e64 s[2:3], v38, v38
	v_add3_u32 v48, v39, v48, s45
	v_and_b32_e32 v46, 0xffff0000, v46
	v_cndmask_b32_e64 v38, v42, |v47|, s[2:3]
	v_cmp_o_f32_e64 s[2:3], v44, v44
	v_and_b32_e32 v45, 0xffff0000, v48
	v_cndmask_b32_e64 v44, v42, |v46|, s[2:3]
	v_cmp_o_f32_e64 s[2:3], v39, v39
	v_max3_f32 v5, v5, v43, v38
	v_cndmask_b32_e64 v38, v42, |v45|, s[2:3]
	v_max3_f32 v5, v5, v38, v44
	s_mov_b64 s[2:3], -1
                                        ; implicit-def: $vgpr38_vgpr39
	s_and_saveexec_b64 s[8:9], vcc
	s_xor_b64 s[42:43], exec, s[8:9]
	s_cbranch_execz .LBB80_18
; %bb.24:                               ;   in Loop: Header=BB80_21 Depth=1
	s_add_u32 s2, s26, s26
	s_addc_u32 s3, s27, s27
	s_add_u32 s2, s2, s26
	s_addc_u32 s3, s3, s27
	v_mov_b32_e32 v39, s3
	v_add_co_u32_e32 v38, vcc, s2, v40
	v_addc_co_u32_e32 v39, vcc, v39, v41, vcc
	v_add_co_u32_e32 v40, vcc, v14, v12
	v_addc_co_u32_e32 v41, vcc, v1, v13, vcc
	global_load_dwordx2 v[40:41], v[40:41], off
	s_waitcnt vmcnt(0)
	v_and_b32_e32 v43, 0xffff0000, v40
	v_lshlrev_b32_e32 v44, 16, v40
	v_alignbit_b32 v45, v41, v40, 16
	v_add_co_u32_e32 v40, vcc, v30, v12
	v_and_b32_e32 v46, 0xffff0000, v41
	v_addc_co_u32_e32 v41, vcc, v29, v13, vcc
	global_load_dwordx2 v[40:41], v[40:41], off
	v_and_b32_e32 v45, 0xffff0000, v45
	s_waitcnt vmcnt(0)
	v_and_b32_e32 v47, 0xffff0000, v40
	v_lshlrev_b32_e32 v48, 16, v40
	v_alignbit_b32 v49, v41, v40, 16
	v_add_co_u32_e32 v40, vcc, v22, v12
	v_and_b32_e32 v50, 0xffff0000, v41
	v_addc_co_u32_e32 v41, vcc, v21, v13, vcc
	global_load_dwordx2 v[40:41], v[40:41], off
	v_add_f32_e32 v44, v44, v48
	v_add_f32_e32 v43, v43, v47
	v_and_b32_e32 v47, 0xffff0000, v49
	v_mul_f32_e32 v44, v37, v44
	v_add_f32_e32 v45, v45, v47
	v_bfe_u32 v47, v44, 16, 1
	v_add3_u32 v47, v44, v47, s45
	v_and_b32_e32 v47, 0xffff0000, v47
	v_cmp_o_f32_e32 vcc, v44, v44
	v_mul_f32_e32 v43, v37, v43
	v_cndmask_b32_e32 v44, v42, v47, vcc
	v_bfe_u32 v47, v43, 16, 1
	v_add_f32_e32 v46, v46, v50
	v_add3_u32 v47, v43, v47, s45
	v_and_b32_e32 v47, 0xffff0000, v47
	v_cmp_o_f32_e32 vcc, v43, v43
	v_mul_f32_e32 v46, v37, v46
	v_cndmask_b32_e32 v43, v42, v47, vcc
	v_bfe_u32 v47, v46, 16, 1
	v_add3_u32 v47, v46, v47, s45
	v_and_b32_e32 v47, 0xffff0000, v47
	v_cmp_o_f32_e32 vcc, v46, v46
	v_cndmask_b32_e32 v46, v42, v47, vcc
	v_mul_f32_e32 v45, v37, v45
	v_cmp_o_f32_e32 vcc, v45, v45
	s_waitcnt vmcnt(0)
	v_and_b32_e32 v51, 0xffff0000, v40
	v_lshlrev_b32_e32 v52, 16, v40
	v_alignbit_b32 v40, v41, v40, 16
	v_and_b32_e32 v41, 0xffff0000, v41
	v_mul_f32_e32 v41, v46, v41
	v_bfe_u32 v46, v45, 16, 1
	v_add3_u32 v46, v45, v46, s45
	v_and_b32_e32 v46, 0xffff0000, v46
	v_mul_f32_e32 v43, v43, v51
	v_and_b32_e32 v40, 0xffff0000, v40
	v_cndmask_b32_e32 v45, v42, v46, vcc
	v_mul_f32_e32 v40, v45, v40
	v_bfe_u32 v45, v43, 16, 1
	v_mul_f32_e32 v44, v44, v52
	v_add3_u32 v45, v43, v45, s45
	v_cmp_o_f32_e32 vcc, v43, v43
	v_bfe_u32 v43, v40, 16, 1
	v_add3_u32 v43, v40, v43, s45
	v_cmp_o_f32_e64 s[2:3], v40, v40
	v_bfe_u32 v40, v44, 16, 1
	v_add3_u32 v40, v44, v40, s45
	v_and_b32_e32 v45, 0xffff0000, v45
	v_and_b32_e32 v40, 0xffff0000, v40
	v_cmp_o_f32_e64 s[8:9], v44, v44
	v_cndmask_b32_e64 v40, v42, |v40|, s[8:9]
	v_cndmask_b32_e64 v44, v42, |v45|, vcc
	v_max3_f32 v5, v5, v40, v44
	v_bfe_u32 v40, v41, 16, 1
	v_add3_u32 v40, v41, v40, s45
	v_and_b32_e32 v43, 0xffff0000, v43
	v_and_b32_e32 v40, 0xffff0000, v40
	v_cmp_o_f32_e32 vcc, v41, v41
	v_cndmask_b32_e64 v40, v42, |v40|, vcc
	v_cndmask_b32_e64 v41, v42, |v43|, s[2:3]
	v_max3_f32 v5, v5, v41, v40
	v_mov_b32_e32 v40, s31
	v_add_co_u32_e32 v14, vcc, s30, v14
	v_addc_co_u32_e32 v1, vcc, v1, v40, vcc
	v_add_co_u32_e32 v16, vcc, s30, v16
	v_addc_co_u32_e32 v15, vcc, v15, v40, vcc
	;; [unrolled: 2-line block ×12, first 2 shown]
	v_cmp_ge_i64_e32 vcc, v[38:39], v[10:11]
	s_orn2_b64 s[2:3], vcc, exec
	s_branch .LBB80_18
.LBB80_25:
	s_or_b64 exec, exec, s[16:17]
.LBB80_26:
	s_or_b64 exec, exec, s[28:29]
	s_lshr_b32 s11, s44, 6
	v_cvt_f32_u32_e32 v10, s11
	v_lshlrev_b32_e32 v1, 2, v0
	ds_write_b32 v1, v5
	s_sub_i32 s8, 0, s11
	v_rcp_iflag_f32_e32 v5, v10
	s_add_i32 s2, s24, s11
	s_add_i32 s2, s2, -1
	s_ashr_i32 s3, s2, 31
	v_mul_f32_e32 v5, 0x4f7ffffe, v5
	v_cvt_u32_f32_e32 v5, v5
	s_abs_i32 s2, s2
	s_waitcnt lgkmcnt(0)
	s_barrier
	v_readfirstlane_b32 s9, v5
	s_mul_i32 s8, s8, s9
	s_mul_hi_u32 s8, s9, s8
	s_add_i32 s9, s9, s8
	s_mul_hi_u32 s8, s2, s9
	s_mul_i32 s9, s8, s11
	s_sub_i32 s2, s2, s9
	s_add_i32 s9, s8, 1
	s_sub_i32 s16, s2, s11
	s_cmp_ge_u32 s2, s11
	s_cselect_b32 s8, s9, s8
	s_cselect_b32 s2, s16, s2
	s_add_i32 s9, s8, 1
	s_cmp_ge_u32 s2, s11
	s_cselect_b32 s2, s9, s8
	s_xor_b32 s2, s2, s3
	s_sub_i32 s2, s2, s3
	s_ashr_i32 s3, s2, 31
	v_cmp_lt_i64_e64 s[8:9], s[2:3], 1
	s_and_b64 vcc, exec, s[8:9]
	s_cbranch_vccnz .LBB80_48
; %bb.27:
	v_and_b32_e32 v12, 63, v0
	v_add_co_u32_e32 v14, vcc, 32, v12
	v_addc_co_u32_e64 v15, s[8:9], 0, 0, vcc
	v_add_co_u32_e32 v16, vcc, 16, v12
	v_addc_co_u32_e64 v17, s[8:9], 0, 0, vcc
	;; [unrolled: 2-line block ×4, first 2 shown]
	v_add_co_u32_e32 v22, vcc, 2, v12
	v_lshrrev_b32_e32 v10, 6, v0
	v_addc_co_u32_e64 v23, s[8:9], 0, 0, vcc
	v_add_co_u32_e32 v24, vcc, 1, v12
	v_addc_co_u32_e64 v25, s[8:9], 0, 0, vcc
	v_mul_lo_u32 v5, s26, v10
	v_lshlrev_b32_e32 v5, 2, v5
	v_lshlrev_b32_e32 v26, 2, v12
	s_movk_i32 s8, 0x100
	v_mov_b32_e32 v11, 0
	v_add3_u32 v5, v5, v26, s8
	s_mul_i32 s8, s26, s11
	s_ashr_i32 s25, s24, 31
	v_mov_b32_e32 v13, v11
	s_lshl_b32 s36, s8, 2
	s_mov_b64 s[8:9], 0
	v_mov_b32_e32 v36, s11
	s_mov_b64 s[16:17], src_shared_base
	s_branch .LBB80_30
.LBB80_28:                              ;   in Loop: Header=BB80_30 Depth=1
	s_or_b64 exec, exec, s[30:31]
	v_mov_b32_e32 v27, s17
	flat_load_dword v26, v[26:27] glc
	s_waitcnt vmcnt(0)
.LBB80_29:                              ;   in Loop: Header=BB80_30 Depth=1
	s_or_b64 exec, exec, s[28:29]
	s_add_u32 s8, s8, 1
	s_addc_u32 s9, s9, 0
	s_cmp_eq_u64 s[8:9], s[2:3]
	v_add_u32_e32 v5, s36, v5
	s_cbranch_scc1 .LBB80_48
.LBB80_30:                              ; =>This Loop Header: Depth=1
                                        ;     Child Loop BB80_33 Depth 2
	v_mad_u64_u32 v[30:31], s[28:29], s8, v36, v[10:11]
	s_mul_i32 s16, s9, s11
	v_add_u32_e32 v31, s16, v31
	v_cmp_gt_i64_e32 vcc, s[24:25], v[30:31]
	s_and_saveexec_b64 s[28:29], vcc
	s_cbranch_execz .LBB80_29
; %bb.31:                               ;   in Loop: Header=BB80_30 Depth=1
	v_pk_mov_b32 v[32:33], s[26:27], s[26:27] op_sel:[0,1]
	v_mul_lo_u32 v29, v31, s26
	v_mul_lo_u32 v38, v30, s27
	v_mad_u64_u32 v[32:33], s[30:31], v30, s26, v[32:33]
	v_add3_u32 v33, v29, v33, v38
	v_mov_b32_e32 v28, s23
	v_cmp_gt_i64_e32 vcc, s[22:23], v[32:33]
	s_waitcnt lgkmcnt(0)
	v_mad_u64_u32 v[26:27], s[30:31], v30, s26, v[12:13]
	v_cndmask_b32_e32 v33, v28, v33, vcc
	v_mov_b32_e32 v28, s22
	v_add3_u32 v27, v29, v27, v38
	v_cndmask_b32_e32 v32, v28, v32, vcc
	v_add_co_u32_e32 v34, vcc, 64, v26
	v_addc_co_u32_e32 v35, vcc, 0, v27, vcc
	v_cmp_lt_i64_e32 vcc, v[34:35], v[32:33]
	v_lshlrev_b32_e32 v28, 2, v26
	s_and_saveexec_b64 s[30:31], vcc
	s_cbranch_execz .LBB80_34
; %bb.32:                               ;   in Loop: Header=BB80_30 Depth=1
	ds_read_b32 v31, v28
	s_mov_b64 s[34:35], 0
	v_mov_b32_e32 v27, v5
.LBB80_33:                              ;   Parent Loop BB80_30 Depth=1
                                        ; =>  This Inner Loop Header: Depth=2
	ds_read_b32 v39, v27
	v_add_co_u32_e32 v34, vcc, 64, v34
	v_addc_co_u32_e32 v35, vcc, 0, v35, vcc
	s_waitcnt lgkmcnt(1)
	v_max_f32_e32 v31, v31, v31
	v_cmp_ge_i64_e32 vcc, v[34:35], v[32:33]
	s_waitcnt lgkmcnt(0)
	v_max_f32_e32 v39, v39, v39
	v_add_u32_e32 v27, 0x100, v27
	s_or_b64 s[34:35], vcc, s[34:35]
	v_max_f32_e32 v31, v31, v39
	ds_write_b32 v28, v31
	s_andn2_b64 exec, exec, s[34:35]
	s_cbranch_execnz .LBB80_33
.LBB80_34:                              ;   in Loop: Header=BB80_30 Depth=1
	s_or_b64 exec, exec, s[30:31]
	v_mad_u64_u32 v[30:31], s[30:31], v30, s26, 0
	v_add3_u32 v27, v31, v38, v29
	v_sub_co_u32_e32 v30, vcc, v32, v30
	v_subb_co_u32_e32 v31, vcc, v33, v27, vcc
	v_cmp_gt_i64_e32 vcc, 64, v[30:31]
	v_cndmask_b32_e32 v31, 0, v31, vcc
	v_cndmask_b32_e32 v30, 64, v30, vcc
	v_cmp_lt_i64_e32 vcc, v[14:15], v[30:31]
	s_and_saveexec_b64 s[30:31], vcc
	s_cbranch_execnz .LBB80_46
; %bb.35:                               ;   in Loop: Header=BB80_30 Depth=1
	s_or_b64 exec, exec, s[30:31]
	v_cmp_lt_i64_e32 vcc, v[16:17], v[30:31]
	s_and_saveexec_b64 s[30:31], vcc
	s_cbranch_execnz .LBB80_47
.LBB80_36:                              ;   in Loop: Header=BB80_30 Depth=1
	s_or_b64 exec, exec, s[30:31]
	v_cmp_lt_i64_e32 vcc, v[18:19], v[30:31]
	s_and_saveexec_b64 s[30:31], vcc
	s_cbranch_execz .LBB80_38
.LBB80_37:                              ;   in Loop: Header=BB80_30 Depth=1
	v_mov_b32_e32 v29, s17
	v_add_u32_e32 v32, 32, v28
	v_mov_b32_e32 v33, s17
	flat_load_dword v27, v[28:29] glc
	s_waitcnt vmcnt(0)
	flat_load_dword v34, v[32:33] glc
	s_waitcnt vmcnt(0) lgkmcnt(0)
	v_max_f32_e32 v27, v27, v27
	v_max_f32_e32 v32, v34, v34
	;; [unrolled: 1-line block ×3, first 2 shown]
	flat_store_dword v[28:29], v27
	s_waitcnt vmcnt(0)
.LBB80_38:                              ;   in Loop: Header=BB80_30 Depth=1
	s_or_b64 exec, exec, s[30:31]
	v_cmp_ge_i64_e32 vcc, v[20:21], v[30:31]
	s_and_saveexec_b64 s[30:31], vcc
	s_xor_b64 s[30:31], exec, s[30:31]
; %bb.39:                               ;   in Loop: Header=BB80_30 Depth=1
                                        ; implicit-def: $vgpr28
; %bb.40:                               ;   in Loop: Header=BB80_30 Depth=1
	s_andn2_saveexec_b64 s[30:31], s[30:31]
	s_cbranch_execz .LBB80_42
; %bb.41:                               ;   in Loop: Header=BB80_30 Depth=1
	v_mov_b32_e32 v29, s17
	v_add_u32_e32 v32, 16, v28
	v_mov_b32_e32 v33, s17
	flat_load_dword v27, v[28:29] glc
	s_waitcnt vmcnt(0)
	flat_load_dword v34, v[32:33] glc
	s_waitcnt vmcnt(0) lgkmcnt(0)
	v_max_f32_e32 v27, v27, v27
	v_max_f32_e32 v32, v34, v34
	v_max_f32_e32 v27, v27, v32
	flat_store_dword v[28:29], v27
	s_waitcnt vmcnt(0)
.LBB80_42:                              ;   in Loop: Header=BB80_30 Depth=1
	s_or_b64 exec, exec, s[30:31]
	v_cmp_lt_i64_e32 vcc, v[22:23], v[30:31]
	v_lshlrev_b32_e32 v26, 2, v26
	s_and_saveexec_b64 s[30:31], vcc
	s_cbranch_execz .LBB80_44
; %bb.43:                               ;   in Loop: Header=BB80_30 Depth=1
	v_mov_b32_e32 v27, s17
	v_add_u32_e32 v28, 8, v26
	v_mov_b32_e32 v29, s17
	flat_load_dword v32, v[26:27] glc
	s_waitcnt vmcnt(0)
	flat_load_dword v33, v[28:29] glc
	s_waitcnt vmcnt(0) lgkmcnt(0)
	v_max_f32_e32 v28, v32, v32
	v_max_f32_e32 v29, v33, v33
	;; [unrolled: 1-line block ×3, first 2 shown]
	flat_store_dword v[26:27], v28
	s_waitcnt vmcnt(0)
.LBB80_44:                              ;   in Loop: Header=BB80_30 Depth=1
	s_or_b64 exec, exec, s[30:31]
	v_cmp_lt_i64_e32 vcc, v[24:25], v[30:31]
	s_and_saveexec_b64 s[30:31], vcc
	s_cbranch_execz .LBB80_28
; %bb.45:                               ;   in Loop: Header=BB80_30 Depth=1
	v_mov_b32_e32 v27, s17
	v_add_u32_e32 v28, 4, v26
	v_mov_b32_e32 v29, s17
	flat_load_dword v30, v[26:27] glc
	s_waitcnt vmcnt(0)
	flat_load_dword v31, v[28:29] glc
	s_waitcnt vmcnt(0) lgkmcnt(0)
	v_max_f32_e32 v28, v30, v30
	v_max_f32_e32 v29, v31, v31
	;; [unrolled: 1-line block ×3, first 2 shown]
	flat_store_dword v[26:27], v28
	s_waitcnt vmcnt(0)
	s_branch .LBB80_28
.LBB80_46:                              ;   in Loop: Header=BB80_30 Depth=1
	v_mov_b32_e32 v29, s17
	v_add_u32_e32 v32, 0x80, v28
	v_mov_b32_e32 v33, s17
	flat_load_dword v27, v[28:29] glc
	s_waitcnt vmcnt(0)
	flat_load_dword v34, v[32:33] glc
	s_waitcnt vmcnt(0) lgkmcnt(0)
	v_max_f32_e32 v27, v27, v27
	v_max_f32_e32 v32, v34, v34
	;; [unrolled: 1-line block ×3, first 2 shown]
	flat_store_dword v[28:29], v27
	s_waitcnt vmcnt(0)
	s_or_b64 exec, exec, s[30:31]
	v_cmp_lt_i64_e32 vcc, v[16:17], v[30:31]
	s_and_saveexec_b64 s[30:31], vcc
	s_cbranch_execz .LBB80_36
.LBB80_47:                              ;   in Loop: Header=BB80_30 Depth=1
	v_mov_b32_e32 v29, s17
	v_add_u32_e32 v32, 64, v28
	v_mov_b32_e32 v33, s17
	flat_load_dword v27, v[28:29] glc
	s_waitcnt vmcnt(0)
	flat_load_dword v34, v[32:33] glc
	s_waitcnt vmcnt(0) lgkmcnt(0)
	v_max_f32_e32 v27, v27, v27
	v_max_f32_e32 v32, v34, v34
	;; [unrolled: 1-line block ×3, first 2 shown]
	flat_store_dword v[28:29], v27
	s_waitcnt vmcnt(0)
	s_or_b64 exec, exec, s[30:31]
	v_cmp_lt_i64_e32 vcc, v[18:19], v[30:31]
	s_and_saveexec_b64 s[30:31], vcc
	s_cbranch_execnz .LBB80_37
	s_branch .LBB80_38
.LBB80_48:
	s_load_dwordx2 s[8:9], s[4:5], 0x40
	v_cmp_eq_u32_e32 vcc, 0, v4
	v_cmp_lt_i64_e64 s[2:3], v[6:7], v[8:9]
	s_and_b64 s[2:3], vcc, s[2:3]
	s_waitcnt lgkmcnt(0)
	s_barrier
	s_and_saveexec_b64 s[16:17], s[2:3]
	s_cbranch_execz .LBB80_55
; %bb.49:
	s_load_dwordx2 s[2:3], s[4:5], 0x20
	ds_read_b32 v1, v1
	s_waitcnt lgkmcnt(0)
	s_cmp_eq_u64 s[2:3], 0
	s_cbranch_scc1 .LBB80_51
; %bb.50:
	s_load_dword s2, s[2:3], 0x0
	v_max_f32_e32 v1, v1, v1
	s_waitcnt lgkmcnt(0)
	v_max_f32_e64 v4, s2, s2
	v_min_f32_e32 v1, v1, v4
.LBB80_51:
	s_add_u32 s3, s8, s49
	s_addc_u32 s4, s9, 0
	s_add_u32 s22, s3, -1
	s_addc_u32 s23, s4, -1
	s_or_b64 s[4:5], s[22:23], s[8:9]
	s_mov_b32 s2, 0
	s_mov_b32 s3, s5
	s_cmp_lg_u64 s[2:3], 0
	s_mov_b64 s[24:25], -1
	s_cbranch_scc0 .LBB80_68
; %bb.52:
	s_ashr_i32 s2, s9, 31
	s_add_u32 s4, s8, s2
	s_mov_b32 s3, s2
	s_addc_u32 s5, s9, s2
	s_xor_b64 s[26:27], s[4:5], s[2:3]
	v_cvt_f32_u32_e32 v4, s26
	v_cvt_f32_u32_e32 v5, s27
	s_sub_u32 s2, 0, s26
	s_subb_u32 s3, 0, s27
	v_madmk_f32 v4, v5, 0x4f800000, v4
	v_rcp_f32_e32 v4, v4
	v_mul_f32_e32 v4, 0x5f7ffffc, v4
	v_mul_f32_e32 v5, 0x2f800000, v4
	v_trunc_f32_e32 v5, v5
	v_madmk_f32 v4, v5, 0xcf800000, v4
	v_cvt_u32_f32_e32 v5, v5
	v_cvt_u32_f32_e32 v4, v4
	v_readfirstlane_b32 s4, v5
	v_readfirstlane_b32 s5, v4
	s_mul_i32 s11, s2, s4
	s_mul_hi_u32 s29, s2, s5
	s_mul_i32 s28, s3, s5
	s_add_i32 s11, s29, s11
	s_add_i32 s11, s11, s28
	s_mul_i32 s30, s2, s5
	s_mul_hi_u32 s28, s5, s11
	s_mul_i32 s29, s5, s11
	s_mul_hi_u32 s5, s5, s30
	s_add_u32 s5, s5, s29
	s_addc_u32 s28, 0, s28
	s_mul_hi_u32 s31, s4, s30
	s_mul_i32 s30, s4, s30
	s_add_u32 s5, s5, s30
	s_mul_hi_u32 s29, s4, s11
	s_addc_u32 s5, s28, s31
	s_addc_u32 s28, s29, 0
	s_mul_i32 s11, s4, s11
	s_add_u32 s5, s5, s11
	s_addc_u32 s11, 0, s28
	v_add_co_u32_e32 v4, vcc, s5, v4
	s_cmp_lg_u64 vcc, 0
	s_addc_u32 s4, s4, s11
	v_readfirstlane_b32 s11, v4
	s_mul_i32 s5, s2, s4
	s_mul_hi_u32 s28, s2, s11
	s_add_i32 s5, s28, s5
	s_mul_i32 s3, s3, s11
	s_add_i32 s5, s5, s3
	s_mul_i32 s2, s2, s11
	s_mul_hi_u32 s28, s4, s2
	s_mul_i32 s29, s4, s2
	s_mul_i32 s31, s11, s5
	s_mul_hi_u32 s2, s11, s2
	s_mul_hi_u32 s30, s11, s5
	s_add_u32 s2, s2, s31
	s_addc_u32 s11, 0, s30
	s_add_u32 s2, s2, s29
	s_mul_hi_u32 s3, s4, s5
	s_addc_u32 s2, s11, s28
	s_addc_u32 s3, s3, 0
	s_mul_i32 s5, s4, s5
	s_add_u32 s2, s2, s5
	s_addc_u32 s3, 0, s3
	v_add_co_u32_e32 v4, vcc, s2, v4
	s_cmp_lg_u64 vcc, 0
	s_addc_u32 s4, s4, s3
	s_ashr_i32 s28, s23, 31
	s_add_u32 s2, s22, s28
	s_mov_b32 s29, s28
	s_addc_u32 s3, s23, s28
	s_xor_b64 s[30:31], s[2:3], s[28:29]
	v_readfirstlane_b32 s5, v4
	s_mul_i32 s3, s30, s4
	s_mul_hi_u32 s11, s30, s5
	s_mul_hi_u32 s2, s30, s4
	s_add_u32 s3, s11, s3
	s_addc_u32 s2, 0, s2
	s_mul_hi_u32 s29, s31, s5
	s_mul_i32 s5, s31, s5
	s_add_u32 s3, s3, s5
	s_mul_hi_u32 s11, s31, s4
	s_addc_u32 s2, s2, s29
	s_addc_u32 s3, s11, 0
	s_mul_i32 s4, s31, s4
	s_add_u32 s2, s2, s4
	s_addc_u32 s3, 0, s3
	s_mul_i32 s3, s26, s3
	s_mul_hi_u32 s4, s26, s2
	s_add_i32 s3, s4, s3
	s_mul_i32 s4, s27, s2
	s_mul_i32 s2, s26, s2
	s_add_i32 s11, s3, s4
	v_mov_b32_e32 v4, s2
	s_sub_i32 s3, s31, s11
	v_sub_co_u32_e32 v4, vcc, s30, v4
	s_cmp_lg_u64 vcc, 0
	s_subb_u32 s29, s3, s27
	v_subrev_co_u32_e64 v5, s[2:3], s26, v4
	s_cmp_lg_u64 s[2:3], 0
	s_subb_u32 s30, s29, 0
	s_cmp_ge_u32 s30, s27
	s_cselect_b32 s34, -1, 0
	v_cmp_le_u32_e64 s[4:5], s26, v5
	s_cmp_eq_u32 s30, s27
	v_cndmask_b32_e64 v6, 0, -1, s[4:5]
	v_mov_b32_e32 v7, s34
	s_cselect_b64 s[4:5], -1, 0
	s_cmp_lg_u64 s[2:3], 0
	v_cndmask_b32_e64 v6, v7, v6, s[4:5]
	s_subb_u32 s4, s29, s27
	v_subrev_co_u32_e64 v7, s[2:3], s26, v5
	s_cmp_lg_u64 s[2:3], 0
	s_subb_u32 s4, s4, 0
	v_cmp_ne_u32_e64 s[2:3], 0, v6
	v_cndmask_b32_e64 v5, v5, v7, s[2:3]
	v_mov_b32_e32 v6, s30
	v_mov_b32_e32 v7, s4
	s_cmp_lg_u64 vcc, 0
	v_cndmask_b32_e64 v6, v6, v7, s[2:3]
	s_subb_u32 s2, s31, s11
	s_cmp_ge_u32 s2, s27
	s_cselect_b32 s3, -1, 0
	v_cmp_le_u32_e32 vcc, s26, v4
	s_cmp_eq_u32 s2, s27
	v_cndmask_b32_e64 v7, 0, -1, vcc
	v_mov_b32_e32 v8, s3
	s_cselect_b64 vcc, -1, 0
	v_cndmask_b32_e32 v7, v8, v7, vcc
	v_cmp_ne_u32_e32 vcc, 0, v7
	v_mov_b32_e32 v8, s2
	v_cndmask_b32_e32 v4, v4, v5, vcc
	v_cndmask_b32_e32 v6, v8, v6, vcc
	v_xor_b32_e32 v4, s28, v4
	v_xor_b32_e32 v5, s28, v6
	v_mov_b32_e32 v6, s28
	v_subrev_co_u32_e32 v4, vcc, s28, v4
	v_subb_co_u32_e32 v5, vcc, v5, v6, vcc
	s_cbranch_execnz .LBB80_54
.LBB80_53:
	v_cvt_f32_u32_e32 v4, s8
	s_sub_i32 s2, 0, s8
	v_rcp_iflag_f32_e32 v4, v4
	v_mul_f32_e32 v4, 0x4f7ffffe, v4
	v_cvt_u32_f32_e32 v4, v4
	v_mul_lo_u32 v5, s2, v4
	v_mul_hi_u32 v5, v4, v5
	v_add_u32_e32 v4, v4, v5
	v_mul_hi_u32 v4, s22, v4
	v_mul_lo_u32 v4, v4, s8
	v_sub_u32_e32 v4, s22, v4
	v_subrev_u32_e32 v5, s8, v4
	v_cmp_le_u32_e32 vcc, s8, v4
	v_cndmask_b32_e32 v4, v4, v5, vcc
	v_subrev_u32_e32 v5, s8, v4
	v_cmp_le_u32_e32 vcc, s8, v4
	v_cndmask_b32_e32 v4, v4, v5, vcc
	v_mov_b32_e32 v5, 0
.LBB80_54:
	s_mov_b32 s4, 0x42fe0000
	v_div_scale_f32 v6, s[2:3], s4, s4, v1
	v_rcp_f32_e32 v7, v6
	v_div_scale_f32 v8, vcc, v1, s4, v1
	v_fma_f32 v9, -v6, v7, 1.0
	v_fmac_f32_e32 v7, v9, v7
	v_mul_f32_e32 v9, v8, v7
	v_fma_f32 v10, -v6, v9, v8
	v_fmac_f32_e32 v9, v10, v7
	v_fma_f32 v6, -v6, v9, v8
	v_div_fmas_f32 v6, v6, v7, v9
	v_div_fixup_f32 v1, v6, s4, v1
	v_mov_b32_e32 v6, s23
	v_sub_co_u32_e32 v4, vcc, s22, v4
	v_subb_co_u32_e32 v5, vcc, v6, v5, vcc
	v_mul_lo_u32 v5, v5, v2
	v_mul_lo_u32 v6, v4, v3
	v_mad_u64_u32 v[2:3], s[2:3], v4, v2, 0
	s_lshl_b64 s[2:3], s[6:7], 2
	v_add3_u32 v3, v3, v6, v5
	s_add_u32 s2, s2, s14
	v_lshlrev_b64 v[2:3], 2, v[2:3]
	s_addc_u32 s3, s3, s15
	v_mov_b32_e32 v4, s3
	v_add_co_u32_e32 v2, vcc, s2, v2
	v_max_f32_e32 v1, 0x34000000, v1
	v_addc_co_u32_e32 v3, vcc, v4, v3, vcc
	global_store_dword v[2:3], v1, off
.LBB80_55:
	s_or_b64 exec, exec, s[16:17]
	s_barrier
	s_and_saveexec_b64 s[2:3], s[0:1]
	s_cbranch_execz .LBB80_67
; %bb.56:
	s_add_u32 s1, s8, s49
	s_addc_u32 s2, s9, 0
	s_add_u32 s4, s1, -1
	s_addc_u32 s5, s2, -1
	s_or_b64 s[2:3], s[4:5], s[8:9]
	s_mov_b32 s0, 0
	s_mov_b32 s1, s3
	s_cmp_lg_u64 s[0:1], 0
	s_mov_b64 s[16:17], -1
	s_cbranch_scc0 .LBB80_69
; %bb.57:
	s_ashr_i32 s0, s9, 31
	s_add_u32 s2, s8, s0
	s_mov_b32 s1, s0
	s_addc_u32 s3, s9, s0
	s_xor_b64 s[22:23], s[2:3], s[0:1]
	v_cvt_f32_u32_e32 v1, s22
	v_cvt_f32_u32_e32 v2, s23
	s_sub_u32 s0, 0, s22
	s_subb_u32 s1, 0, s23
	v_madmk_f32 v1, v2, 0x4f800000, v1
	v_rcp_f32_e32 v1, v1
	v_mul_f32_e32 v1, 0x5f7ffffc, v1
	v_mul_f32_e32 v2, 0x2f800000, v1
	v_trunc_f32_e32 v2, v2
	v_madmk_f32 v1, v2, 0xcf800000, v1
	v_cvt_u32_f32_e32 v2, v2
	v_cvt_u32_f32_e32 v1, v1
	v_readfirstlane_b32 s2, v2
	v_readfirstlane_b32 s3, v1
	s_mul_i32 s9, s0, s2
	s_mul_hi_u32 s24, s0, s3
	s_mul_i32 s11, s1, s3
	s_add_i32 s9, s24, s9
	s_add_i32 s9, s9, s11
	s_mul_i32 s25, s0, s3
	s_mul_hi_u32 s11, s3, s9
	s_mul_i32 s24, s3, s9
	s_mul_hi_u32 s3, s3, s25
	s_add_u32 s3, s3, s24
	s_addc_u32 s11, 0, s11
	s_mul_hi_u32 s26, s2, s25
	s_mul_i32 s25, s2, s25
	s_add_u32 s3, s3, s25
	s_mul_hi_u32 s24, s2, s9
	s_addc_u32 s3, s11, s26
	s_addc_u32 s11, s24, 0
	s_mul_i32 s9, s2, s9
	s_add_u32 s3, s3, s9
	s_addc_u32 s9, 0, s11
	v_add_co_u32_e32 v1, vcc, s3, v1
	s_cmp_lg_u64 vcc, 0
	s_addc_u32 s2, s2, s9
	v_readfirstlane_b32 s9, v1
	s_mul_i32 s3, s0, s2
	s_mul_hi_u32 s11, s0, s9
	s_add_i32 s3, s11, s3
	s_mul_i32 s1, s1, s9
	s_add_i32 s3, s3, s1
	s_mul_i32 s0, s0, s9
	s_mul_hi_u32 s11, s2, s0
	s_mul_i32 s24, s2, s0
	s_mul_i32 s26, s9, s3
	s_mul_hi_u32 s0, s9, s0
	s_mul_hi_u32 s25, s9, s3
	s_add_u32 s0, s0, s26
	s_addc_u32 s9, 0, s25
	s_add_u32 s0, s0, s24
	s_mul_hi_u32 s1, s2, s3
	s_addc_u32 s0, s9, s11
	s_addc_u32 s1, s1, 0
	s_mul_i32 s3, s2, s3
	s_add_u32 s0, s0, s3
	s_addc_u32 s1, 0, s1
	v_add_co_u32_e32 v1, vcc, s0, v1
	s_cmp_lg_u64 vcc, 0
	s_addc_u32 s2, s2, s1
	s_ashr_i32 s24, s5, 31
	s_add_u32 s0, s4, s24
	s_mov_b32 s25, s24
	s_addc_u32 s1, s5, s24
	s_xor_b64 s[26:27], s[0:1], s[24:25]
	v_readfirstlane_b32 s3, v1
	s_mul_i32 s1, s26, s2
	s_mul_hi_u32 s9, s26, s3
	s_mul_hi_u32 s0, s26, s2
	s_add_u32 s1, s9, s1
	s_addc_u32 s0, 0, s0
	s_mul_hi_u32 s11, s27, s3
	s_mul_i32 s3, s27, s3
	s_add_u32 s1, s1, s3
	s_mul_hi_u32 s9, s27, s2
	s_addc_u32 s0, s0, s11
	s_addc_u32 s1, s9, 0
	s_mul_i32 s2, s27, s2
	s_add_u32 s0, s0, s2
	s_addc_u32 s1, 0, s1
	s_mul_i32 s1, s22, s1
	s_mul_hi_u32 s2, s22, s0
	s_add_i32 s1, s2, s1
	s_mul_i32 s2, s23, s0
	s_mul_i32 s0, s22, s0
	s_add_i32 s9, s1, s2
	v_mov_b32_e32 v1, s0
	s_sub_i32 s1, s27, s9
	v_sub_co_u32_e32 v1, vcc, s26, v1
	s_cmp_lg_u64 vcc, 0
	s_subb_u32 s11, s1, s23
	v_subrev_co_u32_e64 v2, s[0:1], s22, v1
	s_cmp_lg_u64 s[0:1], 0
	s_subb_u32 s25, s11, 0
	s_cmp_ge_u32 s25, s23
	s_cselect_b32 s26, -1, 0
	v_cmp_le_u32_e64 s[2:3], s22, v2
	s_cmp_eq_u32 s25, s23
	v_cndmask_b32_e64 v3, 0, -1, s[2:3]
	v_mov_b32_e32 v4, s26
	s_cselect_b64 s[2:3], -1, 0
	s_cmp_lg_u64 s[0:1], 0
	v_cndmask_b32_e64 v3, v4, v3, s[2:3]
	s_subb_u32 s2, s11, s23
	v_subrev_co_u32_e64 v4, s[0:1], s22, v2
	s_cmp_lg_u64 s[0:1], 0
	s_subb_u32 s2, s2, 0
	v_cmp_ne_u32_e64 s[0:1], 0, v3
	v_cndmask_b32_e64 v2, v2, v4, s[0:1]
	v_mov_b32_e32 v3, s25
	v_mov_b32_e32 v4, s2
	s_cmp_lg_u64 vcc, 0
	v_cndmask_b32_e64 v3, v3, v4, s[0:1]
	s_subb_u32 s0, s27, s9
	s_cmp_ge_u32 s0, s23
	s_cselect_b32 s1, -1, 0
	v_cmp_le_u32_e32 vcc, s22, v1
	s_cmp_eq_u32 s0, s23
	v_cndmask_b32_e64 v4, 0, -1, vcc
	v_mov_b32_e32 v5, s1
	s_cselect_b64 vcc, -1, 0
	v_cndmask_b32_e32 v4, v5, v4, vcc
	v_cmp_ne_u32_e32 vcc, 0, v4
	v_mov_b32_e32 v5, s0
	v_cndmask_b32_e32 v1, v1, v2, vcc
	v_cndmask_b32_e32 v3, v5, v3, vcc
	v_xor_b32_e32 v1, s24, v1
	v_xor_b32_e32 v3, s24, v3
	v_mov_b32_e32 v4, s24
	v_subrev_co_u32_e32 v2, vcc, s24, v1
	v_subb_co_u32_e32 v3, vcc, v3, v4, vcc
	s_cbranch_execnz .LBB80_59
.LBB80_58:
	v_cvt_f32_u32_e32 v1, s8
	s_sub_i32 s0, 0, s8
	v_mov_b32_e32 v3, 0
	v_rcp_iflag_f32_e32 v1, v1
	v_mul_f32_e32 v1, 0x4f7ffffe, v1
	v_cvt_u32_f32_e32 v1, v1
	v_mul_lo_u32 v2, s0, v1
	v_mul_hi_u32 v2, v1, v2
	v_add_u32_e32 v1, v1, v2
	v_mul_hi_u32 v1, s4, v1
	v_mul_lo_u32 v1, v1, s8
	v_sub_u32_e32 v1, s4, v1
	v_subrev_u32_e32 v2, s8, v1
	v_cmp_le_u32_e32 vcc, s8, v1
	v_cndmask_b32_e32 v1, v1, v2, vcc
	v_subrev_u32_e32 v2, s8, v1
	v_cmp_le_u32_e32 vcc, s8, v1
	v_cndmask_b32_e32 v2, v1, v2, vcc
.LBB80_59:
	s_add_u32 s11, s12, s20
	s_addc_u32 s16, s13, s21
	s_lshl_b64 s[0:1], s[6:7], 2
	s_add_u32 s14, s14, s0
	s_addc_u32 s15, s15, s1
	v_mov_b32_e32 v1, s5
	v_sub_co_u32_e32 v8, vcc, s4, v2
	v_subb_co_u32_e32 v9, vcc, v1, v3, vcc
	s_mul_i32 s17, s44, 3
	s_lshl_b32 s20, s44, 1
	s_mov_b64 s[2:3], 0
	v_mov_b32_e32 v10, s46
	v_mov_b32_e32 v11, s19
	;; [unrolled: 1-line block ×3, first 2 shown]
	s_movk_i32 s21, 0x7fff
	v_mov_b32_e32 v13, 0x7fc00000
	v_mov_b32_e32 v14, 0x7fc0
	;; [unrolled: 1-line block ×3, first 2 shown]
	s_mov_b32 s22, 0x42fe0000
	v_mov_b32_e32 v16, 0x42fe0000
	s_mov_b32 s23, 0xc3000000
	v_mov_b32_e32 v17, 0xc3000000
	v_mov_b32_e32 v18, s16
	;; [unrolled: 1-line block ×4, first 2 shown]
                                        ; implicit-def: $sgpr4_sgpr5
	s_branch .LBB80_63
.LBB80_60:                              ;   in Loop: Header=BB80_63 Depth=1
	s_or_b64 exec, exec, s[12:13]
	s_orn2_b64 s[0:1], s[0:1], exec
.LBB80_61:                              ;   in Loop: Header=BB80_63 Depth=1
	s_or_b64 exec, exec, s[8:9]
	s_andn2_b64 s[4:5], s[4:5], exec
	s_and_b64 s[0:1], s[0:1], exec
	s_or_b64 s[4:5], s[4:5], s[0:1]
.LBB80_62:                              ;   in Loop: Header=BB80_63 Depth=1
	s_or_b64 exec, exec, s[6:7]
	s_and_b64 s[0:1], exec, s[4:5]
	s_or_b64 s[2:3], s[0:1], s[2:3]
	s_andn2_b64 exec, exec, s[2:3]
	s_cbranch_execz .LBB80_67
.LBB80_63:                              ; =>This Inner Loop Header: Depth=1
	v_lshlrev_b64 v[2:3], 3, v[0:1]
	v_add_co_u32_e32 v4, vcc, s33, v2
	v_addc_co_u32_e32 v5, vcc, v10, v3, vcc
	v_bfe_u32 v25, v0, 4, 26
	global_load_dwordx2 v[6:7], v[4:5], off
	v_add_co_u32_e32 v4, vcc, s47, v2
	v_mad_u64_u32 v[22:23], s[0:1], v8, v25, 0
	v_addc_co_u32_e32 v5, vcc, v12, v3, vcc
	v_mov_b32_e32 v24, v23
	global_load_dwordx2 v[20:21], v[4:5], off
	v_mad_u64_u32 v[24:25], s[0:1], v9, v25, v[24:25]
	v_add_co_u32_e32 v2, vcc, s18, v2
	v_mov_b32_e32 v23, v24
	v_addc_co_u32_e32 v3, vcc, v11, v3, vcc
	v_lshlrev_b64 v[22:23], 2, v[22:23]
	v_add_co_u32_e32 v22, vcc, s14, v22
	v_addc_co_u32_e32 v23, vcc, v15, v23, vcc
	global_load_dword v22, v[22:23], off
	s_or_b64 s[4:5], s[4:5], exec
	global_load_dwordx2 v[2:3], v[2:3], off
	s_waitcnt vmcnt(3)
	v_and_b32_e32 v23, 0xffff0000, v6
	v_lshlrev_b32_e32 v24, 16, v6
	v_alignbit_b32 v6, v7, v6, 16
	v_and_b32_e32 v7, 0xffff0000, v7
	v_and_b32_e32 v6, 0xffff0000, v6
	s_waitcnt vmcnt(2)
	v_and_b32_e32 v25, 0xffff0000, v20
	v_lshlrev_b32_e32 v26, 16, v20
	v_alignbit_b32 v20, v21, v20, 16
	v_and_b32_e32 v21, 0xffff0000, v21
	v_add_f32_e32 v21, v7, v21
	v_add_f32_e32 v23, v23, v25
	v_and_b32_e32 v20, 0xffff0000, v20
	v_bfe_u32 v25, v21, 16, 1
	v_add_f32_e32 v24, v24, v26
	v_add_f32_e32 v20, v6, v20
	v_bfe_u32 v7, v23, 16, 1
	v_add3_u32 v25, v21, v25, s21
	v_bfe_u32 v6, v24, 16, 1
	v_mul_f32_e32 v26, v37, v24
	v_add3_u32 v7, v23, v7, s21
	v_bfe_u32 v29, v20, 16, 1
	v_and_b32_e32 v25, 0xffff0000, v25
	v_cmp_o_f32_e32 vcc, v21, v21
	v_mul_f32_e32 v28, v37, v23
	v_add3_u32 v6, v24, v6, s21
	v_bfe_u32 v30, v26, 16, 1
	v_and_b32_e32 v7, 0xffff0000, v7
	v_add3_u32 v29, v20, v29, s21
	v_cndmask_b32_e32 v25, v13, v25, vcc
	v_cmp_o_f32_e32 vcc, v23, v23
	s_waitcnt vmcnt(1)
	v_div_scale_f32 v23, s[0:1], v22, v22, 1.0
	v_lshrrev_b32_e32 v6, 16, v6
	v_add3_u32 v30, v26, v30, s21
	v_lshrrev_b32_e32 v29, 16, v29
	v_cndmask_b32_e32 v7, v13, v7, vcc
	v_cmp_o_f32_e32 vcc, v24, v24
	v_cmp_o_f32_e64 s[0:1], v20, v20
	v_cndmask_b32_e32 v6, v14, v6, vcc
	v_and_b32_e32 v30, 0xffff0000, v30
	v_cndmask_b32_e64 v29, v14, v29, s[0:1]
	v_rcp_f32_e32 v32, v23
	v_cmp_o_f32_e64 s[0:1], v26, v26
	s_waitcnt vmcnt(0)
	v_lshlrev_b32_e32 v27, 16, v2
	v_or_b32_e32 v6, v6, v7
	v_cndmask_b32_e64 v26, v13, v30, s[0:1]
	v_or3_b32 v7, 0, v29, v25
	v_or3_b32 v6, v6, 0, 0
	v_mul_f32_e32 v25, v26, v27
	global_store_dwordx2 v[4:5], v[6:7], off
	v_bfe_u32 v4, v25, 16, 1
	v_add3_u32 v4, v25, v4, s21
	v_fma_f32 v5, -v23, v32, 1.0
	v_div_scale_f32 v24, vcc, 1.0, v22, 1.0
	v_and_b32_e32 v4, 0xffff0000, v4
	v_fmac_f32_e32 v32, v5, v32
	v_cmp_o_f32_e64 s[0:1], v25, v25
	v_cndmask_b32_e64 v5, v13, v4, s[0:1]
	v_mul_f32_e32 v4, v24, v32
	v_fma_f32 v6, -v23, v4, v24
	v_fmac_f32_e32 v4, v6, v32
	v_fma_f32 v6, -v23, v4, v24
	v_div_fmas_f32 v4, v6, v32, v4
	v_div_fixup_f32 v4, v4, v22, 1.0
	v_mul_f32_e32 v5, v4, v5
	v_rndne_f32_e32 v5, v5
	v_cmp_nlt_f32_e32 vcc, s22, v5
	v_cndmask_b32_e32 v6, v16, v5, vcc
	v_cmp_ngt_f32_e32 vcc, s23, v5
	v_cndmask_b32_e32 v5, v17, v6, vcc
	v_mul_f32_e32 v6, v37, v20
	v_bfe_u32 v7, v6, 16, 1
	v_add3_u32 v7, v6, v7, s21
	v_and_b32_e32 v7, 0xffff0000, v7
	v_cmp_o_f32_e32 vcc, v6, v6
	v_cndmask_b32_e32 v6, v13, v7, vcc
	v_alignbit_b32 v7, v3, v2, 16
	v_and_b32_e32 v7, 0xffff0000, v7
	v_mul_f32_e32 v6, v6, v7
	v_bfe_u32 v7, v6, 16, 1
	v_add3_u32 v7, v6, v7, s21
	v_and_b32_e32 v7, 0xffff0000, v7
	v_cmp_o_f32_e32 vcc, v6, v6
	v_cndmask_b32_e32 v6, v13, v7, vcc
	v_mul_f32_e32 v6, v4, v6
	v_rndne_f32_e32 v6, v6
	v_cmp_nlt_f32_e32 vcc, s22, v6
	v_cndmask_b32_e32 v7, v16, v6, vcc
	v_cmp_ngt_f32_e32 vcc, s23, v6
	v_cndmask_b32_e32 v6, v17, v7, vcc
	v_mul_f32_e32 v20, v37, v21
	v_cvt_i32_f32_e32 v24, v6
	v_bfe_u32 v6, v20, 16, 1
	v_add3_u32 v6, v20, v6, s21
	v_and_b32_e32 v22, 0xffff0000, v6
	v_lshlrev_b64 v[6:7], 2, v[0:1]
	v_bfe_u32 v31, v28, 16, 1
	v_add_co_u32_e32 v6, vcc, s11, v6
	v_add3_u32 v31, v28, v31, s21
	v_addc_co_u32_e32 v7, vcc, v18, v7, vcc
	v_and_b32_e32 v31, 0xffff0000, v31
	v_cmp_o_f32_e32 vcc, v28, v28
	v_cndmask_b32_e32 v21, v13, v31, vcc
	v_cmp_o_f32_e32 vcc, v20, v20
	v_cndmask_b32_e32 v20, v13, v22, vcc
	v_and_b32_e32 v23, 0xffff0000, v2
	v_and_b32_e32 v22, 0xffff0000, v3
	v_pk_mul_f32 v[2:3], v[20:21], v[22:23]
	v_bfe_u32 v21, v3, 16, 1
	v_cvt_i32_f32_e32 v5, v5
	v_bfe_u32 v20, v2, 16, 1
	v_add3_u32 v21, v3, v21, s21
	v_add3_u32 v20, v2, v20, s21
	v_and_b32_e32 v21, 0xffff0000, v21
	v_cmp_o_f32_e32 vcc, v3, v3
	v_and_b32_e32 v20, 0xffff0000, v20
	v_cndmask_b32_e32 v3, v13, v21, vcc
	v_cmp_o_f32_e32 vcc, v2, v2
	v_cndmask_b32_e32 v2, v13, v20, vcc
	v_pk_mul_f32 v[2:3], v[4:5], v[2:3] op_sel_hi:[0,1]
	v_rndne_f32_e32 v2, v2
	v_rndne_f32_e32 v3, v3
	v_cmp_nlt_f32_e32 vcc, s22, v2
	v_cndmask_b32_e32 v4, v16, v2, vcc
	v_cmp_nlt_f32_e32 vcc, s22, v3
	v_cndmask_b32_e32 v20, v16, v3, vcc
	v_cmp_ngt_f32_e32 vcc, s23, v3
	v_cndmask_b32_e32 v3, v17, v20, vcc
	v_cmp_ngt_f32_e32 vcc, s23, v2
	v_cndmask_b32_e32 v2, v17, v4, vcc
	v_cvt_i32_f32_e32 v3, v3
	v_cvt_i32_f32_e32 v2, v2
	v_and_b32_e32 v4, 0xff, v24
	v_lshlrev_b32_e32 v4, 16, v4
	v_lshlrev_b32_sdwa v3, v19, v3 dst_sel:DWORD dst_unused:UNUSED_PAD src0_sel:DWORD src1_sel:BYTE_0
	v_lshl_or_b32 v2, v2, 24, v4
	v_and_b32_e32 v4, 0xff, v5
	v_or3_b32 v2, v2, v3, v4
	global_store_dword v[6:7], v2, off
	v_add_u32_e32 v2, s44, v0
	v_cmp_gt_u32_e32 vcc, s10, v2
	s_and_saveexec_b64 s[6:7], vcc
	s_cbranch_execz .LBB80_62
; %bb.64:                               ;   in Loop: Header=BB80_63 Depth=1
	v_mov_b32_e32 v3, v1
	v_lshlrev_b64 v[4:5], 3, v[2:3]
	v_mov_b32_e32 v7, s46
	v_add_co_u32_e32 v6, vcc, s33, v4
	v_addc_co_u32_e32 v7, vcc, v7, v5, vcc
	v_mov_b32_e32 v21, s48
	v_add_co_u32_e32 v20, vcc, s47, v4
	v_addc_co_u32_e32 v21, vcc, v21, v5, vcc
	v_mov_b32_e32 v24, s19
	v_add_co_u32_e32 v4, vcc, s18, v4
	v_bfe_u32 v27, v2, 4, 26
	v_addc_co_u32_e32 v5, vcc, v24, v5, vcc
	v_mad_u64_u32 v[24:25], s[0:1], v8, v27, 0
	v_mov_b32_e32 v26, v25
	v_mad_u64_u32 v[26:27], s[0:1], v9, v27, v[26:27]
	v_mov_b32_e32 v25, v26
	global_load_dwordx2 v[6:7], v[6:7], off
	v_lshlrev_b64 v[24:25], 2, v[24:25]
	global_load_dwordx2 v[22:23], v[20:21], off
	v_mov_b32_e32 v26, s15
	v_add_co_u32_e32 v24, vcc, s14, v24
	v_addc_co_u32_e32 v25, vcc, v26, v25, vcc
	global_load_dword v24, v[24:25], off
	s_waitcnt vmcnt(2)
	v_and_b32_e32 v25, 0xffff0000, v6
	global_load_dwordx2 v[4:5], v[4:5], off
	v_lshlrev_b32_e32 v26, 16, v6
	v_alignbit_b32 v6, v7, v6, 16
	v_and_b32_e32 v7, 0xffff0000, v7
	s_waitcnt vmcnt(2)
	v_and_b32_e32 v27, 0xffff0000, v22
	v_lshlrev_b32_e32 v28, 16, v22
	v_alignbit_b32 v22, v23, v22, 16
	v_and_b32_e32 v23, 0xffff0000, v23
	v_add_f32_e32 v23, v7, v23
	v_add_f32_e32 v25, v25, v27
	v_bfe_u32 v27, v23, 16, 1
	v_and_b32_e32 v6, 0xffff0000, v6
	v_add_f32_e32 v26, v26, v28
	v_and_b32_e32 v22, 0xffff0000, v22
	v_bfe_u32 v7, v25, 16, 1
	v_add3_u32 v27, v23, v27, s21
	s_waitcnt vmcnt(1)
	v_div_scale_f32 v32, s[0:1], v24, v24, 1.0
	v_add_f32_e32 v22, v6, v22
	v_bfe_u32 v6, v26, 16, 1
	v_add3_u32 v7, v25, v7, s21
	v_and_b32_e32 v27, 0xffff0000, v27
	v_cmp_o_f32_e64 s[0:1], v23, v23
	v_mul_f32_e32 v28, v37, v26
	v_add3_u32 v6, v26, v6, s21
	v_bfe_u32 v30, v22, 16, 1
	v_and_b32_e32 v7, 0xffff0000, v7
	v_cndmask_b32_e64 v27, v13, v27, s[0:1]
	v_cmp_o_f32_e64 s[0:1], v25, v25
	v_bfe_u32 v31, v28, 16, 1
	v_lshrrev_b32_e32 v6, 16, v6
	v_add3_u32 v30, v22, v30, s21
	v_cndmask_b32_e64 v7, v13, v7, s[0:1]
	v_cmp_o_f32_e64 s[0:1], v26, v26
	v_add3_u32 v31, v28, v31, s21
	v_lshrrev_b32_e32 v30, 16, v30
	v_cndmask_b32_e64 v6, v14, v6, s[0:1]
	v_rcp_f32_e32 v26, v32
	v_cmp_o_f32_e64 s[0:1], v22, v22
	v_and_b32_e32 v31, 0xffff0000, v31
	v_cndmask_b32_e64 v30, v14, v30, s[0:1]
	v_cmp_o_f32_e64 s[0:1], v28, v28
	v_or_b32_e32 v6, v6, v7
	v_cndmask_b32_e64 v28, v13, v31, s[0:1]
	v_or3_b32 v7, 0, v30, v27
	v_or3_b32 v6, v6, 0, 0
	global_store_dwordx2 v[20:21], v[6:7], off
	v_fma_f32 v7, -v32, v26, 1.0
	v_div_scale_f32 v33, vcc, 1.0, v24, 1.0
	v_fmac_f32_e32 v26, v7, v26
	v_mul_f32_e32 v7, v33, v26
	s_waitcnt vmcnt(1)
	v_lshlrev_b32_e32 v29, 16, v4
	v_mul_f32_e32 v27, v28, v29
	v_bfe_u32 v6, v27, 16, 1
	v_add3_u32 v6, v27, v6, s21
	v_and_b32_e32 v6, 0xffff0000, v6
	v_cmp_o_f32_e64 s[0:1], v27, v27
	v_cndmask_b32_e64 v20, v13, v6, s[0:1]
	v_fma_f32 v6, -v32, v7, v33
	v_fmac_f32_e32 v7, v6, v26
	v_fma_f32 v6, -v32, v7, v33
	v_div_fmas_f32 v6, v6, v26, v7
	v_div_fixup_f32 v6, v6, v24, 1.0
	v_mul_f32_e32 v7, v6, v20
	v_rndne_f32_e32 v7, v7
	v_cmp_nlt_f32_e32 vcc, s22, v7
	v_cndmask_b32_e32 v20, v16, v7, vcc
	v_cmp_ngt_f32_e32 vcc, s23, v7
	v_mul_f32_e32 v24, v37, v25
	v_cndmask_b32_e32 v7, v17, v20, vcc
	v_bfe_u32 v20, v24, 16, 1
	v_add3_u32 v20, v24, v20, s21
	v_and_b32_e32 v25, 0xffff0000, v20
	v_mul_f32_e32 v20, v37, v22
	v_bfe_u32 v21, v20, 16, 1
	v_add3_u32 v21, v20, v21, s21
	v_and_b32_e32 v21, 0xffff0000, v21
	v_cmp_o_f32_e32 vcc, v20, v20
	v_cndmask_b32_e32 v20, v13, v21, vcc
	v_alignbit_b32 v21, v5, v4, 16
	v_and_b32_e32 v21, 0xffff0000, v21
	v_mul_f32_e32 v20, v20, v21
	v_bfe_u32 v21, v20, 16, 1
	v_add3_u32 v21, v20, v21, s21
	v_and_b32_e32 v21, 0xffff0000, v21
	v_cmp_o_f32_e32 vcc, v20, v20
	v_cndmask_b32_e32 v20, v13, v21, vcc
	v_mul_f32_e32 v20, v6, v20
	v_rndne_f32_e32 v20, v20
	v_cmp_nlt_f32_e32 vcc, s22, v20
	v_cndmask_b32_e32 v21, v16, v20, vcc
	v_cmp_ngt_f32_e32 vcc, s23, v20
	v_cndmask_b32_e32 v20, v17, v21, vcc
	v_mul_f32_e32 v22, v37, v23
	v_cvt_i32_f32_e32 v26, v20
	v_bfe_u32 v20, v22, 16, 1
	v_add3_u32 v20, v22, v20, s21
	v_and_b32_e32 v27, 0xffff0000, v20
	v_lshlrev_b64 v[20:21], 2, v[2:3]
	v_mov_b32_e32 v3, s16
	v_add_co_u32_e32 v20, vcc, s11, v20
	v_addc_co_u32_e32 v21, vcc, v3, v21, vcc
	v_cmp_o_f32_e32 vcc, v24, v24
	v_cndmask_b32_e32 v23, v13, v25, vcc
	v_cmp_o_f32_e32 vcc, v22, v22
	v_cndmask_b32_e32 v22, v13, v27, vcc
	v_and_b32_e32 v25, 0xffff0000, v4
	v_and_b32_e32 v24, 0xffff0000, v5
	v_pk_mul_f32 v[4:5], v[22:23], v[24:25]
	v_bfe_u32 v22, v5, 16, 1
	v_cvt_i32_f32_e32 v7, v7
	v_bfe_u32 v3, v4, 16, 1
	v_add3_u32 v22, v5, v22, s21
	v_add3_u32 v3, v4, v3, s21
	v_and_b32_e32 v22, 0xffff0000, v22
	v_cmp_o_f32_e32 vcc, v5, v5
	v_and_b32_e32 v3, 0xffff0000, v3
	v_cndmask_b32_e32 v5, v13, v22, vcc
	v_cmp_o_f32_e32 vcc, v4, v4
	v_cndmask_b32_e32 v4, v13, v3, vcc
	v_pk_mul_f32 v[4:5], v[6:7], v[4:5] op_sel_hi:[0,1]
	v_rndne_f32_e32 v4, v4
	v_rndne_f32_e32 v3, v5
	v_cmp_nlt_f32_e32 vcc, s22, v4
	v_cndmask_b32_e32 v5, v16, v4, vcc
	v_cmp_nlt_f32_e32 vcc, s22, v3
	v_cndmask_b32_e32 v6, v16, v3, vcc
	v_cmp_ngt_f32_e32 vcc, s23, v3
	v_cndmask_b32_e32 v3, v17, v6, vcc
	v_cmp_ngt_f32_e32 vcc, s23, v4
	v_cndmask_b32_e32 v4, v17, v5, vcc
	v_cvt_i32_f32_e32 v3, v3
	v_cvt_i32_f32_e32 v4, v4
	v_and_b32_e32 v5, 0xff, v26
	v_lshlrev_b32_e32 v5, 16, v5
	v_lshlrev_b32_sdwa v3, v19, v3 dst_sel:DWORD dst_unused:UNUSED_PAD src0_sel:DWORD src1_sel:BYTE_0
	v_lshl_or_b32 v4, v4, 24, v5
	v_and_b32_e32 v5, 0xff, v7
	v_or3_b32 v3, v4, v3, v5
	v_add_u32_e32 v4, s20, v0
	v_cmp_gt_u32_e32 vcc, s10, v4
	s_mov_b64 s[0:1], -1
	global_store_dword v[20:21], v3, off
	s_and_saveexec_b64 s[8:9], vcc
	s_cbranch_execz .LBB80_61
; %bb.65:                               ;   in Loop: Header=BB80_63 Depth=1
	v_mov_b32_e32 v5, v1
	v_lshlrev_b64 v[6:7], 3, v[4:5]
	v_mov_b32_e32 v3, s46
	v_add_co_u32_e32 v20, vcc, s33, v6
	v_addc_co_u32_e32 v21, vcc, v3, v7, vcc
	v_mov_b32_e32 v23, s48
	v_add_co_u32_e32 v22, vcc, s47, v6
	v_addc_co_u32_e32 v23, vcc, v23, v7, vcc
	;; [unrolled: 3-line block ×3, first 2 shown]
	v_bfe_u32 v3, v4, 4, 26
	v_mad_u64_u32 v[26:27], s[0:1], v8, v3, 0
	v_mov_b32_e32 v28, v27
	v_mad_u64_u32 v[28:29], s[0:1], v9, v3, v[28:29]
	v_mov_b32_e32 v27, v28
	global_load_dwordx2 v[20:21], v[20:21], off
	v_lshlrev_b64 v[26:27], 2, v[26:27]
	global_load_dwordx2 v[24:25], v[22:23], off
	v_mov_b32_e32 v3, s15
	v_add_co_u32_e32 v26, vcc, s14, v26
	v_addc_co_u32_e32 v27, vcc, v3, v27, vcc
	global_load_dword v3, v[26:27], off
	v_lshlrev_b64 v[4:5], 2, v[4:5]
	global_load_dwordx2 v[6:7], v[6:7], off
	v_add_u32_e32 v0, s17, v0
	s_waitcnt vmcnt(3)
	v_and_b32_e32 v26, 0xffff0000, v20
	v_lshlrev_b32_e32 v27, 16, v20
	v_alignbit_b32 v20, v21, v20, 16
	v_and_b32_e32 v21, 0xffff0000, v21
	s_waitcnt vmcnt(2)
	v_and_b32_e32 v28, 0xffff0000, v24
	v_lshlrev_b32_e32 v29, 16, v24
	v_alignbit_b32 v24, v25, v24, 16
	v_and_b32_e32 v25, 0xffff0000, v25
	v_add_f32_e32 v25, v21, v25
	v_add_f32_e32 v26, v26, v28
	v_bfe_u32 v28, v25, 16, 1
	v_and_b32_e32 v20, 0xffff0000, v20
	v_add_f32_e32 v27, v27, v29
	v_and_b32_e32 v24, 0xffff0000, v24
	v_bfe_u32 v21, v26, 16, 1
	v_add3_u32 v28, v25, v28, s21
	s_waitcnt vmcnt(1)
	v_div_scale_f32 v33, s[0:1], v3, v3, 1.0
	v_add_f32_e32 v24, v20, v24
	v_bfe_u32 v20, v27, 16, 1
	v_add3_u32 v21, v26, v21, s21
	v_and_b32_e32 v28, 0xffff0000, v28
	v_cmp_o_f32_e64 s[0:1], v25, v25
	v_mul_f32_e32 v29, v37, v27
	v_add3_u32 v20, v27, v20, s21
	v_bfe_u32 v31, v24, 16, 1
	v_and_b32_e32 v21, 0xffff0000, v21
	v_cndmask_b32_e64 v28, v13, v28, s[0:1]
	v_cmp_o_f32_e64 s[0:1], v26, v26
	v_bfe_u32 v32, v29, 16, 1
	v_lshrrev_b32_e32 v20, 16, v20
	v_add3_u32 v31, v24, v31, s21
	v_cndmask_b32_e64 v21, v13, v21, s[0:1]
	v_cmp_o_f32_e64 s[0:1], v27, v27
	v_add3_u32 v32, v29, v32, s21
	v_lshrrev_b32_e32 v31, 16, v31
	v_cndmask_b32_e64 v20, v14, v20, s[0:1]
	v_rcp_f32_e32 v27, v33
	v_cmp_o_f32_e64 s[0:1], v24, v24
	v_and_b32_e32 v32, 0xffff0000, v32
	v_cndmask_b32_e64 v31, v14, v31, s[0:1]
	v_cmp_o_f32_e64 s[0:1], v29, v29
	s_waitcnt vmcnt(0)
	v_lshlrev_b32_e32 v30, 16, v6
	v_or_b32_e32 v20, v20, v21
	v_cndmask_b32_e64 v29, v13, v32, s[0:1]
	v_or3_b32 v21, 0, v31, v28
	v_or3_b32 v20, v20, 0, 0
	v_mul_f32_e32 v28, v29, v30
	global_store_dwordx2 v[22:23], v[20:21], off
	v_bfe_u32 v20, v28, 16, 1
	v_fma_f32 v21, -v33, v27, 1.0
	v_div_scale_f32 v34, vcc, 1.0, v3, 1.0
	v_add3_u32 v20, v28, v20, s21
	v_fmac_f32_e32 v27, v21, v27
	v_and_b32_e32 v20, 0xffff0000, v20
	v_mul_f32_e32 v21, v34, v27
	v_cmp_o_f32_e64 s[0:1], v28, v28
	v_cndmask_b32_e64 v22, v13, v20, s[0:1]
	v_fma_f32 v20, -v33, v21, v34
	v_fmac_f32_e32 v21, v20, v27
	v_fma_f32 v20, -v33, v21, v34
	v_div_fmas_f32 v20, v20, v27, v21
	v_div_fixup_f32 v20, v20, v3, 1.0
	v_mul_f32_e32 v3, v20, v22
	v_rndne_f32_e32 v3, v3
	v_mul_f32_e32 v23, v37, v24
	v_cmp_nlt_f32_e32 vcc, s22, v3
	v_bfe_u32 v24, v23, 16, 1
	v_cndmask_b32_e32 v21, v16, v3, vcc
	v_cmp_ngt_f32_e32 vcc, s23, v3
	v_add3_u32 v24, v23, v24, s21
	v_cndmask_b32_e32 v3, v17, v21, vcc
	v_and_b32_e32 v24, 0xffff0000, v24
	v_cmp_o_f32_e32 vcc, v23, v23
	v_cndmask_b32_e32 v23, v13, v24, vcc
	v_alignbit_b32 v24, v7, v6, 16
	v_and_b32_e32 v24, 0xffff0000, v24
	v_mul_f32_e32 v23, v23, v24
	v_bfe_u32 v24, v23, 16, 1
	v_add3_u32 v24, v23, v24, s21
	v_and_b32_e32 v24, 0xffff0000, v24
	v_cmp_o_f32_e32 vcc, v23, v23
	v_cndmask_b32_e32 v23, v13, v24, vcc
	v_mul_f32_e32 v23, v20, v23
	v_rndne_f32_e32 v23, v23
	v_cmp_nlt_f32_e32 vcc, s22, v23
	v_cndmask_b32_e32 v24, v16, v23, vcc
	v_cmp_ngt_f32_e32 vcc, s23, v23
	v_cndmask_b32_e32 v23, v17, v24, vcc
	v_mul_f32_e32 v24, v37, v25
	v_mul_f32_e32 v21, v37, v26
	v_cvt_i32_f32_e32 v26, v23
	v_bfe_u32 v23, v24, 16, 1
	v_add3_u32 v23, v24, v23, s21
	v_bfe_u32 v22, v21, 16, 1
	v_and_b32_e32 v25, 0xffff0000, v23
	v_mov_b32_e32 v23, s16
	v_add_co_u32_e32 v4, vcc, s11, v4
	v_add3_u32 v22, v21, v22, s21
	v_addc_co_u32_e32 v5, vcc, v23, v5, vcc
	v_and_b32_e32 v22, 0xffff0000, v22
	v_cmp_o_f32_e32 vcc, v21, v21
	v_cndmask_b32_e32 v23, v13, v22, vcc
	v_cmp_o_f32_e32 vcc, v24, v24
	v_cndmask_b32_e32 v22, v13, v25, vcc
	v_and_b32_e32 v25, 0xffff0000, v6
	v_and_b32_e32 v24, 0xffff0000, v7
	v_pk_mul_f32 v[6:7], v[22:23], v[24:25]
	v_bfe_u32 v22, v7, 16, 1
	v_bfe_u32 v21, v6, 16, 1
	v_add3_u32 v22, v7, v22, s21
	v_add3_u32 v21, v6, v21, s21
	v_and_b32_e32 v22, 0xffff0000, v22
	v_cmp_o_f32_e32 vcc, v7, v7
	v_and_b32_e32 v21, 0xffff0000, v21
	v_cndmask_b32_e32 v7, v13, v22, vcc
	v_cmp_o_f32_e32 vcc, v6, v6
	v_cndmask_b32_e32 v6, v13, v21, vcc
	v_pk_mul_f32 v[6:7], v[20:21], v[6:7] op_sel_hi:[0,1]
	v_rndne_f32_e32 v6, v6
	v_rndne_f32_e32 v7, v7
	v_cmp_nlt_f32_e32 vcc, s22, v6
	v_cndmask_b32_e32 v20, v16, v6, vcc
	v_cmp_nlt_f32_e32 vcc, s22, v7
	v_cndmask_b32_e32 v21, v16, v7, vcc
	v_cmp_ngt_f32_e32 vcc, s23, v7
	v_cndmask_b32_e32 v7, v17, v21, vcc
	v_cmp_ngt_f32_e32 vcc, s23, v6
	v_cndmask_b32_e32 v6, v17, v20, vcc
	v_cvt_i32_f32_e32 v3, v3
	v_cvt_i32_f32_e32 v7, v7
	;; [unrolled: 1-line block ×3, first 2 shown]
	v_and_b32_e32 v20, 0xff, v26
	v_lshlrev_b32_e32 v20, 16, v20
	v_lshlrev_b32_sdwa v7, v19, v7 dst_sel:DWORD dst_unused:UNUSED_PAD src0_sel:DWORD src1_sel:BYTE_0
	v_lshl_or_b32 v6, v6, 24, v20
	v_and_b32_e32 v3, 0xff, v3
	v_or3_b32 v3, v6, v7, v3
	v_cmp_gt_u32_e32 vcc, s10, v0
	s_mov_b64 s[0:1], -1
	global_store_dword v[4:5], v3, off
	s_and_saveexec_b64 s[12:13], vcc
	s_cbranch_execz .LBB80_60
; %bb.66:                               ;   in Loop: Header=BB80_63 Depth=1
	v_lshlrev_b64 v[4:5], 3, v[0:1]
	v_mov_b32_e32 v3, s46
	v_add_co_u32_e32 v6, vcc, s33, v4
	v_addc_co_u32_e32 v7, vcc, v3, v5, vcc
	global_load_dwordx2 v[20:21], v[6:7], off
	v_mov_b32_e32 v7, s48
	v_add_co_u32_e32 v6, vcc, s47, v4
	v_addc_co_u32_e32 v7, vcc, v7, v5, vcc
	v_mov_b32_e32 v3, s19
	v_add_co_u32_e32 v4, vcc, s18, v4
	v_addc_co_u32_e32 v5, vcc, v3, v5, vcc
	v_bfe_u32 v3, v0, 4, 26
	v_mad_u64_u32 v[24:25], s[0:1], v8, v3, 0
	global_load_dwordx2 v[22:23], v[6:7], off
	v_mov_b32_e32 v26, v25
	v_mad_u64_u32 v[26:27], s[0:1], v9, v3, v[26:27]
	v_mov_b32_e32 v25, v26
	v_lshlrev_b64 v[24:25], 2, v[24:25]
	v_mov_b32_e32 v28, s15
	v_add_co_u32_e32 v24, vcc, s14, v24
	v_addc_co_u32_e32 v25, vcc, v28, v25, vcc
	global_load_dword v3, v[24:25], off
	s_waitcnt vmcnt(2)
	v_and_b32_e32 v24, 0xffff0000, v20
	global_load_dwordx2 v[4:5], v[4:5], off
	v_lshlrev_b32_e32 v25, 16, v20
	v_alignbit_b32 v20, v21, v20, 16
	v_and_b32_e32 v21, 0xffff0000, v21
	v_and_b32_e32 v20, 0xffff0000, v20
	s_waitcnt vmcnt(2)
	v_and_b32_e32 v26, 0xffff0000, v22
	v_lshlrev_b32_e32 v27, 16, v22
	v_alignbit_b32 v22, v23, v22, 16
	v_and_b32_e32 v23, 0xffff0000, v23
	v_add_f32_e32 v23, v21, v23
	v_add_f32_e32 v24, v24, v26
	v_bfe_u32 v26, v23, 16, 1
	v_and_b32_e32 v22, 0xffff0000, v22
	v_bfe_u32 v21, v24, 16, 1
	v_add3_u32 v26, v23, v26, s21
	v_add_f32_e32 v25, v25, v27
	v_add_f32_e32 v22, v20, v22
	v_add3_u32 v21, v24, v21, s21
	v_and_b32_e32 v26, 0xffff0000, v26
	v_cmp_o_f32_e32 vcc, v23, v23
	v_bfe_u32 v20, v25, 16, 1
	v_mul_f32_e32 v27, v37, v25
	v_bfe_u32 v29, v22, 16, 1
	v_and_b32_e32 v21, 0xffff0000, v21
	v_cndmask_b32_e32 v26, v13, v26, vcc
	v_cmp_o_f32_e32 vcc, v24, v24
	v_add3_u32 v20, v25, v20, s21
	v_bfe_u32 v30, v27, 16, 1
	v_add3_u32 v29, v22, v29, s21
	v_cndmask_b32_e32 v21, v13, v21, vcc
	v_cmp_o_f32_e32 vcc, v25, v25
	s_waitcnt vmcnt(1)
	v_div_scale_f32 v25, s[0:1], v3, v3, 1.0
	v_lshrrev_b32_e32 v20, 16, v20
	v_add3_u32 v30, v27, v30, s21
	v_lshrrev_b32_e32 v29, 16, v29
	v_cmp_o_f32_e64 s[0:1], v22, v22
	v_cndmask_b32_e32 v20, v14, v20, vcc
	v_and_b32_e32 v30, 0xffff0000, v30
	v_cndmask_b32_e64 v29, v14, v29, s[0:1]
	v_rcp_f32_e32 v32, v25
	v_cmp_o_f32_e64 s[0:1], v27, v27
	v_or_b32_e32 v20, v20, v21
	v_cndmask_b32_e64 v27, v13, v30, s[0:1]
	v_or3_b32 v21, 0, v29, v26
	v_or3_b32 v20, v20, 0, 0
	global_store_dwordx2 v[6:7], v[20:21], off
	v_fma_f32 v7, -v25, v32, 1.0
	v_div_scale_f32 v31, vcc, 1.0, v3, 1.0
	v_fmac_f32_e32 v32, v7, v32
	s_waitcnt vmcnt(1)
	v_lshlrev_b32_e32 v28, 16, v4
	v_mul_f32_e32 v26, v27, v28
	v_bfe_u32 v6, v26, 16, 1
	v_add3_u32 v6, v26, v6, s21
	v_and_b32_e32 v6, 0xffff0000, v6
	v_cmp_o_f32_e64 s[0:1], v26, v26
	v_cndmask_b32_e64 v7, v13, v6, s[0:1]
	v_mul_f32_e32 v6, v31, v32
	v_fma_f32 v20, -v25, v6, v31
	v_fmac_f32_e32 v6, v20, v32
	v_fma_f32 v20, -v25, v6, v31
	v_div_fmas_f32 v6, v20, v32, v6
	v_div_fixup_f32 v6, v6, v3, 1.0
	v_mul_f32_e32 v3, v6, v7
	v_rndne_f32_e32 v3, v3
	v_cmp_nlt_f32_e32 vcc, s22, v3
	v_cndmask_b32_e32 v7, v16, v3, vcc
	v_cmp_ngt_f32_e32 vcc, s23, v3
	v_cndmask_b32_e32 v3, v17, v7, vcc
	v_mul_f32_e32 v7, v37, v24
	v_bfe_u32 v20, v7, 16, 1
	v_add3_u32 v20, v7, v20, s21
	v_and_b32_e32 v24, 0xffff0000, v20
	v_mul_f32_e32 v20, v37, v22
	v_bfe_u32 v21, v20, 16, 1
	v_add3_u32 v21, v20, v21, s21
	v_and_b32_e32 v21, 0xffff0000, v21
	v_cmp_o_f32_e32 vcc, v20, v20
	v_cndmask_b32_e32 v20, v13, v21, vcc
	v_alignbit_b32 v21, v5, v4, 16
	v_and_b32_e32 v21, 0xffff0000, v21
	v_mul_f32_e32 v20, v20, v21
	v_bfe_u32 v21, v20, 16, 1
	v_add3_u32 v21, v20, v21, s21
	v_and_b32_e32 v21, 0xffff0000, v21
	v_cmp_o_f32_e32 vcc, v20, v20
	v_cndmask_b32_e32 v20, v13, v21, vcc
	v_mul_f32_e32 v20, v6, v20
	v_rndne_f32_e32 v20, v20
	v_cmp_nlt_f32_e32 vcc, s22, v20
	v_cndmask_b32_e32 v21, v16, v20, vcc
	v_cmp_ngt_f32_e32 vcc, s23, v20
	v_cndmask_b32_e32 v20, v17, v21, vcc
	v_mul_f32_e32 v22, v37, v23
	v_cvt_i32_f32_e32 v26, v20
	v_bfe_u32 v20, v22, 16, 1
	v_add3_u32 v20, v22, v20, s21
	v_and_b32_e32 v25, 0xffff0000, v20
	v_lshlrev_b64 v[20:21], 2, v[0:1]
	v_mov_b32_e32 v0, s16
	v_add_co_u32_e32 v20, vcc, s11, v20
	v_addc_co_u32_e32 v21, vcc, v0, v21, vcc
	v_cmp_o_f32_e32 vcc, v7, v7
	v_cndmask_b32_e32 v23, v13, v24, vcc
	v_cmp_o_f32_e32 vcc, v22, v22
	v_cndmask_b32_e32 v22, v13, v25, vcc
	v_and_b32_e32 v25, 0xffff0000, v4
	v_and_b32_e32 v24, 0xffff0000, v5
	v_pk_mul_f32 v[4:5], v[22:23], v[24:25]
	v_bfe_u32 v7, v5, 16, 1
	v_bfe_u32 v0, v4, 16, 1
	v_add3_u32 v7, v5, v7, s21
	v_add3_u32 v0, v4, v0, s21
	v_and_b32_e32 v7, 0xffff0000, v7
	v_cmp_o_f32_e32 vcc, v5, v5
	v_and_b32_e32 v0, 0xffff0000, v0
	v_cndmask_b32_e32 v5, v13, v7, vcc
	v_cmp_o_f32_e32 vcc, v4, v4
	v_cndmask_b32_e32 v4, v13, v0, vcc
	v_pk_mul_f32 v[4:5], v[6:7], v[4:5] op_sel_hi:[0,1]
	v_rndne_f32_e32 v4, v4
	v_rndne_f32_e32 v0, v5
	v_cmp_nlt_f32_e32 vcc, s22, v4
	v_cndmask_b32_e32 v5, v16, v4, vcc
	v_cmp_nlt_f32_e32 vcc, s22, v0
	v_cndmask_b32_e32 v6, v16, v0, vcc
	v_cmp_ngt_f32_e32 vcc, s23, v0
	v_cndmask_b32_e32 v0, v17, v6, vcc
	v_cmp_ngt_f32_e32 vcc, s23, v4
	v_cndmask_b32_e32 v4, v17, v5, vcc
	v_cvt_i32_f32_e32 v3, v3
	v_cvt_i32_f32_e32 v0, v0
	;; [unrolled: 1-line block ×3, first 2 shown]
	v_and_b32_e32 v5, 0xff, v26
	v_lshlrev_b32_e32 v5, 16, v5
	v_lshlrev_b32_sdwa v0, v19, v0 dst_sel:DWORD dst_unused:UNUSED_PAD src0_sel:DWORD src1_sel:BYTE_0
	v_lshl_or_b32 v4, v4, 24, v5
	v_and_b32_e32 v3, 0xff, v3
	s_add_i32 s0, s44, s44
	v_or3_b32 v0, v4, v0, v3
	s_add_i32 s0, s0, s44
	global_store_dword v[20:21], v0, off
	v_add_u32_e32 v0, s0, v2
	v_cmp_le_u32_e32 vcc, s10, v0
	s_orn2_b64 s[0:1], vcc, exec
	s_branch .LBB80_60
.LBB80_67:
	s_endpgm
.LBB80_68:
                                        ; implicit-def: $vgpr4_vgpr5
	s_andn2_b64 vcc, exec, s[24:25]
	s_cbranch_vccz .LBB80_53
	s_branch .LBB80_54
.LBB80_69:
                                        ; implicit-def: $vgpr2_vgpr3
	s_andn2_b64 vcc, exec, s[16:17]
	s_cbranch_vccz .LBB80_58
	s_branch .LBB80_59
	.section	.rodata,"a",@progbits
	.p2align	6, 0x0
	.amdhsa_kernel _ZN4vllm31rms_norm_per_block_quant_kernelIN3c108BFloat16EaLb1ELb1ELi64EEEvPT0_PfPKT_S8_PKffiiPS6_l
		.amdhsa_group_segment_fixed_size 4164
		.amdhsa_private_segment_fixed_size 0
		.amdhsa_kernarg_size 328
		.amdhsa_user_sgpr_count 6
		.amdhsa_user_sgpr_private_segment_buffer 1
		.amdhsa_user_sgpr_dispatch_ptr 0
		.amdhsa_user_sgpr_queue_ptr 0
		.amdhsa_user_sgpr_kernarg_segment_ptr 1
		.amdhsa_user_sgpr_dispatch_id 0
		.amdhsa_user_sgpr_flat_scratch_init 0
		.amdhsa_user_sgpr_kernarg_preload_length 0
		.amdhsa_user_sgpr_kernarg_preload_offset 0
		.amdhsa_user_sgpr_private_segment_size 0
		.amdhsa_uses_dynamic_stack 0
		.amdhsa_system_sgpr_private_segment_wavefront_offset 0
		.amdhsa_system_sgpr_workgroup_id_x 1
		.amdhsa_system_sgpr_workgroup_id_y 0
		.amdhsa_system_sgpr_workgroup_id_z 0
		.amdhsa_system_sgpr_workgroup_info 0
		.amdhsa_system_vgpr_workitem_id 0
		.amdhsa_next_free_vgpr 55
		.amdhsa_next_free_sgpr 50
		.amdhsa_accum_offset 56
		.amdhsa_reserve_vcc 1
		.amdhsa_reserve_flat_scratch 0
		.amdhsa_float_round_mode_32 0
		.amdhsa_float_round_mode_16_64 0
		.amdhsa_float_denorm_mode_32 3
		.amdhsa_float_denorm_mode_16_64 3
		.amdhsa_dx10_clamp 1
		.amdhsa_ieee_mode 1
		.amdhsa_fp16_overflow 0
		.amdhsa_tg_split 0
		.amdhsa_exception_fp_ieee_invalid_op 0
		.amdhsa_exception_fp_denorm_src 0
		.amdhsa_exception_fp_ieee_div_zero 0
		.amdhsa_exception_fp_ieee_overflow 0
		.amdhsa_exception_fp_ieee_underflow 0
		.amdhsa_exception_fp_ieee_inexact 0
		.amdhsa_exception_int_div_zero 0
	.end_amdhsa_kernel
	.section	.text._ZN4vllm31rms_norm_per_block_quant_kernelIN3c108BFloat16EaLb1ELb1ELi64EEEvPT0_PfPKT_S8_PKffiiPS6_l,"axG",@progbits,_ZN4vllm31rms_norm_per_block_quant_kernelIN3c108BFloat16EaLb1ELb1ELi64EEEvPT0_PfPKT_S8_PKffiiPS6_l,comdat
.Lfunc_end80:
	.size	_ZN4vllm31rms_norm_per_block_quant_kernelIN3c108BFloat16EaLb1ELb1ELi64EEEvPT0_PfPKT_S8_PKffiiPS6_l, .Lfunc_end80-_ZN4vllm31rms_norm_per_block_quant_kernelIN3c108BFloat16EaLb1ELb1ELi64EEEvPT0_PfPKT_S8_PKffiiPS6_l
                                        ; -- End function
	.section	.AMDGPU.csdata,"",@progbits
; Kernel info:
; codeLenInByte = 12064
; NumSgprs: 54
; NumVgprs: 55
; NumAgprs: 0
; TotalNumVgprs: 55
; ScratchSize: 0
; MemoryBound: 0
; FloatMode: 240
; IeeeMode: 1
; LDSByteSize: 4164 bytes/workgroup (compile time only)
; SGPRBlocks: 6
; VGPRBlocks: 6
; NumSGPRsForWavesPerEU: 54
; NumVGPRsForWavesPerEU: 55
; AccumOffset: 56
; Occupancy: 8
; WaveLimiterHint : 0
; COMPUTE_PGM_RSRC2:SCRATCH_EN: 0
; COMPUTE_PGM_RSRC2:USER_SGPR: 6
; COMPUTE_PGM_RSRC2:TRAP_HANDLER: 0
; COMPUTE_PGM_RSRC2:TGID_X_EN: 1
; COMPUTE_PGM_RSRC2:TGID_Y_EN: 0
; COMPUTE_PGM_RSRC2:TGID_Z_EN: 0
; COMPUTE_PGM_RSRC2:TIDIG_COMP_CNT: 0
; COMPUTE_PGM_RSRC3_GFX90A:ACCUM_OFFSET: 13
; COMPUTE_PGM_RSRC3_GFX90A:TG_SPLIT: 0
	.section	.text._ZN4vllm31rms_norm_per_block_quant_kernelIN3c108BFloat16ENS1_13Float8_e4m3fnELb1ELb0ELi64EEEvPT0_PfPKT_S9_PKffiiPS7_l,"axG",@progbits,_ZN4vllm31rms_norm_per_block_quant_kernelIN3c108BFloat16ENS1_13Float8_e4m3fnELb1ELb0ELi64EEEvPT0_PfPKT_S9_PKffiiPS7_l,comdat
	.protected	_ZN4vllm31rms_norm_per_block_quant_kernelIN3c108BFloat16ENS1_13Float8_e4m3fnELb1ELb0ELi64EEEvPT0_PfPKT_S9_PKffiiPS7_l ; -- Begin function _ZN4vllm31rms_norm_per_block_quant_kernelIN3c108BFloat16ENS1_13Float8_e4m3fnELb1ELb0ELi64EEEvPT0_PfPKT_S9_PKffiiPS7_l
	.globl	_ZN4vllm31rms_norm_per_block_quant_kernelIN3c108BFloat16ENS1_13Float8_e4m3fnELb1ELb0ELi64EEEvPT0_PfPKT_S9_PKffiiPS7_l
	.p2align	8
	.type	_ZN4vllm31rms_norm_per_block_quant_kernelIN3c108BFloat16ENS1_13Float8_e4m3fnELb1ELb0ELi64EEEvPT0_PfPKT_S9_PKffiiPS7_l,@function
_ZN4vllm31rms_norm_per_block_quant_kernelIN3c108BFloat16ENS1_13Float8_e4m3fnELb1ELb0ELi64EEEvPT0_PfPKT_S9_PKffiiPS7_l: ; @_ZN4vllm31rms_norm_per_block_quant_kernelIN3c108BFloat16ENS1_13Float8_e4m3fnELb1ELb0ELi64EEEvPT0_PfPKT_S9_PKffiiPS7_l
; %bb.0:
	s_load_dwordx4 s[8:11], s[4:5], 0x28
	s_load_dwordx8 s[12:19], s[4:5], 0x0
	s_load_dwordx2 s[34:35], s[4:5], 0x38
	v_mov_b32_e32 v1, 0
	s_waitcnt lgkmcnt(0)
	s_ashr_i32 s0, s10, 31
	s_mul_hi_u32 s1, s10, s6
	s_mul_i32 s0, s0, s6
	s_ashr_i32 s23, s9, 31
	s_add_i32 s1, s1, s0
	s_mul_i32 s0, s10, s6
	s_mul_hi_u32 s2, s9, s6
	s_mul_i32 s3, s23, s6
	s_add_i32 s21, s2, s3
	s_lshl_b64 s[30:31], s[0:1], 1
	s_mul_i32 s20, s9, s6
	s_add_u32 s33, s16, s30
	s_addc_u32 s46, s17, s31
	s_lshl_b64 s[36:37], s[20:21], 1
	s_add_u32 s47, s34, s36
	s_addc_u32 s48, s35, s37
	s_ashr_i32 s10, s9, 2
	s_add_u32 s2, s4, 0x48
	s_mov_b32 s22, s9
	v_cmp_gt_u32_e64 s[0:1], s10, v0
	s_addc_u32 s3, s5, 0
	s_and_saveexec_b64 s[24:25], s[0:1]
	s_cbranch_execz .LBB81_10
; %bb.1:
	s_load_dword s7, s[2:3], 0x0
	v_mov_b32_e32 v3, 0
	v_mov_b32_e32 v9, s46
	v_mov_b32_e32 v10, s48
	v_mov_b32_e32 v2, v0
	s_waitcnt lgkmcnt(0)
	s_cmp_lt_u32 s6, s7
	s_cselect_b32 s7, 12, 18
	s_add_u32 s26, s2, s7
	s_addc_u32 s27, s3, 0
	global_load_ushort v8, v3, s[26:27]
	s_mov_b64 s[26:27], 0
                                        ; implicit-def: $sgpr28_sgpr29
	s_waitcnt vmcnt(0)
	v_add_u32_e32 v1, v8, v8
	v_mul_lo_u32 v11, v8, 3
	v_lshlrev_b32_e32 v12, 1, v8
	v_add_u32_e32 v13, v1, v8
	v_mov_b32_e32 v1, v3
	s_branch .LBB81_5
.LBB81_2:                               ;   in Loop: Header=BB81_5 Depth=1
	s_or_b64 exec, exec, s[42:43]
	s_orn2_b64 s[42:43], s[44:45], exec
.LBB81_3:                               ;   in Loop: Header=BB81_5 Depth=1
	s_or_b64 exec, exec, s[40:41]
	s_andn2_b64 s[28:29], s[28:29], exec
	s_and_b64 s[40:41], s[42:43], exec
	s_or_b64 s[28:29], s[28:29], s[40:41]
.LBB81_4:                               ;   in Loop: Header=BB81_5 Depth=1
	s_or_b64 exec, exec, s[38:39]
	s_and_b64 s[38:39], exec, s[28:29]
	s_or_b64 s[26:27], s[38:39], s[26:27]
	s_andn2_b64 exec, exec, s[26:27]
	s_cbranch_execz .LBB81_9
.LBB81_5:                               ; =>This Inner Loop Header: Depth=1
	v_lshlrev_b64 v[4:5], 3, v[2:3]
	v_add_co_u32_e32 v6, vcc, s33, v4
	v_addc_co_u32_e32 v7, vcc, v9, v5, vcc
	v_add_co_u32_e32 v4, vcc, s47, v4
	v_addc_co_u32_e32 v5, vcc, v10, v5, vcc
	global_load_dwordx2 v[6:7], v[6:7], off
	s_or_b64 s[28:29], s[28:29], exec
	global_load_dwordx2 v[14:15], v[4:5], off
	v_add_u32_e32 v4, v2, v8
	v_cmp_gt_u32_e32 vcc, s10, v4
	s_waitcnt vmcnt(1)
	v_lshlrev_b32_e32 v16, 16, v6
	v_and_b32_e32 v5, 0xffff0000, v6
	s_waitcnt vmcnt(0)
	v_lshlrev_b32_e32 v18, 16, v14
	v_alignbit_b32 v6, v7, v6, 16
	v_and_b32_e32 v17, 0xffff0000, v14
	v_alignbit_b32 v14, v15, v14, 16
	v_add_f32_e32 v16, v16, v18
	v_and_b32_e32 v6, 0xffff0000, v6
	v_add_f32_e32 v5, v5, v17
	v_and_b32_e32 v14, 0xffff0000, v14
	v_fmac_f32_e32 v1, v16, v16
	v_and_b32_e32 v7, 0xffff0000, v7
	v_and_b32_e32 v15, 0xffff0000, v15
	v_add_f32_e32 v6, v6, v14
	v_fmac_f32_e32 v1, v5, v5
	v_add_f32_e32 v7, v7, v15
	v_fmac_f32_e32 v1, v6, v6
	v_fmac_f32_e32 v1, v7, v7
	s_and_saveexec_b64 s[38:39], vcc
	s_cbranch_execz .LBB81_4
; %bb.6:                                ;   in Loop: Header=BB81_5 Depth=1
	v_mov_b32_e32 v5, v3
	v_lshlrev_b64 v[6:7], 3, v[4:5]
	v_add_co_u32_e32 v14, vcc, s33, v6
	v_addc_co_u32_e32 v15, vcc, v9, v7, vcc
	v_add_co_u32_e32 v6, vcc, s47, v6
	v_addc_co_u32_e32 v7, vcc, v10, v7, vcc
	global_load_dwordx2 v[14:15], v[14:15], off
	s_mov_b64 s[42:43], -1
	global_load_dwordx2 v[16:17], v[6:7], off
	v_add_u32_e32 v6, v12, v2
	v_cmp_gt_u32_e32 vcc, s10, v6
	s_waitcnt vmcnt(1)
	v_lshlrev_b32_e32 v7, 16, v14
	v_and_b32_e32 v5, 0xffff0000, v14
	s_waitcnt vmcnt(0)
	v_lshlrev_b32_e32 v19, 16, v16
	v_alignbit_b32 v14, v15, v14, 16
	v_and_b32_e32 v18, 0xffff0000, v16
	v_alignbit_b32 v16, v17, v16, 16
	v_add_f32_e32 v7, v7, v19
	v_and_b32_e32 v14, 0xffff0000, v14
	v_add_f32_e32 v5, v5, v18
	v_and_b32_e32 v16, 0xffff0000, v16
	v_fmac_f32_e32 v1, v7, v7
	v_and_b32_e32 v15, 0xffff0000, v15
	v_and_b32_e32 v17, 0xffff0000, v17
	v_add_f32_e32 v14, v14, v16
	v_fmac_f32_e32 v1, v5, v5
	v_add_f32_e32 v15, v15, v17
	v_fmac_f32_e32 v1, v14, v14
	v_fmac_f32_e32 v1, v15, v15
	s_and_saveexec_b64 s[40:41], vcc
	s_cbranch_execz .LBB81_3
; %bb.7:                                ;   in Loop: Header=BB81_5 Depth=1
	v_mov_b32_e32 v7, v3
	v_lshlrev_b64 v[6:7], 3, v[6:7]
	v_add_co_u32_e32 v14, vcc, s33, v6
	v_addc_co_u32_e32 v15, vcc, v9, v7, vcc
	v_add_co_u32_e32 v6, vcc, s47, v6
	v_addc_co_u32_e32 v7, vcc, v10, v7, vcc
	global_load_dwordx2 v[14:15], v[14:15], off
	v_add_u32_e32 v2, v11, v2
	global_load_dwordx2 v[6:7], v[6:7], off
	v_cmp_gt_u32_e32 vcc, s10, v2
	s_mov_b64 s[44:45], -1
	s_waitcnt vmcnt(1)
	v_lshlrev_b32_e32 v16, 16, v14
	v_and_b32_e32 v5, 0xffff0000, v14
	s_waitcnt vmcnt(0)
	v_lshlrev_b32_e32 v18, 16, v6
	v_alignbit_b32 v14, v15, v14, 16
	v_and_b32_e32 v17, 0xffff0000, v6
	v_alignbit_b32 v6, v7, v6, 16
	v_add_f32_e32 v16, v16, v18
	v_and_b32_e32 v14, 0xffff0000, v14
	v_add_f32_e32 v5, v5, v17
	v_and_b32_e32 v6, 0xffff0000, v6
	v_fmac_f32_e32 v1, v16, v16
	v_and_b32_e32 v15, 0xffff0000, v15
	v_and_b32_e32 v7, 0xffff0000, v7
	v_add_f32_e32 v6, v14, v6
	v_fmac_f32_e32 v1, v5, v5
	v_add_f32_e32 v7, v15, v7
	v_fmac_f32_e32 v1, v6, v6
	v_fmac_f32_e32 v1, v7, v7
	s_and_saveexec_b64 s[42:43], vcc
	s_xor_b64 s[42:43], exec, s[42:43]
	s_cbranch_execz .LBB81_2
; %bb.8:                                ;   in Loop: Header=BB81_5 Depth=1
	v_lshlrev_b64 v[6:7], 3, v[2:3]
	v_mov_b32_e32 v2, s46
	v_add_co_u32_e32 v14, vcc, s33, v6
	v_addc_co_u32_e32 v15, vcc, v2, v7, vcc
	v_mov_b32_e32 v2, s48
	v_add_co_u32_e32 v6, vcc, s47, v6
	v_addc_co_u32_e32 v7, vcc, v2, v7, vcc
	global_load_dwordx2 v[14:15], v[14:15], off
	v_add_u32_e32 v2, v13, v4
	global_load_dwordx2 v[6:7], v[6:7], off
	v_cmp_le_u32_e32 vcc, s10, v2
	s_orn2_b64 s[44:45], vcc, exec
	s_waitcnt vmcnt(1)
	v_lshlrev_b32_e32 v5, 16, v14
	v_and_b32_e32 v4, 0xffff0000, v14
	s_waitcnt vmcnt(0)
	v_lshlrev_b32_e32 v17, 16, v6
	v_alignbit_b32 v14, v15, v14, 16
	v_and_b32_e32 v16, 0xffff0000, v6
	v_alignbit_b32 v6, v7, v6, 16
	v_add_f32_e32 v5, v5, v17
	v_and_b32_e32 v14, 0xffff0000, v14
	v_add_f32_e32 v4, v4, v16
	v_and_b32_e32 v6, 0xffff0000, v6
	v_fmac_f32_e32 v1, v5, v5
	v_and_b32_e32 v15, 0xffff0000, v15
	v_and_b32_e32 v7, 0xffff0000, v7
	v_add_f32_e32 v6, v14, v6
	v_fmac_f32_e32 v1, v4, v4
	v_add_f32_e32 v7, v15, v7
	v_fmac_f32_e32 v1, v6, v6
	v_fmac_f32_e32 v1, v7, v7
	s_branch .LBB81_2
.LBB81_9:
	s_or_b64 exec, exec, s[26:27]
.LBB81_10:
	s_or_b64 exec, exec, s[24:25]
	v_mbcnt_lo_u32_b32 v2, -1, 0
	v_mbcnt_hi_u32_b32 v2, -1, v2
	v_and_b32_e32 v3, 63, v2
	v_cmp_ne_u32_e32 vcc, 63, v3
	s_load_dword s2, s[2:3], 0xc
	v_addc_co_u32_e32 v4, vcc, 0, v2, vcc
	v_lshlrev_b32_e32 v4, 2, v4
	ds_bpermute_b32 v4, v4, v1
	s_waitcnt lgkmcnt(0)
	s_and_b32 s44, s2, 0xffff
	v_and_b32_e32 v5, 0x3c0, v0
	v_sub_u32_e64 v5, s44, v5 clamp
	v_add_u32_e32 v6, 1, v2
	v_add_f32_e32 v4, v1, v4
	v_cmp_lt_u32_e32 vcc, v6, v5
	v_cndmask_b32_e32 v1, v1, v4, vcc
	v_cmp_gt_u32_e32 vcc, 62, v3
	v_cndmask_b32_e64 v4, 0, 1, vcc
	v_lshlrev_b32_e32 v4, 1, v4
	v_add_lshl_u32 v4, v4, v2, 2
	ds_bpermute_b32 v4, v4, v1
	v_add_u32_e32 v6, 2, v2
	v_cmp_lt_u32_e32 vcc, v6, v5
	v_add_u32_e32 v6, 4, v2
	s_waitcnt lgkmcnt(0)
	v_add_f32_e32 v4, v1, v4
	v_cndmask_b32_e32 v1, v1, v4, vcc
	v_cmp_gt_u32_e32 vcc, 60, v3
	v_cndmask_b32_e64 v4, 0, 1, vcc
	v_lshlrev_b32_e32 v4, 2, v4
	v_add_lshl_u32 v4, v4, v2, 2
	ds_bpermute_b32 v4, v4, v1
	v_cmp_lt_u32_e32 vcc, v6, v5
	v_add_u32_e32 v6, 8, v2
	s_waitcnt lgkmcnt(0)
	v_add_f32_e32 v4, v1, v4
	v_cndmask_b32_e32 v1, v1, v4, vcc
	v_cmp_gt_u32_e32 vcc, 56, v3
	v_cndmask_b32_e64 v4, 0, 1, vcc
	v_lshlrev_b32_e32 v4, 3, v4
	v_add_lshl_u32 v4, v4, v2, 2
	ds_bpermute_b32 v4, v4, v1
	;; [unrolled: 10-line block ×3, first 2 shown]
	v_cmp_lt_u32_e32 vcc, v6, v5
	s_waitcnt lgkmcnt(0)
	v_add_f32_e32 v4, v1, v4
	v_cndmask_b32_e32 v1, v1, v4, vcc
	v_cmp_gt_u32_e32 vcc, 32, v3
	v_cndmask_b32_e64 v3, 0, 1, vcc
	v_lshlrev_b32_e32 v3, 5, v3
	v_add_lshl_u32 v3, v3, v2, 2
	ds_bpermute_b32 v3, v3, v1
	v_add_u32_e32 v4, 32, v2
	v_cmp_lt_u32_e32 vcc, v4, v5
	s_waitcnt lgkmcnt(0)
	v_add_f32_e32 v3, v1, v3
	v_cndmask_b32_e32 v1, v1, v3, vcc
	v_cmp_eq_u32_e32 vcc, 0, v2
	s_and_saveexec_b64 s[2:3], vcc
	s_cbranch_execz .LBB81_12
; %bb.11:
	v_lshrrev_b32_e32 v3, 4, v0
	v_and_b32_e32 v3, 60, v3
	ds_write_b32 v3, v1 offset:4096
.LBB81_12:
	s_or_b64 exec, exec, s[2:3]
	v_cmp_gt_u32_e32 vcc, 16, v0
	s_waitcnt lgkmcnt(0)
	s_barrier
	s_and_saveexec_b64 s[24:25], vcc
	s_cbranch_execz .LBB81_14
; %bb.13:
	v_lshlrev_b32_e32 v1, 2, v2
	ds_read_b32 v1, v1 offset:4096
	v_and_b32_e32 v3, 15, v2
	v_cmp_ne_u32_e32 vcc, 15, v3
	v_addc_co_u32_e32 v4, vcc, 0, v2, vcc
	v_lshlrev_b32_e32 v4, 2, v4
	s_waitcnt lgkmcnt(0)
	ds_bpermute_b32 v4, v4, v1
	s_add_i32 s2, s44, 63
	s_lshr_b32 s7, s2, 6
	v_add_u32_e32 v5, 1, v3
	v_cmp_gt_u32_e64 s[2:3], 14, v3
	v_cmp_gt_u32_e32 vcc, s7, v5
	v_cndmask_b32_e64 v5, 0, 1, s[2:3]
	s_waitcnt lgkmcnt(0)
	v_add_f32_e32 v4, v1, v4
	v_lshlrev_b32_e32 v5, 1, v5
	v_cndmask_b32_e32 v4, v1, v4, vcc
	v_add_lshl_u32 v5, v5, v2, 2
	ds_bpermute_b32 v5, v5, v4
	v_add_u32_e32 v6, 2, v3
	v_cmp_gt_u32_e64 s[2:3], s7, v6
	v_add_u32_e32 v6, 4, v3
	s_waitcnt lgkmcnt(0)
	v_add_f32_e32 v5, v4, v5
	v_cndmask_b32_e64 v4, v4, v5, s[2:3]
	v_cmp_gt_u32_e64 s[2:3], 12, v3
	v_cndmask_b32_e64 v5, 0, 1, s[2:3]
	v_lshlrev_b32_e32 v5, 2, v5
	v_add_lshl_u32 v5, v5, v2, 2
	ds_bpermute_b32 v5, v5, v4
	v_cmp_gt_u32_e64 s[2:3], s7, v6
	s_waitcnt lgkmcnt(0)
	v_add_f32_e32 v5, v4, v5
	v_cndmask_b32_e64 v4, v4, v5, s[2:3]
	v_cmp_gt_u32_e64 s[2:3], 8, v3
	v_cndmask_b32_e64 v5, 0, 1, s[2:3]
	v_lshlrev_b32_e32 v5, 3, v5
	v_add_lshl_u32 v2, v5, v2, 2
	ds_bpermute_b32 v2, v2, v4
	v_add_u32_e32 v3, 8, v3
	v_cmp_gt_u32_e64 s[2:3], s7, v3
	s_waitcnt lgkmcnt(0)
	v_add_f32_e32 v2, v4, v2
	v_cndmask_b32_e64 v2, v4, v2, s[2:3]
	v_cndmask_b32_e32 v1, v1, v2, vcc
.LBB81_14:
	s_or_b64 exec, exec, s[24:25]
	v_cmp_eq_u32_e32 vcc, 0, v0
	s_and_saveexec_b64 s[2:3], vcc
	s_cbranch_execz .LBB81_16
; %bb.15:
	v_cvt_f32_i32_e32 v2, s22
	s_mov_b32 s7, 0x800000
	v_div_scale_f32 v3, s[24:25], v2, v2, v1
	v_rcp_f32_e32 v4, v3
	v_div_scale_f32 v5, vcc, v1, v2, v1
	v_fma_f32 v6, -v3, v4, 1.0
	v_fmac_f32_e32 v4, v6, v4
	v_mul_f32_e32 v6, v5, v4
	v_fma_f32 v7, -v3, v6, v5
	v_fmac_f32_e32 v6, v7, v4
	v_fma_f32 v3, -v3, v6, v5
	v_div_fmas_f32 v3, v3, v4, v6
	v_div_fixup_f32 v1, v3, v2, v1
	v_add_f32_e32 v1, s8, v1
	v_mul_f32_e32 v2, 0x4b800000, v1
	v_cmp_gt_f32_e32 vcc, s7, v1
	v_cndmask_b32_e32 v1, v1, v2, vcc
	v_rsq_f32_e32 v1, v1
	v_mul_f32_e32 v2, 0x45800000, v1
	v_cndmask_b32_e32 v1, v1, v2, vcc
	v_mov_b32_e32 v2, 0
	ds_write_b32 v2, v1 offset:4160
.LBB81_16:
	s_or_b64 exec, exec, s[2:3]
	s_ashr_i32 s2, s22, 31
	s_lshr_b32 s2, s2, 26
	s_add_i32 s2, s22, s2
	s_ashr_i32 s24, s2, 6
	s_abs_i32 s3, s24
	v_cvt_f32_u32_e32 v1, s3
	s_sub_i32 s7, 0, s3
	s_ashr_i32 s2, s2, 31
	v_mov_b32_e32 v5, 0
	v_rcp_iflag_f32_e32 v1, v1
	s_waitcnt lgkmcnt(0)
	s_barrier
	v_mul_f32_e32 v1, 0x4f7ffffe, v1
	v_cvt_u32_f32_e32 v1, v1
	ds_read_b32 v37, v5 offset:4160
	v_readfirstlane_b32 s8, v1
	s_mul_i32 s7, s7, s8
	s_mul_hi_u32 s7, s8, s7
	s_add_i32 s8, s8, s7
	s_mul_hi_u32 s7, s44, s8
	s_mul_i32 s8, s7, s3
	s_sub_i32 s8, s44, s8
	s_add_i32 s9, s7, 1
	s_sub_i32 s11, s8, s3
	s_cmp_ge_u32 s8, s3
	s_cselect_b32 s7, s9, s7
	s_cselect_b32 s8, s11, s8
	s_add_i32 s9, s7, 1
	s_cmp_ge_u32 s8, s3
	s_cselect_b32 s3, s9, s7
	s_xor_b32 s3, s3, s2
	s_sub_i32 s26, s3, s2
	s_abs_i32 s2, s26
	v_cvt_f32_u32_e32 v1, s2
	s_sub_i32 s3, 0, s2
	s_ashr_i32 s27, s26, 31
	s_ashr_i32 s11, s10, 31
	v_rcp_iflag_f32_e32 v1, v1
	v_mul_f32_e32 v1, 0x4f7ffffe, v1
	v_cvt_u32_f32_e32 v1, v1
	v_mul_lo_u32 v2, s3, v1
	v_mul_hi_u32 v2, v1, v2
	v_add_u32_e32 v1, v1, v2
	v_mul_hi_u32 v1, v0, v1
	v_mul_lo_u32 v2, v1, s2
	v_sub_u32_e32 v2, v0, v2
	v_add_u32_e32 v3, 1, v1
	v_cmp_le_u32_e32 vcc, s2, v2
	v_cndmask_b32_e32 v1, v1, v3, vcc
	v_subrev_u32_e32 v3, s2, v2
	v_cndmask_b32_e32 v2, v2, v3, vcc
	v_add_u32_e32 v3, 1, v1
	v_cmp_le_u32_e32 vcc, s2, v2
	v_cndmask_b32_e32 v1, v1, v3, vcc
	v_xor_b32_e32 v1, s27, v1
	v_subrev_u32_e32 v2, s27, v1
	v_mul_lo_u32 v1, v2, s26
	v_ashrrev_i32_e32 v3, 31, v2
	v_sub_u32_e32 v4, v0, v1
	v_lshlrev_b64 v[8:9], 4, v[2:3]
	v_add_co_u32_e32 v6, vcc, v8, v4
	v_addc_co_u32_e32 v7, vcc, 0, v9, vcc
	v_add_co_u32_e32 v8, vcc, 16, v8
	v_addc_co_u32_e32 v9, vcc, 0, v9, vcc
	v_mov_b32_e32 v1, s11
	v_cmp_gt_i64_e32 vcc, s[10:11], v[8:9]
	v_cndmask_b32_e32 v9, v1, v9, vcc
	v_mov_b32_e32 v1, s10
	v_cndmask_b32_e32 v8, v1, v8, vcc
	v_ashrrev_i32_e32 v11, 31, v8
	v_mov_b32_e32 v10, v8
	v_cmp_lt_i64_e32 vcc, v[6:7], v[10:11]
	s_and_saveexec_b64 s[28:29], vcc
	s_cbranch_execz .LBB81_26
; %bb.17:
	v_lshlrev_b64 v[30:31], 7, v[2:3]
	s_mul_i32 s11, s26, 24
	v_lshlrev_b64 v[12:13], 3, v[4:5]
	v_mov_b32_e32 v1, s31
	v_add_co_u32_e32 v5, vcc, s30, v30
	s_mul_hi_i32 s7, s26, 24
	s_add_u32 s2, s16, s11
	v_addc_co_u32_e32 v19, vcc, v1, v31, vcc
	s_addc_u32 s3, s17, s7
	v_mov_b32_e32 v1, s3
	v_add_co_u32_e32 v14, vcc, s2, v5
	s_lshl_b64 s[30:31], s[26:27], 5
	s_lshl_b64 s[2:3], s[26:27], 4
	s_add_u32 s8, s16, s2
	v_addc_co_u32_e32 v1, vcc, v1, v19, vcc
	s_addc_u32 s9, s17, s3
	v_mov_b32_e32 v15, s9
	v_add_co_u32_e32 v16, vcc, s8, v5
	s_lshl_b64 s[8:9], s[26:27], 3
	s_add_u32 s25, s16, s8
	v_addc_co_u32_e32 v15, vcc, v15, v19, vcc
	s_addc_u32 s38, s17, s9
	v_mov_b32_e32 v17, s38
	v_add_co_u32_e32 v18, vcc, s25, v5
	v_addc_co_u32_e32 v17, vcc, v17, v19, vcc
	v_mov_b32_e32 v21, s17
	v_add_co_u32_e32 v20, vcc, s16, v5
	s_add_u32 s16, s18, s11
	v_addc_co_u32_e32 v19, vcc, v21, v19, vcc
	s_addc_u32 s17, s19, s7
	v_mov_b32_e32 v5, s17
	v_add_co_u32_e32 v22, vcc, s16, v30
	s_add_u32 s16, s18, s2
	v_addc_co_u32_e32 v21, vcc, v5, v31, vcc
	s_addc_u32 s17, s19, s3
	;; [unrolled: 5-line block ×3, first 2 shown]
	v_mov_b32_e32 v5, s17
	v_add_co_u32_e32 v26, vcc, s16, v30
	v_addc_co_u32_e32 v25, vcc, v5, v31, vcc
	v_mov_b32_e32 v5, s19
	v_add_co_u32_e32 v28, vcc, s18, v30
	v_addc_co_u32_e32 v27, vcc, v5, v31, vcc
	v_mov_b32_e32 v5, s37
	v_add_co_u32_e32 v35, vcc, s36, v30
	s_add_u32 s11, s34, s11
	v_addc_co_u32_e32 v5, vcc, v5, v31, vcc
	s_addc_u32 s7, s35, s7
	v_mov_b32_e32 v29, s7
	v_add_co_u32_e32 v30, vcc, s11, v35
	s_add_u32 s2, s34, s2
	v_addc_co_u32_e32 v29, vcc, v29, v5, vcc
	s_addc_u32 s3, s35, s3
	;; [unrolled: 5-line block ×3, first 2 shown]
	v_mov_b32_e32 v33, s3
	v_add_co_u32_e32 v34, vcc, s2, v35
	v_addc_co_u32_e32 v33, vcc, v33, v5, vcc
	v_mov_b32_e32 v38, s35
	v_add_co_u32_e32 v36, vcc, s34, v35
	v_addc_co_u32_e32 v35, vcc, v38, v5, vcc
	s_mul_hi_i32 s7, s26, 3
	s_mul_i32 s11, s26, 3
	s_lshl_b64 s[34:35], s[26:27], 1
	s_mov_b64 s[16:17], 0
	v_mov_b32_e32 v5, 0
	s_movk_i32 s25, 0x7fff
	v_mov_b32_e32 v42, 0x7fc00000
	v_pk_mov_b32 v[38:39], v[6:7], v[6:7] op_sel:[0,1]
                                        ; implicit-def: $sgpr36_sgpr37
	s_branch .LBB81_21
.LBB81_18:                              ;   in Loop: Header=BB81_21 Depth=1
	s_or_b64 exec, exec, s[42:43]
	s_orn2_b64 s[2:3], s[2:3], exec
.LBB81_19:                              ;   in Loop: Header=BB81_21 Depth=1
	s_or_b64 exec, exec, s[40:41]
	s_andn2_b64 s[8:9], s[36:37], exec
	s_and_b64 s[2:3], s[2:3], exec
	s_or_b64 s[36:37], s[8:9], s[2:3]
.LBB81_20:                              ;   in Loop: Header=BB81_21 Depth=1
	s_or_b64 exec, exec, s[38:39]
	s_and_b64 s[2:3], exec, s[36:37]
	s_or_b64 s[16:17], s[2:3], s[16:17]
	s_andn2_b64 exec, exec, s[16:17]
	s_cbranch_execz .LBB81_25
.LBB81_21:                              ; =>This Inner Loop Header: Depth=1
	v_add_co_u32_e32 v40, vcc, v20, v12
	v_addc_co_u32_e32 v41, vcc, v19, v13, vcc
	global_load_dwordx2 v[44:45], v[40:41], off
	v_add_co_u32_e32 v40, vcc, v28, v12
	v_addc_co_u32_e32 v41, vcc, v27, v13, vcc
	global_load_dwordx2 v[46:47], v[40:41], off
	;; [unrolled: 3-line block ×3, first 2 shown]
	v_mov_b32_e32 v41, s27
	v_add_co_u32_e32 v40, vcc, s26, v38
	v_addc_co_u32_e32 v41, vcc, v39, v41, vcc
	v_cmp_lt_i64_e32 vcc, v[40:41], v[10:11]
	s_or_b64 s[36:37], s[36:37], exec
	s_waitcnt vmcnt(2)
	v_and_b32_e32 v43, 0xffff0000, v44
	v_lshlrev_b32_e32 v51, 16, v44
	v_alignbit_b32 v44, v45, v44, 16
	v_and_b32_e32 v44, 0xffff0000, v44
	v_and_b32_e32 v45, 0xffff0000, v45
	s_waitcnt vmcnt(1)
	v_lshlrev_b32_e32 v54, 16, v46
	v_and_b32_e32 v50, 0xffff0000, v46
	v_alignbit_b32 v46, v47, v46, 16
	v_and_b32_e32 v47, 0xffff0000, v47
	v_and_b32_e32 v46, 0xffff0000, v46
	s_waitcnt vmcnt(0)
	v_and_b32_e32 v52, 0xffff0000, v48
	v_lshlrev_b32_e32 v53, 16, v48
	v_alignbit_b32 v48, v49, v48, 16
	v_add_f32_e32 v51, v51, v53
	v_and_b32_e32 v48, 0xffff0000, v48
	v_and_b32_e32 v49, 0xffff0000, v49
	v_add_f32_e32 v43, v43, v52
	v_add_f32_e32 v44, v44, v48
	s_waitcnt lgkmcnt(0)
	v_mul_f32_e32 v48, v37, v51
	v_add_f32_e32 v45, v45, v49
	v_mul_f32_e32 v43, v37, v43
	v_bfe_u32 v49, v48, 16, 1
	v_mul_f32_e32 v45, v37, v45
	v_bfe_u32 v51, v43, 16, 1
	v_add3_u32 v49, v48, v49, s25
	v_bfe_u32 v52, v45, 16, 1
	v_add3_u32 v51, v43, v51, s25
	v_and_b32_e32 v49, 0xffff0000, v49
	v_cmp_o_f32_e64 s[2:3], v48, v48
	v_mul_f32_e32 v44, v37, v44
	v_add3_u32 v52, v45, v52, s25
	v_and_b32_e32 v51, 0xffff0000, v51
	v_cndmask_b32_e64 v48, v42, v49, s[2:3]
	v_cmp_o_f32_e64 s[2:3], v43, v43
	v_bfe_u32 v53, v44, 16, 1
	v_and_b32_e32 v52, 0xffff0000, v52
	v_cndmask_b32_e64 v43, v42, v51, s[2:3]
	v_cmp_o_f32_e64 s[2:3], v45, v45
	v_add3_u32 v53, v44, v53, s25
	v_cndmask_b32_e64 v45, v42, v52, s[2:3]
	v_mul_f32_e32 v48, v48, v54
	v_and_b32_e32 v49, 0xffff0000, v53
	v_mul_f32_e32 v43, v43, v50
	v_cmp_o_f32_e64 s[2:3], v44, v44
	v_mul_f32_e32 v45, v45, v47
	v_bfe_u32 v47, v48, 16, 1
	v_cndmask_b32_e64 v44, v42, v49, s[2:3]
	v_bfe_u32 v49, v43, 16, 1
	v_add3_u32 v47, v48, v47, s25
	v_mul_f32_e32 v44, v44, v46
	v_bfe_u32 v46, v45, 16, 1
	v_add3_u32 v49, v43, v49, s25
	v_and_b32_e32 v47, 0xffff0000, v47
	v_cmp_o_f32_e64 s[2:3], v48, v48
	v_bfe_u32 v50, v44, 16, 1
	v_add3_u32 v46, v45, v46, s25
	v_and_b32_e32 v49, 0xffff0000, v49
	v_cndmask_b32_e64 v47, v42, |v47|, s[2:3]
	v_cmp_o_f32_e64 s[2:3], v43, v43
	v_add3_u32 v50, v44, v50, s25
	v_and_b32_e32 v46, 0xffff0000, v46
	v_cndmask_b32_e64 v43, v42, |v49|, s[2:3]
	v_cmp_o_f32_e64 s[2:3], v45, v45
	v_and_b32_e32 v48, 0xffff0000, v50
	v_cndmask_b32_e64 v45, v42, |v46|, s[2:3]
	v_cmp_o_f32_e64 s[2:3], v44, v44
	v_max3_f32 v5, v5, v47, v43
	v_cndmask_b32_e64 v43, v42, |v48|, s[2:3]
	v_max3_f32 v5, v5, v43, v45
	s_and_saveexec_b64 s[38:39], vcc
	s_cbranch_execz .LBB81_20
; %bb.22:                               ;   in Loop: Header=BB81_21 Depth=1
	v_add_co_u32_e32 v44, vcc, v18, v12
	v_addc_co_u32_e32 v45, vcc, v17, v13, vcc
	v_add_co_u32_e32 v46, vcc, v26, v12
	v_addc_co_u32_e32 v47, vcc, v25, v13, vcc
	;; [unrolled: 2-line block ×3, first 2 shown]
	global_load_dwordx2 v[44:45], v[44:45], off
	v_mov_b32_e32 v43, s35
	global_load_dwordx2 v[48:49], v[48:49], off
	v_add_co_u32_e32 v50, vcc, s34, v38
	global_load_dwordx2 v[46:47], v[46:47], off
	v_addc_co_u32_e32 v51, vcc, v43, v39, vcc
	v_cmp_lt_i64_e32 vcc, v[50:51], v[10:11]
	s_waitcnt vmcnt(2)
	v_and_b32_e32 v43, 0xffff0000, v44
	v_lshlrev_b32_e32 v51, 16, v44
	v_alignbit_b32 v44, v45, v44, 16
	s_waitcnt vmcnt(1)
	v_and_b32_e32 v52, 0xffff0000, v48
	v_lshlrev_b32_e32 v53, 16, v48
	v_alignbit_b32 v48, v49, v48, 16
	v_and_b32_e32 v44, 0xffff0000, v44
	v_add_f32_e32 v51, v51, v53
	v_and_b32_e32 v48, 0xffff0000, v48
	v_and_b32_e32 v45, 0xffff0000, v45
	;; [unrolled: 1-line block ×3, first 2 shown]
	v_add_f32_e32 v43, v43, v52
	v_add_f32_e32 v44, v44, v48
	v_mul_f32_e32 v48, v37, v51
	v_add_f32_e32 v45, v45, v49
	v_mul_f32_e32 v43, v37, v43
	v_bfe_u32 v49, v48, 16, 1
	v_mul_f32_e32 v45, v37, v45
	v_bfe_u32 v51, v43, 16, 1
	v_add3_u32 v49, v48, v49, s25
	v_bfe_u32 v52, v45, 16, 1
	v_add3_u32 v51, v43, v51, s25
	v_and_b32_e32 v49, 0xffff0000, v49
	v_cmp_o_f32_e64 s[2:3], v48, v48
	v_mul_f32_e32 v44, v37, v44
	v_add3_u32 v52, v45, v52, s25
	v_and_b32_e32 v51, 0xffff0000, v51
	v_cndmask_b32_e64 v48, v42, v49, s[2:3]
	v_cmp_o_f32_e64 s[2:3], v43, v43
	s_waitcnt vmcnt(0)
	v_lshlrev_b32_e32 v54, 16, v46
	v_bfe_u32 v53, v44, 16, 1
	v_and_b32_e32 v52, 0xffff0000, v52
	v_cndmask_b32_e64 v43, v42, v51, s[2:3]
	v_cmp_o_f32_e64 s[2:3], v45, v45
	v_and_b32_e32 v50, 0xffff0000, v46
	v_alignbit_b32 v46, v47, v46, 16
	v_and_b32_e32 v47, 0xffff0000, v47
	v_add3_u32 v53, v44, v53, s25
	v_cndmask_b32_e64 v45, v42, v52, s[2:3]
	v_mul_f32_e32 v48, v48, v54
	v_and_b32_e32 v49, 0xffff0000, v53
	v_mul_f32_e32 v43, v43, v50
	v_cmp_o_f32_e64 s[2:3], v44, v44
	v_mul_f32_e32 v45, v45, v47
	v_bfe_u32 v47, v48, 16, 1
	v_and_b32_e32 v46, 0xffff0000, v46
	v_cndmask_b32_e64 v44, v42, v49, s[2:3]
	v_bfe_u32 v49, v43, 16, 1
	v_add3_u32 v47, v48, v47, s25
	v_mul_f32_e32 v44, v44, v46
	v_bfe_u32 v46, v45, 16, 1
	v_add3_u32 v49, v43, v49, s25
	v_and_b32_e32 v47, 0xffff0000, v47
	v_cmp_o_f32_e64 s[2:3], v48, v48
	v_bfe_u32 v50, v44, 16, 1
	v_add3_u32 v46, v45, v46, s25
	v_and_b32_e32 v49, 0xffff0000, v49
	v_cndmask_b32_e64 v47, v42, |v47|, s[2:3]
	v_cmp_o_f32_e64 s[2:3], v43, v43
	v_add3_u32 v50, v44, v50, s25
	v_and_b32_e32 v46, 0xffff0000, v46
	v_cndmask_b32_e64 v43, v42, |v49|, s[2:3]
	v_cmp_o_f32_e64 s[2:3], v45, v45
	v_and_b32_e32 v48, 0xffff0000, v50
	v_cndmask_b32_e64 v45, v42, |v46|, s[2:3]
	v_cmp_o_f32_e64 s[2:3], v44, v44
	v_max3_f32 v5, v5, v47, v43
	v_cndmask_b32_e64 v43, v42, |v48|, s[2:3]
	v_max3_f32 v5, v5, v43, v45
	s_mov_b64 s[2:3], -1
	s_and_saveexec_b64 s[40:41], vcc
	s_cbranch_execz .LBB81_19
; %bb.23:                               ;   in Loop: Header=BB81_21 Depth=1
	v_add_co_u32_e32 v44, vcc, v16, v12
	v_addc_co_u32_e32 v45, vcc, v15, v13, vcc
	v_add_co_u32_e32 v46, vcc, v24, v12
	v_addc_co_u32_e32 v47, vcc, v23, v13, vcc
	v_add_co_u32_e32 v48, vcc, v32, v12
	v_addc_co_u32_e32 v49, vcc, v31, v13, vcc
	global_load_dwordx2 v[44:45], v[44:45], off
	v_mov_b32_e32 v43, s7
	global_load_dwordx2 v[48:49], v[48:49], off
	v_add_co_u32_e32 v38, vcc, s11, v38
	global_load_dwordx2 v[46:47], v[46:47], off
	v_addc_co_u32_e32 v39, vcc, v43, v39, vcc
	v_cmp_lt_i64_e32 vcc, v[38:39], v[10:11]
	s_waitcnt vmcnt(2)
	v_lshlrev_b32_e32 v43, 16, v44
	v_and_b32_e32 v38, 0xffff0000, v44
	s_waitcnt vmcnt(1)
	v_lshlrev_b32_e32 v51, 16, v48
	v_alignbit_b32 v44, v45, v44, 16
	v_and_b32_e32 v50, 0xffff0000, v48
	v_alignbit_b32 v48, v49, v48, 16
	v_add_f32_e32 v43, v43, v51
	v_and_b32_e32 v45, 0xffff0000, v45
	v_and_b32_e32 v49, 0xffff0000, v49
	;; [unrolled: 1-line block ×3, first 2 shown]
	v_add_f32_e32 v38, v38, v50
	v_and_b32_e32 v48, 0xffff0000, v48
	v_mul_f32_e32 v43, v37, v43
	v_add_f32_e32 v45, v45, v49
	v_add_f32_e32 v44, v44, v48
	v_mul_f32_e32 v38, v37, v38
	v_bfe_u32 v48, v43, 16, 1
	v_mul_f32_e32 v45, v37, v45
	v_bfe_u32 v49, v38, 16, 1
	v_add3_u32 v48, v43, v48, s25
	v_bfe_u32 v50, v45, 16, 1
	v_add3_u32 v49, v38, v49, s25
	v_and_b32_e32 v48, 0xffff0000, v48
	v_cmp_o_f32_e64 s[2:3], v43, v43
	v_mul_f32_e32 v44, v37, v44
	v_add3_u32 v50, v45, v50, s25
	v_and_b32_e32 v49, 0xffff0000, v49
	v_cndmask_b32_e64 v43, v42, v48, s[2:3]
	v_cmp_o_f32_e64 s[2:3], v38, v38
	s_waitcnt vmcnt(0)
	v_lshlrev_b32_e32 v52, 16, v46
	v_bfe_u32 v51, v44, 16, 1
	v_and_b32_e32 v50, 0xffff0000, v50
	v_cndmask_b32_e64 v38, v42, v49, s[2:3]
	v_cmp_o_f32_e64 s[2:3], v45, v45
	v_and_b32_e32 v39, 0xffff0000, v46
	v_alignbit_b32 v46, v47, v46, 16
	v_and_b32_e32 v47, 0xffff0000, v47
	v_add3_u32 v51, v44, v51, s25
	v_cndmask_b32_e64 v45, v42, v50, s[2:3]
	v_mul_f32_e32 v43, v43, v52
	v_and_b32_e32 v48, 0xffff0000, v51
	v_mul_f32_e32 v38, v38, v39
	v_cmp_o_f32_e64 s[2:3], v44, v44
	v_mul_f32_e32 v44, v45, v47
	v_bfe_u32 v45, v43, 16, 1
	v_and_b32_e32 v46, 0xffff0000, v46
	v_cndmask_b32_e64 v39, v42, v48, s[2:3]
	v_bfe_u32 v47, v38, 16, 1
	v_add3_u32 v45, v43, v45, s25
	v_mul_f32_e32 v39, v39, v46
	v_bfe_u32 v46, v44, 16, 1
	v_add3_u32 v47, v38, v47, s25
	v_and_b32_e32 v45, 0xffff0000, v45
	v_cmp_o_f32_e64 s[2:3], v43, v43
	v_bfe_u32 v48, v39, 16, 1
	v_add3_u32 v46, v44, v46, s25
	v_and_b32_e32 v47, 0xffff0000, v47
	v_cndmask_b32_e64 v43, v42, |v45|, s[2:3]
	v_cmp_o_f32_e64 s[2:3], v38, v38
	v_add3_u32 v48, v39, v48, s25
	v_and_b32_e32 v46, 0xffff0000, v46
	v_cndmask_b32_e64 v38, v42, |v47|, s[2:3]
	v_cmp_o_f32_e64 s[2:3], v44, v44
	v_and_b32_e32 v45, 0xffff0000, v48
	v_cndmask_b32_e64 v44, v42, |v46|, s[2:3]
	v_cmp_o_f32_e64 s[2:3], v39, v39
	v_max3_f32 v5, v5, v43, v38
	v_cndmask_b32_e64 v38, v42, |v45|, s[2:3]
	v_max3_f32 v5, v5, v38, v44
	s_mov_b64 s[2:3], -1
                                        ; implicit-def: $vgpr38_vgpr39
	s_and_saveexec_b64 s[8:9], vcc
	s_xor_b64 s[42:43], exec, s[8:9]
	s_cbranch_execz .LBB81_18
; %bb.24:                               ;   in Loop: Header=BB81_21 Depth=1
	s_add_u32 s2, s26, s26
	s_addc_u32 s3, s27, s27
	s_add_u32 s2, s2, s26
	s_addc_u32 s3, s3, s27
	v_mov_b32_e32 v39, s3
	v_add_co_u32_e32 v38, vcc, s2, v40
	v_addc_co_u32_e32 v39, vcc, v39, v41, vcc
	v_add_co_u32_e32 v40, vcc, v14, v12
	v_addc_co_u32_e32 v41, vcc, v1, v13, vcc
	global_load_dwordx2 v[40:41], v[40:41], off
	s_waitcnt vmcnt(0)
	v_and_b32_e32 v43, 0xffff0000, v40
	v_lshlrev_b32_e32 v44, 16, v40
	v_alignbit_b32 v45, v41, v40, 16
	v_add_co_u32_e32 v40, vcc, v30, v12
	v_and_b32_e32 v46, 0xffff0000, v41
	v_addc_co_u32_e32 v41, vcc, v29, v13, vcc
	global_load_dwordx2 v[40:41], v[40:41], off
	v_and_b32_e32 v45, 0xffff0000, v45
	s_waitcnt vmcnt(0)
	v_and_b32_e32 v47, 0xffff0000, v40
	v_lshlrev_b32_e32 v48, 16, v40
	v_alignbit_b32 v49, v41, v40, 16
	v_add_co_u32_e32 v40, vcc, v22, v12
	v_and_b32_e32 v50, 0xffff0000, v41
	v_addc_co_u32_e32 v41, vcc, v21, v13, vcc
	global_load_dwordx2 v[40:41], v[40:41], off
	v_add_f32_e32 v44, v44, v48
	v_add_f32_e32 v43, v43, v47
	v_and_b32_e32 v47, 0xffff0000, v49
	v_mul_f32_e32 v44, v37, v44
	v_add_f32_e32 v45, v45, v47
	v_bfe_u32 v47, v44, 16, 1
	v_add3_u32 v47, v44, v47, s25
	v_and_b32_e32 v47, 0xffff0000, v47
	v_cmp_o_f32_e32 vcc, v44, v44
	v_mul_f32_e32 v43, v37, v43
	v_cndmask_b32_e32 v44, v42, v47, vcc
	v_bfe_u32 v47, v43, 16, 1
	v_add_f32_e32 v46, v46, v50
	v_add3_u32 v47, v43, v47, s25
	v_and_b32_e32 v47, 0xffff0000, v47
	v_cmp_o_f32_e32 vcc, v43, v43
	v_mul_f32_e32 v46, v37, v46
	v_cndmask_b32_e32 v43, v42, v47, vcc
	v_bfe_u32 v47, v46, 16, 1
	v_add3_u32 v47, v46, v47, s25
	v_and_b32_e32 v47, 0xffff0000, v47
	v_cmp_o_f32_e32 vcc, v46, v46
	v_cndmask_b32_e32 v46, v42, v47, vcc
	v_mul_f32_e32 v45, v37, v45
	v_cmp_o_f32_e32 vcc, v45, v45
	s_waitcnt vmcnt(0)
	v_and_b32_e32 v51, 0xffff0000, v40
	v_lshlrev_b32_e32 v52, 16, v40
	v_alignbit_b32 v40, v41, v40, 16
	v_and_b32_e32 v41, 0xffff0000, v41
	v_mul_f32_e32 v41, v46, v41
	v_bfe_u32 v46, v45, 16, 1
	v_add3_u32 v46, v45, v46, s25
	v_and_b32_e32 v46, 0xffff0000, v46
	v_mul_f32_e32 v43, v43, v51
	v_and_b32_e32 v40, 0xffff0000, v40
	v_cndmask_b32_e32 v45, v42, v46, vcc
	v_mul_f32_e32 v40, v45, v40
	v_bfe_u32 v45, v43, 16, 1
	v_mul_f32_e32 v44, v44, v52
	v_add3_u32 v45, v43, v45, s25
	v_cmp_o_f32_e32 vcc, v43, v43
	v_bfe_u32 v43, v40, 16, 1
	v_add3_u32 v43, v40, v43, s25
	v_cmp_o_f32_e64 s[2:3], v40, v40
	v_bfe_u32 v40, v44, 16, 1
	v_add3_u32 v40, v44, v40, s25
	v_and_b32_e32 v45, 0xffff0000, v45
	v_and_b32_e32 v40, 0xffff0000, v40
	v_cmp_o_f32_e64 s[8:9], v44, v44
	v_cndmask_b32_e64 v40, v42, |v40|, s[8:9]
	v_cndmask_b32_e64 v44, v42, |v45|, vcc
	v_max3_f32 v5, v5, v40, v44
	v_bfe_u32 v40, v41, 16, 1
	v_add3_u32 v40, v41, v40, s25
	v_and_b32_e32 v43, 0xffff0000, v43
	v_and_b32_e32 v40, 0xffff0000, v40
	v_cmp_o_f32_e32 vcc, v41, v41
	v_cndmask_b32_e64 v40, v42, |v40|, vcc
	v_cndmask_b32_e64 v41, v42, |v43|, s[2:3]
	v_max3_f32 v5, v5, v41, v40
	v_mov_b32_e32 v40, s31
	v_add_co_u32_e32 v14, vcc, s30, v14
	v_addc_co_u32_e32 v1, vcc, v1, v40, vcc
	v_add_co_u32_e32 v16, vcc, s30, v16
	v_addc_co_u32_e32 v15, vcc, v15, v40, vcc
	;; [unrolled: 2-line block ×12, first 2 shown]
	v_cmp_ge_i64_e32 vcc, v[38:39], v[10:11]
	s_orn2_b64 s[2:3], vcc, exec
	s_branch .LBB81_18
.LBB81_25:
	s_or_b64 exec, exec, s[16:17]
.LBB81_26:
	s_or_b64 exec, exec, s[28:29]
	s_lshr_b32 s7, s44, 6
	v_cvt_f32_u32_e32 v10, s7
	v_lshlrev_b32_e32 v1, 2, v0
	ds_write_b32 v1, v5
	s_sub_i32 s8, 0, s7
	v_rcp_iflag_f32_e32 v5, v10
	s_add_i32 s2, s24, s7
	s_add_i32 s2, s2, -1
	s_ashr_i32 s3, s2, 31
	v_mul_f32_e32 v5, 0x4f7ffffe, v5
	v_cvt_u32_f32_e32 v5, v5
	s_abs_i32 s2, s2
	s_ashr_i32 s25, s24, 31
	s_waitcnt lgkmcnt(0)
	v_readfirstlane_b32 s9, v5
	s_mul_i32 s8, s8, s9
	s_mul_hi_u32 s8, s9, s8
	s_add_i32 s9, s9, s8
	s_mul_hi_u32 s8, s2, s9
	s_mul_i32 s9, s8, s7
	s_sub_i32 s2, s2, s9
	s_add_i32 s9, s8, 1
	s_sub_i32 s11, s2, s7
	s_cmp_ge_u32 s2, s7
	s_cselect_b32 s8, s9, s8
	s_cselect_b32 s2, s11, s2
	s_add_i32 s9, s8, 1
	s_cmp_ge_u32 s2, s7
	s_cselect_b32 s2, s9, s8
	s_xor_b32 s2, s2, s3
	s_sub_i32 s2, s2, s3
	s_ashr_i32 s3, s2, 31
	v_cmp_lt_i64_e64 s[8:9], s[2:3], 1
	s_and_b64 vcc, exec, s[8:9]
	s_barrier
	s_cbranch_vccnz .LBB81_48
; %bb.27:
	v_and_b32_e32 v12, 63, v0
	v_add_co_u32_e32 v14, vcc, 32, v12
	v_addc_co_u32_e64 v15, s[8:9], 0, 0, vcc
	v_add_co_u32_e32 v16, vcc, 16, v12
	v_addc_co_u32_e64 v17, s[8:9], 0, 0, vcc
	;; [unrolled: 2-line block ×4, first 2 shown]
	v_add_co_u32_e32 v22, vcc, 2, v12
	v_lshrrev_b32_e32 v10, 6, v0
	v_addc_co_u32_e64 v23, s[8:9], 0, 0, vcc
	v_add_co_u32_e32 v24, vcc, 1, v12
	v_addc_co_u32_e64 v25, s[8:9], 0, 0, vcc
	v_mul_lo_u32 v5, s26, v10
	v_lshlrev_b32_e32 v5, 2, v5
	v_lshlrev_b32_e32 v26, 2, v12
	s_movk_i32 s8, 0x100
	v_mov_b32_e32 v11, 0
	v_add3_u32 v5, v5, v26, s8
	s_mul_i32 s8, s26, s7
	v_mov_b32_e32 v13, v11
	s_lshl_b32 s11, s8, 2
	s_mov_b64 s[8:9], 0
	v_mov_b32_e32 v36, s7
	s_mov_b64 s[16:17], src_shared_base
	s_branch .LBB81_30
.LBB81_28:                              ;   in Loop: Header=BB81_30 Depth=1
	s_or_b64 exec, exec, s[30:31]
	v_mov_b32_e32 v27, s17
	flat_load_dword v26, v[26:27] glc
	s_waitcnt vmcnt(0)
.LBB81_29:                              ;   in Loop: Header=BB81_30 Depth=1
	s_or_b64 exec, exec, s[28:29]
	s_add_u32 s8, s8, 1
	s_addc_u32 s9, s9, 0
	s_cmp_eq_u64 s[8:9], s[2:3]
	v_add_u32_e32 v5, s11, v5
	s_cbranch_scc1 .LBB81_48
.LBB81_30:                              ; =>This Loop Header: Depth=1
                                        ;     Child Loop BB81_33 Depth 2
	v_mad_u64_u32 v[30:31], s[28:29], s8, v36, v[10:11]
	s_mul_i32 s16, s9, s7
	v_add_u32_e32 v31, s16, v31
	v_cmp_gt_i64_e32 vcc, s[24:25], v[30:31]
	s_and_saveexec_b64 s[28:29], vcc
	s_cbranch_execz .LBB81_29
; %bb.31:                               ;   in Loop: Header=BB81_30 Depth=1
	v_pk_mov_b32 v[32:33], s[26:27], s[26:27] op_sel:[0,1]
	v_mul_lo_u32 v29, v31, s26
	v_mul_lo_u32 v38, v30, s27
	v_mad_u64_u32 v[32:33], s[30:31], v30, s26, v[32:33]
	v_add3_u32 v33, v29, v33, v38
	v_mov_b32_e32 v28, s23
	v_cmp_gt_i64_e32 vcc, s[22:23], v[32:33]
	s_waitcnt lgkmcnt(0)
	v_mad_u64_u32 v[26:27], s[30:31], v30, s26, v[12:13]
	v_cndmask_b32_e32 v33, v28, v33, vcc
	v_mov_b32_e32 v28, s22
	v_add3_u32 v27, v29, v27, v38
	v_cndmask_b32_e32 v32, v28, v32, vcc
	v_add_co_u32_e32 v34, vcc, 64, v26
	v_addc_co_u32_e32 v35, vcc, 0, v27, vcc
	v_cmp_lt_i64_e32 vcc, v[34:35], v[32:33]
	v_lshlrev_b32_e32 v28, 2, v26
	s_and_saveexec_b64 s[30:31], vcc
	s_cbranch_execz .LBB81_34
; %bb.32:                               ;   in Loop: Header=BB81_30 Depth=1
	ds_read_b32 v31, v28
	s_mov_b64 s[34:35], 0
	v_mov_b32_e32 v27, v5
.LBB81_33:                              ;   Parent Loop BB81_30 Depth=1
                                        ; =>  This Inner Loop Header: Depth=2
	ds_read_b32 v39, v27
	v_add_co_u32_e32 v34, vcc, 64, v34
	v_addc_co_u32_e32 v35, vcc, 0, v35, vcc
	s_waitcnt lgkmcnt(1)
	v_max_f32_e32 v31, v31, v31
	v_cmp_ge_i64_e32 vcc, v[34:35], v[32:33]
	s_waitcnt lgkmcnt(0)
	v_max_f32_e32 v39, v39, v39
	v_add_u32_e32 v27, 0x100, v27
	s_or_b64 s[34:35], vcc, s[34:35]
	v_max_f32_e32 v31, v31, v39
	ds_write_b32 v28, v31
	s_andn2_b64 exec, exec, s[34:35]
	s_cbranch_execnz .LBB81_33
.LBB81_34:                              ;   in Loop: Header=BB81_30 Depth=1
	s_or_b64 exec, exec, s[30:31]
	v_mad_u64_u32 v[30:31], s[30:31], v30, s26, 0
	v_add3_u32 v27, v31, v38, v29
	v_sub_co_u32_e32 v30, vcc, v32, v30
	v_subb_co_u32_e32 v31, vcc, v33, v27, vcc
	v_cmp_gt_i64_e32 vcc, 64, v[30:31]
	v_cndmask_b32_e32 v31, 0, v31, vcc
	v_cndmask_b32_e32 v30, 64, v30, vcc
	v_cmp_lt_i64_e32 vcc, v[14:15], v[30:31]
	s_and_saveexec_b64 s[30:31], vcc
	s_cbranch_execnz .LBB81_46
; %bb.35:                               ;   in Loop: Header=BB81_30 Depth=1
	s_or_b64 exec, exec, s[30:31]
	v_cmp_lt_i64_e32 vcc, v[16:17], v[30:31]
	s_and_saveexec_b64 s[30:31], vcc
	s_cbranch_execnz .LBB81_47
.LBB81_36:                              ;   in Loop: Header=BB81_30 Depth=1
	s_or_b64 exec, exec, s[30:31]
	v_cmp_lt_i64_e32 vcc, v[18:19], v[30:31]
	s_and_saveexec_b64 s[30:31], vcc
	s_cbranch_execz .LBB81_38
.LBB81_37:                              ;   in Loop: Header=BB81_30 Depth=1
	v_mov_b32_e32 v29, s17
	v_add_u32_e32 v32, 32, v28
	v_mov_b32_e32 v33, s17
	flat_load_dword v27, v[28:29] glc
	s_waitcnt vmcnt(0)
	flat_load_dword v34, v[32:33] glc
	s_waitcnt vmcnt(0) lgkmcnt(0)
	v_max_f32_e32 v27, v27, v27
	v_max_f32_e32 v32, v34, v34
	;; [unrolled: 1-line block ×3, first 2 shown]
	flat_store_dword v[28:29], v27
	s_waitcnt vmcnt(0)
.LBB81_38:                              ;   in Loop: Header=BB81_30 Depth=1
	s_or_b64 exec, exec, s[30:31]
	v_cmp_ge_i64_e32 vcc, v[20:21], v[30:31]
	s_and_saveexec_b64 s[30:31], vcc
	s_xor_b64 s[30:31], exec, s[30:31]
; %bb.39:                               ;   in Loop: Header=BB81_30 Depth=1
                                        ; implicit-def: $vgpr28
; %bb.40:                               ;   in Loop: Header=BB81_30 Depth=1
	s_andn2_saveexec_b64 s[30:31], s[30:31]
	s_cbranch_execz .LBB81_42
; %bb.41:                               ;   in Loop: Header=BB81_30 Depth=1
	v_mov_b32_e32 v29, s17
	v_add_u32_e32 v32, 16, v28
	v_mov_b32_e32 v33, s17
	flat_load_dword v27, v[28:29] glc
	s_waitcnt vmcnt(0)
	flat_load_dword v34, v[32:33] glc
	s_waitcnt vmcnt(0) lgkmcnt(0)
	v_max_f32_e32 v27, v27, v27
	v_max_f32_e32 v32, v34, v34
	;; [unrolled: 1-line block ×3, first 2 shown]
	flat_store_dword v[28:29], v27
	s_waitcnt vmcnt(0)
.LBB81_42:                              ;   in Loop: Header=BB81_30 Depth=1
	s_or_b64 exec, exec, s[30:31]
	v_cmp_lt_i64_e32 vcc, v[22:23], v[30:31]
	v_lshlrev_b32_e32 v26, 2, v26
	s_and_saveexec_b64 s[30:31], vcc
	s_cbranch_execz .LBB81_44
; %bb.43:                               ;   in Loop: Header=BB81_30 Depth=1
	v_mov_b32_e32 v27, s17
	v_add_u32_e32 v28, 8, v26
	v_mov_b32_e32 v29, s17
	flat_load_dword v32, v[26:27] glc
	s_waitcnt vmcnt(0)
	flat_load_dword v33, v[28:29] glc
	s_waitcnt vmcnt(0) lgkmcnt(0)
	v_max_f32_e32 v28, v32, v32
	v_max_f32_e32 v29, v33, v33
	v_max_f32_e32 v28, v28, v29
	flat_store_dword v[26:27], v28
	s_waitcnt vmcnt(0)
.LBB81_44:                              ;   in Loop: Header=BB81_30 Depth=1
	s_or_b64 exec, exec, s[30:31]
	v_cmp_lt_i64_e32 vcc, v[24:25], v[30:31]
	s_and_saveexec_b64 s[30:31], vcc
	s_cbranch_execz .LBB81_28
; %bb.45:                               ;   in Loop: Header=BB81_30 Depth=1
	v_mov_b32_e32 v27, s17
	v_add_u32_e32 v28, 4, v26
	v_mov_b32_e32 v29, s17
	flat_load_dword v30, v[26:27] glc
	s_waitcnt vmcnt(0)
	flat_load_dword v31, v[28:29] glc
	s_waitcnt vmcnt(0) lgkmcnt(0)
	v_max_f32_e32 v28, v30, v30
	v_max_f32_e32 v29, v31, v31
	;; [unrolled: 1-line block ×3, first 2 shown]
	flat_store_dword v[26:27], v28
	s_waitcnt vmcnt(0)
	s_branch .LBB81_28
.LBB81_46:                              ;   in Loop: Header=BB81_30 Depth=1
	v_mov_b32_e32 v29, s17
	v_add_u32_e32 v32, 0x80, v28
	v_mov_b32_e32 v33, s17
	flat_load_dword v27, v[28:29] glc
	s_waitcnt vmcnt(0)
	flat_load_dword v34, v[32:33] glc
	s_waitcnt vmcnt(0) lgkmcnt(0)
	v_max_f32_e32 v27, v27, v27
	v_max_f32_e32 v32, v34, v34
	;; [unrolled: 1-line block ×3, first 2 shown]
	flat_store_dword v[28:29], v27
	s_waitcnt vmcnt(0)
	s_or_b64 exec, exec, s[30:31]
	v_cmp_lt_i64_e32 vcc, v[16:17], v[30:31]
	s_and_saveexec_b64 s[30:31], vcc
	s_cbranch_execz .LBB81_36
.LBB81_47:                              ;   in Loop: Header=BB81_30 Depth=1
	v_mov_b32_e32 v29, s17
	v_add_u32_e32 v32, 64, v28
	v_mov_b32_e32 v33, s17
	flat_load_dword v27, v[28:29] glc
	s_waitcnt vmcnt(0)
	flat_load_dword v34, v[32:33] glc
	s_waitcnt vmcnt(0) lgkmcnt(0)
	v_max_f32_e32 v27, v27, v27
	v_max_f32_e32 v32, v34, v34
	;; [unrolled: 1-line block ×3, first 2 shown]
	flat_store_dword v[28:29], v27
	s_waitcnt vmcnt(0)
	s_or_b64 exec, exec, s[30:31]
	v_cmp_lt_i64_e32 vcc, v[18:19], v[30:31]
	s_and_saveexec_b64 s[30:31], vcc
	s_cbranch_execnz .LBB81_37
	s_branch .LBB81_38
.LBB81_48:
	v_cmp_eq_u32_e32 vcc, 0, v4
	v_cmp_lt_i64_e64 s[2:3], v[6:7], v[8:9]
	s_and_b64 s[16:17], vcc, s[2:3]
	s_mul_i32 s8, s25, s6
	s_mul_hi_u32 s9, s24, s6
	s_mul_i32 s2, s24, s6
	s_waitcnt lgkmcnt(0)
	s_barrier
	s_and_saveexec_b64 s[6:7], s[16:17]
	s_cbranch_execz .LBB81_52
; %bb.49:
	s_load_dwordx2 s[4:5], s[4:5], 0x20
	ds_read_b32 v1, v1
	s_waitcnt lgkmcnt(0)
	s_cmp_eq_u64 s[4:5], 0
	s_cbranch_scc1 .LBB81_51
; %bb.50:
	s_load_dword s3, s[4:5], 0x0
	v_max_f32_e32 v1, v1, v1
	s_waitcnt lgkmcnt(0)
	v_max_f32_e64 v4, s3, s3
	v_min_f32_e32 v1, v1, v4
.LBB81_51:
	s_mov_b32 s3, 0x43e00000
	v_div_scale_f32 v4, s[4:5], s3, s3, v1
	v_rcp_f32_e32 v5, v4
	v_div_scale_f32 v6, vcc, v1, s3, v1
	v_lshlrev_b64 v[2:3], 2, v[2:3]
	v_fma_f32 v7, -v4, v5, 1.0
	v_fmac_f32_e32 v5, v7, v5
	v_mul_f32_e32 v7, v6, v5
	v_fma_f32 v8, -v4, v7, v6
	v_fmac_f32_e32 v7, v8, v5
	v_fma_f32 v4, -v4, v7, v6
	v_div_fmas_f32 v4, v4, v5, v7
	v_div_fixup_f32 v1, v4, s3, v1
	s_add_i32 s3, s9, s8
	s_lshl_b64 s[4:5], s[2:3], 2
	s_add_u32 s3, s14, s4
	s_addc_u32 s4, s15, s5
	v_mov_b32_e32 v4, s4
	v_add_co_u32_e32 v2, vcc, s3, v2
	v_max_f32_e32 v1, 0x36924925, v1
	v_addc_co_u32_e32 v3, vcc, v4, v3, vcc
	global_store_dword v[2:3], v1, off
.LBB81_52:
	s_or_b64 exec, exec, s[6:7]
	s_barrier
	s_and_saveexec_b64 s[4:5], s[0:1]
	s_cbranch_execz .LBB81_157
; %bb.53:
	s_add_u32 s11, s12, s20
	s_addc_u32 s16, s13, s21
	s_add_i32 s3, s9, s8
	s_lshl_b64 s[0:1], s[2:3], 2
	s_add_u32 s0, s14, s0
	s_addc_u32 s1, s15, s1
	s_mul_i32 s17, s44, 3
	s_lshl_b32 s20, s44, 1
	s_mov_b64 s[2:3], 0
	v_mov_b32_e32 v10, s46
	v_mov_b32_e32 v11, s19
	;; [unrolled: 1-line block ×3, first 2 shown]
	s_movk_i32 s21, 0x7fff
	v_mov_b32_e32 v13, 0x7fc00000
	v_mov_b32_e32 v14, 0x7fc0
	s_mov_b32 s22, 0x43f00000
	s_mov_b32 s23, 0x3c7fffff
	;; [unrolled: 1-line block ×4, first 2 shown]
	s_movk_i32 s26, 0x80
	s_movk_i32 s27, 0xff
	v_mov_b32_e32 v1, 0
	s_branch .LBB81_59
.LBB81_54:                              ;   in Loop: Header=BB81_59 Depth=1
	s_or_b64 exec, exec, s[14:15]
.LBB81_55:                              ;   in Loop: Header=BB81_59 Depth=1
	s_or_b64 exec, exec, s[12:13]
	v_and_b32_sdwa v17, v17, s26 dst_sel:DWORD dst_unused:UNUSED_PAD src0_sel:BYTE_3 src1_sel:DWORD
	v_lshlrev_b64 v[8:9], 2, v[0:1]
	v_mov_b32_e32 v0, s16
	v_add_co_u32_e32 v8, vcc, s11, v8
	v_and_or_b32 v4, v4, s27, v17
	v_and_b32_sdwa v15, v15, s26 dst_sel:DWORD dst_unused:UNUSED_PAD src0_sel:BYTE_3 src1_sel:DWORD
	v_addc_co_u32_e32 v9, vcc, v0, v9, vcc
	v_lshlrev_b32_e32 v0, 24, v16
	v_and_b32_e32 v5, 0x80000000, v5
	v_lshlrev_b32_e32 v4, 16, v4
	v_lshrrev_b32_e32 v7, 24, v7
	v_or3_b32 v0, v5, v0, v4
	v_and_or_b32 v3, v3, s27, v15
	v_and_b32_e32 v4, 0xff, v6
	v_lshlrev_b32_e32 v3, 8, v3
	v_and_or_b32 v4, v7, s26, v4
	s_add_i32 s12, s44, s44
	v_or3_b32 v0, v0, v3, v4
	s_add_i32 s12, s12, s44
	global_store_dword v[8:9], v0, off
	v_add_u32_e32 v0, s12, v2
	v_cmp_le_u32_e32 vcc, s10, v0
	s_orn2_b64 s[12:13], vcc, exec
.LBB81_56:                              ;   in Loop: Header=BB81_59 Depth=1
	s_or_b64 exec, exec, s[8:9]
	s_orn2_b64 s[8:9], s[12:13], exec
.LBB81_57:                              ;   in Loop: Header=BB81_59 Depth=1
	s_or_b64 exec, exec, s[6:7]
	s_orn2_b64 s[6:7], s[8:9], exec
.LBB81_58:                              ;   in Loop: Header=BB81_59 Depth=1
	s_or_b64 exec, exec, s[4:5]
	s_and_b64 s[4:5], exec, s[6:7]
	s_or_b64 s[2:3], s[4:5], s[2:3]
	s_andn2_b64 exec, exec, s[2:3]
	s_cbranch_execz .LBB81_157
.LBB81_59:                              ; =>This Inner Loop Header: Depth=1
	v_lshlrev_b64 v[2:3], 3, v[0:1]
	v_add_co_u32_e32 v4, vcc, s33, v2
	v_addc_co_u32_e32 v5, vcc, v10, v3, vcc
	global_load_dwordx2 v[8:9], v[4:5], off
	v_add_co_u32_e32 v4, vcc, s47, v2
	v_addc_co_u32_e32 v5, vcc, v12, v3, vcc
	global_load_dwordx2 v[16:17], v[4:5], off
	;; [unrolled: 3-line block ×3, first 2 shown]
	v_lshrrev_b32_e32 v6, 2, v0
	v_and_b32_e32 v6, 0xffffffc, v6
	global_load_dword v7, v6, s[0:1]
	v_mov_b32_e32 v6, 0x7f
	s_waitcnt vmcnt(3)
	v_and_b32_e32 v15, 0xffff0000, v8
	v_lshlrev_b32_e32 v18, 16, v8
	v_alignbit_b32 v8, v9, v8, 16
	v_and_b32_e32 v19, 0xffff0000, v9
	v_and_b32_e32 v22, 0xffff0000, v8
	s_waitcnt vmcnt(2)
	v_and_b32_e32 v9, 0xffff0000, v16
	v_lshlrev_b32_e32 v20, 16, v16
	v_alignbit_b32 v16, v17, v16, 16
	v_and_b32_e32 v17, 0xffff0000, v17
	v_add_f32_e32 v8, v19, v17
	v_add_f32_e32 v9, v15, v9
	v_bfe_u32 v19, v8, 16, 1
	v_add_f32_e32 v18, v18, v20
	v_and_b32_e32 v15, 0xffff0000, v16
	v_bfe_u32 v17, v9, 16, 1
	v_add3_u32 v19, v8, v19, s21
	v_add_f32_e32 v15, v22, v15
	v_bfe_u32 v16, v18, 16, 1
	v_add3_u32 v17, v9, v17, s21
	v_and_b32_e32 v19, 0xffff0000, v19
	v_cmp_o_f32_e32 vcc, v8, v8
	v_mul_f32_e32 v20, v37, v18
	v_add3_u32 v16, v18, v16, s21
	v_bfe_u32 v22, v15, 16, 1
	v_and_b32_e32 v17, 0xffff0000, v17
	v_cndmask_b32_e32 v19, v13, v19, vcc
	v_cmp_o_f32_e32 vcc, v9, v9
	v_bfe_u32 v23, v20, 16, 1
	v_lshrrev_b32_e32 v16, 16, v16
	v_add3_u32 v22, v15, v22, s21
	v_cndmask_b32_e32 v17, v13, v17, vcc
	v_cmp_o_f32_e32 vcc, v18, v18
	v_add3_u32 v23, v20, v23, s21
	v_lshrrev_b32_e32 v22, 16, v22
	v_cndmask_b32_e32 v16, v14, v16, vcc
	v_cmp_o_f32_e32 vcc, v15, v15
	v_and_b32_e32 v18, 0xffff0000, v23
	v_cndmask_b32_e32 v22, v14, v22, vcc
	v_cmp_o_f32_e32 vcc, v20, v20
	s_waitcnt vmcnt(1)
	v_lshlrev_b32_e32 v21, 16, v2
	v_cndmask_b32_e32 v18, v13, v18, vcc
	v_mul_f32_e32 v18, v18, v21
	v_or_b32_e32 v16, v16, v17
	v_or3_b32 v17, 0, v22, v19
	v_bfe_u32 v19, v18, 16, 1
	v_add3_u32 v19, v18, v19, s21
	v_and_b32_e32 v19, 0xffff0000, v19
	v_cmp_o_f32_e32 vcc, v18, v18
	v_cndmask_b32_e32 v18, v13, v19, vcc
	s_waitcnt vmcnt(0)
	v_div_scale_f32 v19, s[4:5], v7, v7, v18
	v_rcp_f32_e32 v20, v19
	v_or3_b32 v16, v16, 0, 0
	global_store_dwordx2 v[4:5], v[16:17], off
	v_div_scale_f32 v4, vcc, v18, v7, v18
	v_fma_f32 v5, -v19, v20, 1.0
	v_fmac_f32_e32 v20, v5, v20
	v_mul_f32_e32 v5, v4, v20
	v_fma_f32 v16, -v19, v5, v4
	v_fmac_f32_e32 v5, v16, v20
	v_fma_f32 v4, -v19, v5, v4
	v_div_fmas_f32 v4, v4, v20, v5
	v_div_fixup_f32 v4, v4, v7, v18
	v_min_f32_e32 v4, 0x43e00000, v4
	v_max_f32_e32 v5, 0xc3e00000, v4
	v_and_b32_e32 v16, 0x7fffffff, v5
	v_cmp_gt_u32_e32 vcc, s22, v16
	v_mov_b32_e32 v4, 0x7f
	s_and_saveexec_b64 s[4:5], vcc
	s_cbranch_execz .LBB81_65
; %bb.60:                               ;   in Loop: Header=BB81_59 Depth=1
	v_cmp_lt_u32_e32 vcc, s23, v16
                                        ; implicit-def: $vgpr4
	s_and_saveexec_b64 s[6:7], vcc
	s_xor_b64 s[6:7], exec, s[6:7]
; %bb.61:                               ;   in Loop: Header=BB81_59 Depth=1
	v_bfe_u32 v4, v5, 20, 1
	v_add3_u32 v4, v5, v4, s24
	v_lshrrev_b32_e32 v4, 20, v4
; %bb.62:                               ;   in Loop: Header=BB81_59 Depth=1
	s_andn2_saveexec_b64 s[6:7], s[6:7]
; %bb.63:                               ;   in Loop: Header=BB81_59 Depth=1
	v_add_f32_e64 v4, |v5|, s25
; %bb.64:                               ;   in Loop: Header=BB81_59 Depth=1
	s_or_b64 exec, exec, s[6:7]
.LBB81_65:                              ;   in Loop: Header=BB81_59 Depth=1
	s_or_b64 exec, exec, s[4:5]
	v_mul_f32_e32 v9, v37, v9
	v_bfe_u32 v17, v9, 16, 1
	v_add3_u32 v17, v9, v17, s21
	v_and_b32_e32 v17, 0xffff0000, v17
	v_cmp_o_f32_e32 vcc, v9, v9
	v_and_b32_e32 v16, 0xffff0000, v2
	v_cndmask_b32_e32 v9, v13, v17, vcc
	v_mul_f32_e32 v9, v9, v16
	v_bfe_u32 v16, v9, 16, 1
	v_add3_u32 v16, v9, v16, s21
	v_and_b32_e32 v16, 0xffff0000, v16
	v_cmp_o_f32_e32 vcc, v9, v9
	v_cndmask_b32_e32 v9, v13, v16, vcc
	v_div_scale_f32 v16, s[4:5], v7, v7, v9
	v_rcp_f32_e32 v17, v16
	v_fma_f32 v18, -v16, v17, 1.0
	v_fmac_f32_e32 v17, v18, v17
	v_div_scale_f32 v18, vcc, v9, v7, v9
	v_mul_f32_e32 v19, v18, v17
	v_fma_f32 v20, -v16, v19, v18
	v_fmac_f32_e32 v19, v20, v17
	v_fma_f32 v16, -v16, v19, v18
	v_div_fmas_f32 v16, v16, v17, v19
	v_div_fixup_f32 v9, v16, v7, v9
	v_min_f32_e32 v9, 0x43e00000, v9
	v_max_f32_e32 v9, 0xc3e00000, v9
	v_and_b32_e32 v16, 0x7fffffff, v9
	v_cmp_gt_u32_e32 vcc, s22, v16
	s_and_saveexec_b64 s[4:5], vcc
	s_cbranch_execz .LBB81_71
; %bb.66:                               ;   in Loop: Header=BB81_59 Depth=1
	v_cmp_lt_u32_e32 vcc, s23, v16
                                        ; implicit-def: $vgpr6
	s_and_saveexec_b64 s[6:7], vcc
	s_xor_b64 s[6:7], exec, s[6:7]
; %bb.67:                               ;   in Loop: Header=BB81_59 Depth=1
	v_bfe_u32 v6, v9, 20, 1
	v_add3_u32 v6, v9, v6, s24
	v_lshrrev_b32_e32 v6, 20, v6
; %bb.68:                               ;   in Loop: Header=BB81_59 Depth=1
	s_andn2_saveexec_b64 s[6:7], s[6:7]
; %bb.69:                               ;   in Loop: Header=BB81_59 Depth=1
	v_add_f32_e64 v6, |v9|, s25
; %bb.70:                               ;   in Loop: Header=BB81_59 Depth=1
	s_or_b64 exec, exec, s[6:7]
.LBB81_71:                              ;   in Loop: Header=BB81_59 Depth=1
	s_or_b64 exec, exec, s[4:5]
	v_mul_f32_e32 v15, v37, v15
	v_bfe_u32 v16, v15, 16, 1
	v_add3_u32 v16, v15, v16, s21
	v_and_b32_e32 v16, 0xffff0000, v16
	v_cmp_o_f32_e32 vcc, v15, v15
	v_alignbit_b32 v2, v3, v2, 16
	v_cndmask_b32_e32 v15, v13, v16, vcc
	v_and_b32_e32 v2, 0xffff0000, v2
	v_mul_f32_e32 v2, v15, v2
	v_bfe_u32 v15, v2, 16, 1
	v_add3_u32 v15, v2, v15, s21
	v_and_b32_e32 v15, 0xffff0000, v15
	v_cmp_o_f32_e32 vcc, v2, v2
	v_cndmask_b32_e32 v2, v13, v15, vcc
	v_div_scale_f32 v15, s[4:5], v7, v7, v2
	v_rcp_f32_e32 v16, v15
	v_fma_f32 v17, -v15, v16, 1.0
	v_fmac_f32_e32 v16, v17, v16
	v_div_scale_f32 v17, vcc, v2, v7, v2
	v_mul_f32_e32 v18, v17, v16
	v_fma_f32 v19, -v15, v18, v17
	v_fmac_f32_e32 v18, v19, v16
	v_fma_f32 v15, -v15, v18, v17
	v_div_fmas_f32 v15, v15, v16, v18
	v_div_fixup_f32 v2, v15, v7, v2
	v_min_f32_e32 v2, 0x43e00000, v2
	v_max_f32_e32 v16, 0xc3e00000, v2
	v_and_b32_e32 v17, 0x7fffffff, v16
	v_cmp_gt_u32_e32 vcc, s22, v17
	v_mov_b32_e32 v15, 0x7f
	v_mov_b32_e32 v2, 0x7f
	s_and_saveexec_b64 s[4:5], vcc
	s_cbranch_execz .LBB81_77
; %bb.72:                               ;   in Loop: Header=BB81_59 Depth=1
	v_cmp_lt_u32_e32 vcc, s23, v17
                                        ; implicit-def: $vgpr2
	s_and_saveexec_b64 s[6:7], vcc
	s_xor_b64 s[6:7], exec, s[6:7]
; %bb.73:                               ;   in Loop: Header=BB81_59 Depth=1
	v_bfe_u32 v2, v16, 20, 1
	v_add3_u32 v2, v16, v2, s24
	v_lshrrev_b32_e32 v2, 20, v2
; %bb.74:                               ;   in Loop: Header=BB81_59 Depth=1
	s_andn2_saveexec_b64 s[6:7], s[6:7]
; %bb.75:                               ;   in Loop: Header=BB81_59 Depth=1
	v_add_f32_e64 v2, |v16|, s25
; %bb.76:                               ;   in Loop: Header=BB81_59 Depth=1
	s_or_b64 exec, exec, s[6:7]
.LBB81_77:                              ;   in Loop: Header=BB81_59 Depth=1
	s_or_b64 exec, exec, s[4:5]
	v_mul_f32_e32 v8, v37, v8
	v_bfe_u32 v17, v8, 16, 1
	v_add3_u32 v17, v8, v17, s21
	v_and_b32_e32 v17, 0xffff0000, v17
	v_cmp_o_f32_e32 vcc, v8, v8
	v_cndmask_b32_e32 v8, v13, v17, vcc
	v_and_b32_e32 v3, 0xffff0000, v3
	v_mul_f32_e32 v3, v8, v3
	v_bfe_u32 v8, v3, 16, 1
	v_add3_u32 v8, v3, v8, s21
	v_and_b32_e32 v8, 0xffff0000, v8
	v_cmp_o_f32_e32 vcc, v3, v3
	v_cndmask_b32_e32 v3, v13, v8, vcc
	v_div_scale_f32 v8, s[4:5], v7, v7, v3
	v_rcp_f32_e32 v17, v8
	v_fma_f32 v18, -v8, v17, 1.0
	v_fmac_f32_e32 v17, v18, v17
	v_div_scale_f32 v18, vcc, v3, v7, v3
	v_mul_f32_e32 v19, v18, v17
	v_fma_f32 v20, -v8, v19, v18
	v_fmac_f32_e32 v19, v20, v17
	v_fma_f32 v8, -v8, v19, v18
	v_div_fmas_f32 v8, v8, v17, v19
	v_div_fixup_f32 v3, v8, v7, v3
	v_min_f32_e32 v3, 0x43e00000, v3
	v_max_f32_e32 v3, 0xc3e00000, v3
	v_and_b32_e32 v7, 0x7fffffff, v3
	v_cmp_gt_u32_e32 vcc, s22, v7
	s_and_saveexec_b64 s[4:5], vcc
	s_cbranch_execz .LBB81_83
; %bb.78:                               ;   in Loop: Header=BB81_59 Depth=1
	v_cmp_lt_u32_e32 vcc, s23, v7
                                        ; implicit-def: $vgpr15
	s_and_saveexec_b64 s[6:7], vcc
	s_xor_b64 s[6:7], exec, s[6:7]
; %bb.79:                               ;   in Loop: Header=BB81_59 Depth=1
	v_bfe_u32 v7, v3, 20, 1
	v_add3_u32 v7, v3, v7, s24
	v_lshrrev_b32_e32 v15, 20, v7
; %bb.80:                               ;   in Loop: Header=BB81_59 Depth=1
	s_andn2_saveexec_b64 s[6:7], s[6:7]
; %bb.81:                               ;   in Loop: Header=BB81_59 Depth=1
	v_add_f32_e64 v15, |v3|, s25
; %bb.82:                               ;   in Loop: Header=BB81_59 Depth=1
	s_or_b64 exec, exec, s[6:7]
.LBB81_83:                              ;   in Loop: Header=BB81_59 Depth=1
	s_or_b64 exec, exec, s[4:5]
	v_and_b32_sdwa v7, v16, s26 dst_sel:DWORD dst_unused:UNUSED_PAD src0_sel:BYTE_3 src1_sel:DWORD
	v_and_or_b32 v2, v2, s27, v7
	v_and_b32_sdwa v16, v9, s26 dst_sel:DWORD dst_unused:UNUSED_PAD src0_sel:BYTE_3 src1_sel:DWORD
	v_lshlrev_b32_e32 v15, 24, v15
	v_and_b32_e32 v3, 0x80000000, v3
	v_lshlrev_b32_e32 v2, 16, v2
	v_lshrrev_b32_e32 v5, 24, v5
	v_lshlrev_b64 v[8:9], 2, v[0:1]
	v_or3_b32 v2, v3, v15, v2
	v_and_or_b32 v3, v6, s27, v16
	v_and_b32_e32 v4, 0xff, v4
	v_mov_b32_e32 v17, s16
	v_add_co_u32_e32 v8, vcc, s11, v8
	v_lshlrev_b32_e32 v3, 8, v3
	v_and_or_b32 v4, v5, s26, v4
	v_addc_co_u32_e32 v9, vcc, v17, v9, vcc
	v_or3_b32 v2, v2, v3, v4
	global_store_dword v[8:9], v2, off
	v_add_u32_e32 v2, s44, v0
	v_cmp_gt_u32_e32 vcc, s10, v2
	s_mov_b64 s[6:7], -1
	s_and_saveexec_b64 s[4:5], vcc
	s_cbranch_execz .LBB81_58
; %bb.84:                               ;   in Loop: Header=BB81_59 Depth=1
	v_mov_b32_e32 v3, v1
	v_lshlrev_b64 v[4:5], 3, v[2:3]
	v_mov_b32_e32 v7, s46
	v_add_co_u32_e32 v6, vcc, s33, v4
	v_addc_co_u32_e32 v7, vcc, v7, v5, vcc
	global_load_dwordx2 v[16:17], v[6:7], off
	v_mov_b32_e32 v7, s48
	v_add_co_u32_e32 v6, vcc, s47, v4
	v_addc_co_u32_e32 v7, vcc, v7, v5, vcc
	global_load_dwordx2 v[18:19], v[6:7], off
	v_mov_b32_e32 v8, s19
	v_add_co_u32_e32 v4, vcc, s18, v4
	v_addc_co_u32_e32 v5, vcc, v8, v5, vcc
	global_load_dwordx2 v[4:5], v[4:5], off
	v_lshrrev_b32_e32 v8, 2, v2
	v_and_b32_e32 v8, 0xffffffc, v8
	global_load_dword v9, v8, s[0:1]
	v_mov_b32_e32 v8, 0x7f
	s_waitcnt vmcnt(3)
	v_and_b32_e32 v15, 0xffff0000, v16
	v_lshlrev_b32_e32 v20, 16, v16
	v_alignbit_b32 v16, v17, v16, 16
	v_and_b32_e32 v17, 0xffff0000, v17
	v_and_b32_e32 v24, 0xffff0000, v16
	s_waitcnt vmcnt(2)
	v_and_b32_e32 v21, 0xffff0000, v18
	v_lshlrev_b32_e32 v22, 16, v18
	v_alignbit_b32 v18, v19, v18, 16
	v_and_b32_e32 v19, 0xffff0000, v19
	v_add_f32_e32 v16, v15, v21
	v_add_f32_e32 v15, v17, v19
	v_bfe_u32 v21, v15, 16, 1
	v_add_f32_e32 v20, v20, v22
	v_and_b32_e32 v18, 0xffff0000, v18
	v_bfe_u32 v19, v16, 16, 1
	v_add3_u32 v21, v15, v21, s21
	v_add_f32_e32 v17, v24, v18
	v_bfe_u32 v18, v20, 16, 1
	v_add3_u32 v19, v16, v19, s21
	v_and_b32_e32 v21, 0xffff0000, v21
	v_cmp_o_f32_e32 vcc, v15, v15
	v_mul_f32_e32 v22, v37, v20
	v_add3_u32 v18, v20, v18, s21
	v_bfe_u32 v24, v17, 16, 1
	v_and_b32_e32 v19, 0xffff0000, v19
	v_cndmask_b32_e32 v21, v13, v21, vcc
	v_cmp_o_f32_e32 vcc, v16, v16
	v_bfe_u32 v25, v22, 16, 1
	v_lshrrev_b32_e32 v18, 16, v18
	v_add3_u32 v24, v17, v24, s21
	v_cndmask_b32_e32 v19, v13, v19, vcc
	v_cmp_o_f32_e32 vcc, v20, v20
	v_add3_u32 v25, v22, v25, s21
	v_lshrrev_b32_e32 v24, 16, v24
	v_cndmask_b32_e32 v18, v14, v18, vcc
	v_cmp_o_f32_e32 vcc, v17, v17
	v_and_b32_e32 v20, 0xffff0000, v25
	v_cndmask_b32_e32 v24, v14, v24, vcc
	v_cmp_o_f32_e32 vcc, v22, v22
	s_waitcnt vmcnt(1)
	v_lshlrev_b32_e32 v23, 16, v4
	v_cndmask_b32_e32 v20, v13, v20, vcc
	v_mul_f32_e32 v20, v20, v23
	v_or_b32_e32 v18, v18, v19
	v_or3_b32 v19, 0, v24, v21
	v_bfe_u32 v21, v20, 16, 1
	v_add3_u32 v21, v20, v21, s21
	v_and_b32_e32 v21, 0xffff0000, v21
	v_cmp_o_f32_e32 vcc, v20, v20
	v_cndmask_b32_e32 v20, v13, v21, vcc
	s_waitcnt vmcnt(0)
	v_div_scale_f32 v21, s[6:7], v9, v9, v20
	v_rcp_f32_e32 v22, v21
	v_or3_b32 v18, v18, 0, 0
	global_store_dwordx2 v[6:7], v[18:19], off
	v_div_scale_f32 v6, vcc, v20, v9, v20
	v_fma_f32 v7, -v21, v22, 1.0
	v_fmac_f32_e32 v22, v7, v22
	v_mul_f32_e32 v7, v6, v22
	v_fma_f32 v18, -v21, v7, v6
	v_fmac_f32_e32 v7, v18, v22
	v_fma_f32 v6, -v21, v7, v6
	v_div_fmas_f32 v6, v6, v22, v7
	v_div_fixup_f32 v6, v6, v9, v20
	v_min_f32_e32 v6, 0x43e00000, v6
	v_max_f32_e32 v7, 0xc3e00000, v6
	v_and_b32_e32 v18, 0x7fffffff, v7
	v_cmp_gt_u32_e32 vcc, s22, v18
	v_mov_b32_e32 v6, 0x7f
	s_and_saveexec_b64 s[6:7], vcc
	s_cbranch_execz .LBB81_90
; %bb.85:                               ;   in Loop: Header=BB81_59 Depth=1
	v_cmp_lt_u32_e32 vcc, s23, v18
                                        ; implicit-def: $vgpr6
	s_and_saveexec_b64 s[8:9], vcc
	s_xor_b64 s[8:9], exec, s[8:9]
; %bb.86:                               ;   in Loop: Header=BB81_59 Depth=1
	v_bfe_u32 v6, v7, 20, 1
	v_add3_u32 v6, v7, v6, s24
	v_lshrrev_b32_e32 v6, 20, v6
; %bb.87:                               ;   in Loop: Header=BB81_59 Depth=1
	s_andn2_saveexec_b64 s[8:9], s[8:9]
; %bb.88:                               ;   in Loop: Header=BB81_59 Depth=1
	v_add_f32_e64 v6, |v7|, s25
; %bb.89:                               ;   in Loop: Header=BB81_59 Depth=1
	s_or_b64 exec, exec, s[8:9]
.LBB81_90:                              ;   in Loop: Header=BB81_59 Depth=1
	s_or_b64 exec, exec, s[6:7]
	v_mul_f32_e32 v16, v37, v16
	v_bfe_u32 v19, v16, 16, 1
	v_add3_u32 v19, v16, v19, s21
	v_and_b32_e32 v19, 0xffff0000, v19
	v_cmp_o_f32_e32 vcc, v16, v16
	v_and_b32_e32 v18, 0xffff0000, v4
	v_cndmask_b32_e32 v16, v13, v19, vcc
	v_mul_f32_e32 v16, v16, v18
	v_bfe_u32 v18, v16, 16, 1
	v_add3_u32 v18, v16, v18, s21
	v_and_b32_e32 v18, 0xffff0000, v18
	v_cmp_o_f32_e32 vcc, v16, v16
	v_cndmask_b32_e32 v16, v13, v18, vcc
	v_div_scale_f32 v18, s[6:7], v9, v9, v16
	v_rcp_f32_e32 v19, v18
	v_fma_f32 v20, -v18, v19, 1.0
	v_fmac_f32_e32 v19, v20, v19
	v_div_scale_f32 v20, vcc, v16, v9, v16
	v_mul_f32_e32 v21, v20, v19
	v_fma_f32 v22, -v18, v21, v20
	v_fmac_f32_e32 v21, v22, v19
	v_fma_f32 v18, -v18, v21, v20
	v_div_fmas_f32 v18, v18, v19, v21
	v_div_fixup_f32 v16, v18, v9, v16
	v_min_f32_e32 v16, 0x43e00000, v16
	v_max_f32_e32 v16, 0xc3e00000, v16
	v_and_b32_e32 v18, 0x7fffffff, v16
	v_cmp_gt_u32_e32 vcc, s22, v18
	s_and_saveexec_b64 s[6:7], vcc
	s_cbranch_execz .LBB81_96
; %bb.91:                               ;   in Loop: Header=BB81_59 Depth=1
	v_cmp_lt_u32_e32 vcc, s23, v18
                                        ; implicit-def: $vgpr8
	s_and_saveexec_b64 s[8:9], vcc
	s_xor_b64 s[8:9], exec, s[8:9]
; %bb.92:                               ;   in Loop: Header=BB81_59 Depth=1
	v_bfe_u32 v8, v16, 20, 1
	v_add3_u32 v8, v16, v8, s24
	v_lshrrev_b32_e32 v8, 20, v8
; %bb.93:                               ;   in Loop: Header=BB81_59 Depth=1
	s_andn2_saveexec_b64 s[8:9], s[8:9]
; %bb.94:                               ;   in Loop: Header=BB81_59 Depth=1
	v_add_f32_e64 v8, |v16|, s25
; %bb.95:                               ;   in Loop: Header=BB81_59 Depth=1
	s_or_b64 exec, exec, s[8:9]
.LBB81_96:                              ;   in Loop: Header=BB81_59 Depth=1
	s_or_b64 exec, exec, s[6:7]
	v_mul_f32_e32 v17, v37, v17
	v_bfe_u32 v18, v17, 16, 1
	v_add3_u32 v18, v17, v18, s21
	v_and_b32_e32 v18, 0xffff0000, v18
	v_cmp_o_f32_e32 vcc, v17, v17
	v_alignbit_b32 v4, v5, v4, 16
	v_cndmask_b32_e32 v17, v13, v18, vcc
	v_and_b32_e32 v4, 0xffff0000, v4
	v_mul_f32_e32 v4, v17, v4
	v_bfe_u32 v17, v4, 16, 1
	v_add3_u32 v17, v4, v17, s21
	v_and_b32_e32 v17, 0xffff0000, v17
	v_cmp_o_f32_e32 vcc, v4, v4
	v_cndmask_b32_e32 v4, v13, v17, vcc
	v_div_scale_f32 v17, s[6:7], v9, v9, v4
	v_rcp_f32_e32 v18, v17
	v_fma_f32 v19, -v17, v18, 1.0
	v_fmac_f32_e32 v18, v19, v18
	v_div_scale_f32 v19, vcc, v4, v9, v4
	v_mul_f32_e32 v20, v19, v18
	v_fma_f32 v21, -v17, v20, v19
	v_fmac_f32_e32 v20, v21, v18
	v_fma_f32 v17, -v17, v20, v19
	v_div_fmas_f32 v17, v17, v18, v20
	v_div_fixup_f32 v4, v17, v9, v4
	v_min_f32_e32 v4, 0x43e00000, v4
	v_max_f32_e32 v18, 0xc3e00000, v4
	v_and_b32_e32 v19, 0x7fffffff, v18
	v_cmp_gt_u32_e32 vcc, s22, v19
	v_mov_b32_e32 v17, 0x7f
	v_mov_b32_e32 v4, 0x7f
	s_and_saveexec_b64 s[6:7], vcc
	s_cbranch_execz .LBB81_102
; %bb.97:                               ;   in Loop: Header=BB81_59 Depth=1
	v_cmp_lt_u32_e32 vcc, s23, v19
                                        ; implicit-def: $vgpr4
	s_and_saveexec_b64 s[8:9], vcc
	s_xor_b64 s[8:9], exec, s[8:9]
; %bb.98:                               ;   in Loop: Header=BB81_59 Depth=1
	v_bfe_u32 v4, v18, 20, 1
	v_add3_u32 v4, v18, v4, s24
	v_lshrrev_b32_e32 v4, 20, v4
; %bb.99:                               ;   in Loop: Header=BB81_59 Depth=1
	s_andn2_saveexec_b64 s[8:9], s[8:9]
; %bb.100:                              ;   in Loop: Header=BB81_59 Depth=1
	v_add_f32_e64 v4, |v18|, s25
; %bb.101:                              ;   in Loop: Header=BB81_59 Depth=1
	s_or_b64 exec, exec, s[8:9]
.LBB81_102:                             ;   in Loop: Header=BB81_59 Depth=1
	s_or_b64 exec, exec, s[6:7]
	v_mul_f32_e32 v15, v37, v15
	v_bfe_u32 v19, v15, 16, 1
	v_add3_u32 v19, v15, v19, s21
	v_and_b32_e32 v19, 0xffff0000, v19
	v_cmp_o_f32_e32 vcc, v15, v15
	v_cndmask_b32_e32 v15, v13, v19, vcc
	v_and_b32_e32 v5, 0xffff0000, v5
	v_mul_f32_e32 v5, v15, v5
	v_bfe_u32 v15, v5, 16, 1
	v_add3_u32 v15, v5, v15, s21
	v_and_b32_e32 v15, 0xffff0000, v15
	v_cmp_o_f32_e32 vcc, v5, v5
	v_cndmask_b32_e32 v5, v13, v15, vcc
	v_div_scale_f32 v15, s[6:7], v9, v9, v5
	v_rcp_f32_e32 v19, v15
	v_fma_f32 v20, -v15, v19, 1.0
	v_fmac_f32_e32 v19, v20, v19
	v_div_scale_f32 v20, vcc, v5, v9, v5
	v_mul_f32_e32 v21, v20, v19
	v_fma_f32 v22, -v15, v21, v20
	v_fmac_f32_e32 v21, v22, v19
	v_fma_f32 v15, -v15, v21, v20
	v_div_fmas_f32 v15, v15, v19, v21
	v_div_fixup_f32 v5, v15, v9, v5
	v_min_f32_e32 v5, 0x43e00000, v5
	v_max_f32_e32 v5, 0xc3e00000, v5
	v_and_b32_e32 v9, 0x7fffffff, v5
	v_cmp_gt_u32_e32 vcc, s22, v9
	s_and_saveexec_b64 s[6:7], vcc
	s_cbranch_execz .LBB81_108
; %bb.103:                              ;   in Loop: Header=BB81_59 Depth=1
	v_cmp_lt_u32_e32 vcc, s23, v9
                                        ; implicit-def: $vgpr17
	s_and_saveexec_b64 s[8:9], vcc
	s_xor_b64 s[8:9], exec, s[8:9]
; %bb.104:                              ;   in Loop: Header=BB81_59 Depth=1
	v_bfe_u32 v9, v5, 20, 1
	v_add3_u32 v9, v5, v9, s24
	v_lshrrev_b32_e32 v17, 20, v9
; %bb.105:                              ;   in Loop: Header=BB81_59 Depth=1
	s_andn2_saveexec_b64 s[8:9], s[8:9]
; %bb.106:                              ;   in Loop: Header=BB81_59 Depth=1
	v_add_f32_e64 v17, |v5|, s25
; %bb.107:                              ;   in Loop: Header=BB81_59 Depth=1
	s_or_b64 exec, exec, s[8:9]
.LBB81_108:                             ;   in Loop: Header=BB81_59 Depth=1
	s_or_b64 exec, exec, s[6:7]
	v_and_b32_sdwa v9, v18, s26 dst_sel:DWORD dst_unused:UNUSED_PAD src0_sel:BYTE_3 src1_sel:DWORD
	v_lshlrev_b64 v[18:19], 2, v[2:3]
	v_mov_b32_e32 v3, s16
	v_add_co_u32_e32 v18, vcc, s11, v18
	v_and_or_b32 v4, v4, s27, v9
	v_and_b32_sdwa v15, v16, s26 dst_sel:DWORD dst_unused:UNUSED_PAD src0_sel:BYTE_3 src1_sel:DWORD
	v_addc_co_u32_e32 v19, vcc, v3, v19, vcc
	v_lshlrev_b32_e32 v3, 24, v17
	v_and_b32_e32 v5, 0x80000000, v5
	v_lshlrev_b32_e32 v4, 16, v4
	v_lshrrev_b32_e32 v7, 24, v7
	v_or3_b32 v3, v5, v3, v4
	v_and_or_b32 v4, v8, s27, v15
	v_and_b32_e32 v5, 0xff, v6
	v_lshlrev_b32_e32 v4, 8, v4
	v_and_or_b32 v5, v7, s26, v5
	v_or3_b32 v3, v3, v4, v5
	v_add_u32_e32 v4, s20, v0
	v_cmp_gt_u32_e32 vcc, s10, v4
	s_mov_b64 s[8:9], -1
	global_store_dword v[18:19], v3, off
	s_and_saveexec_b64 s[6:7], vcc
	s_cbranch_execz .LBB81_57
; %bb.109:                              ;   in Loop: Header=BB81_59 Depth=1
	v_mov_b32_e32 v5, v1
	v_lshlrev_b64 v[6:7], 3, v[4:5]
	v_mov_b32_e32 v3, s46
	v_add_co_u32_e32 v8, vcc, s33, v6
	v_addc_co_u32_e32 v9, vcc, v3, v7, vcc
	global_load_dwordx2 v[16:17], v[8:9], off
	v_mov_b32_e32 v9, s48
	v_add_co_u32_e32 v8, vcc, s47, v6
	v_addc_co_u32_e32 v9, vcc, v9, v7, vcc
	global_load_dwordx2 v[18:19], v[8:9], off
	;; [unrolled: 4-line block ×3, first 2 shown]
	v_lshrrev_b32_e32 v3, 2, v4
	v_and_b32_e32 v3, 0xffffffc, v3
	global_load_dword v15, v3, s[0:1]
	v_mov_b32_e32 v3, 0x7f
	s_waitcnt vmcnt(3)
	v_and_b32_e32 v20, 0xffff0000, v16
	v_lshlrev_b32_e32 v21, 16, v16
	v_alignbit_b32 v16, v17, v16, 16
	v_and_b32_e32 v22, 0xffff0000, v17
	v_and_b32_e32 v25, 0xffff0000, v16
	s_waitcnt vmcnt(2)
	v_and_b32_e32 v17, 0xffff0000, v18
	v_lshlrev_b32_e32 v23, 16, v18
	v_alignbit_b32 v18, v19, v18, 16
	v_and_b32_e32 v19, 0xffff0000, v19
	v_add_f32_e32 v16, v22, v19
	v_add_f32_e32 v17, v20, v17
	v_bfe_u32 v22, v16, 16, 1
	v_add_f32_e32 v21, v21, v23
	v_and_b32_e32 v18, 0xffff0000, v18
	v_bfe_u32 v20, v17, 16, 1
	v_add3_u32 v22, v16, v22, s21
	v_add_f32_e32 v18, v25, v18
	v_bfe_u32 v19, v21, 16, 1
	v_add3_u32 v20, v17, v20, s21
	v_and_b32_e32 v22, 0xffff0000, v22
	v_cmp_o_f32_e32 vcc, v16, v16
	v_mul_f32_e32 v23, v37, v21
	v_add3_u32 v19, v21, v19, s21
	v_bfe_u32 v25, v18, 16, 1
	v_and_b32_e32 v20, 0xffff0000, v20
	v_cndmask_b32_e32 v22, v13, v22, vcc
	v_cmp_o_f32_e32 vcc, v17, v17
	v_bfe_u32 v26, v23, 16, 1
	v_lshrrev_b32_e32 v19, 16, v19
	v_add3_u32 v25, v18, v25, s21
	v_cndmask_b32_e32 v20, v13, v20, vcc
	v_cmp_o_f32_e32 vcc, v21, v21
	v_add3_u32 v26, v23, v26, s21
	v_lshrrev_b32_e32 v25, 16, v25
	v_cndmask_b32_e32 v19, v14, v19, vcc
	v_cmp_o_f32_e32 vcc, v18, v18
	v_and_b32_e32 v21, 0xffff0000, v26
	v_cndmask_b32_e32 v25, v14, v25, vcc
	v_cmp_o_f32_e32 vcc, v23, v23
	s_waitcnt vmcnt(1)
	v_lshlrev_b32_e32 v24, 16, v6
	v_or_b32_e32 v19, v19, v20
	v_cndmask_b32_e32 v23, v13, v21, vcc
	v_or3_b32 v20, v19, 0, 0
	v_mul_f32_e32 v19, v23, v24
	v_or3_b32 v21, 0, v25, v22
	v_bfe_u32 v22, v19, 16, 1
	v_add3_u32 v22, v19, v22, s21
	v_and_b32_e32 v22, 0xffff0000, v22
	v_cmp_o_f32_e32 vcc, v19, v19
	v_cndmask_b32_e32 v19, v13, v22, vcc
	s_waitcnt vmcnt(0)
	v_div_scale_f32 v22, s[8:9], v15, v15, v19
	v_rcp_f32_e32 v23, v22
	global_store_dwordx2 v[8:9], v[20:21], off
	v_div_scale_f32 v8, vcc, v19, v15, v19
	v_fma_f32 v9, -v22, v23, 1.0
	v_fmac_f32_e32 v23, v9, v23
	v_mul_f32_e32 v9, v8, v23
	v_fma_f32 v20, -v22, v9, v8
	v_fmac_f32_e32 v9, v20, v23
	v_fma_f32 v8, -v22, v9, v8
	v_div_fmas_f32 v8, v8, v23, v9
	v_div_fixup_f32 v8, v8, v15, v19
	v_min_f32_e32 v8, 0x43e00000, v8
	v_max_f32_e32 v9, 0xc3e00000, v8
	v_and_b32_e32 v19, 0x7fffffff, v9
	v_cmp_gt_u32_e32 vcc, s22, v19
	v_mov_b32_e32 v8, 0x7f
	s_and_saveexec_b64 s[8:9], vcc
	s_cbranch_execz .LBB81_115
; %bb.110:                              ;   in Loop: Header=BB81_59 Depth=1
	v_cmp_lt_u32_e32 vcc, s23, v19
                                        ; implicit-def: $vgpr8
	s_and_saveexec_b64 s[12:13], vcc
	s_xor_b64 s[12:13], exec, s[12:13]
; %bb.111:                              ;   in Loop: Header=BB81_59 Depth=1
	v_bfe_u32 v8, v9, 20, 1
	v_add3_u32 v8, v9, v8, s24
	v_lshrrev_b32_e32 v8, 20, v8
; %bb.112:                              ;   in Loop: Header=BB81_59 Depth=1
	s_andn2_saveexec_b64 s[12:13], s[12:13]
; %bb.113:                              ;   in Loop: Header=BB81_59 Depth=1
	v_add_f32_e64 v8, |v9|, s25
; %bb.114:                              ;   in Loop: Header=BB81_59 Depth=1
	s_or_b64 exec, exec, s[12:13]
.LBB81_115:                             ;   in Loop: Header=BB81_59 Depth=1
	s_or_b64 exec, exec, s[8:9]
	v_mul_f32_e32 v17, v37, v17
	v_bfe_u32 v20, v17, 16, 1
	v_add3_u32 v20, v17, v20, s21
	v_and_b32_e32 v20, 0xffff0000, v20
	v_cmp_o_f32_e32 vcc, v17, v17
	v_and_b32_e32 v19, 0xffff0000, v6
	v_cndmask_b32_e32 v17, v13, v20, vcc
	v_mul_f32_e32 v17, v17, v19
	v_bfe_u32 v19, v17, 16, 1
	v_add3_u32 v19, v17, v19, s21
	v_and_b32_e32 v19, 0xffff0000, v19
	v_cmp_o_f32_e32 vcc, v17, v17
	v_cndmask_b32_e32 v17, v13, v19, vcc
	v_div_scale_f32 v19, s[8:9], v15, v15, v17
	v_rcp_f32_e32 v20, v19
	v_fma_f32 v21, -v19, v20, 1.0
	v_fmac_f32_e32 v20, v21, v20
	v_div_scale_f32 v21, vcc, v17, v15, v17
	v_mul_f32_e32 v22, v21, v20
	v_fma_f32 v23, -v19, v22, v21
	v_fmac_f32_e32 v22, v23, v20
	v_fma_f32 v19, -v19, v22, v21
	v_div_fmas_f32 v19, v19, v20, v22
	v_div_fixup_f32 v17, v19, v15, v17
	v_min_f32_e32 v17, 0x43e00000, v17
	v_max_f32_e32 v17, 0xc3e00000, v17
	v_and_b32_e32 v19, 0x7fffffff, v17
	v_cmp_gt_u32_e32 vcc, s22, v19
	s_and_saveexec_b64 s[8:9], vcc
	s_cbranch_execz .LBB81_121
; %bb.116:                              ;   in Loop: Header=BB81_59 Depth=1
	v_cmp_lt_u32_e32 vcc, s23, v19
                                        ; implicit-def: $vgpr3
	s_and_saveexec_b64 s[12:13], vcc
	s_xor_b64 s[12:13], exec, s[12:13]
; %bb.117:                              ;   in Loop: Header=BB81_59 Depth=1
	v_bfe_u32 v3, v17, 20, 1
	v_add3_u32 v3, v17, v3, s24
	v_lshrrev_b32_e32 v3, 20, v3
; %bb.118:                              ;   in Loop: Header=BB81_59 Depth=1
	s_andn2_saveexec_b64 s[12:13], s[12:13]
; %bb.119:                              ;   in Loop: Header=BB81_59 Depth=1
	v_add_f32_e64 v3, |v17|, s25
; %bb.120:                              ;   in Loop: Header=BB81_59 Depth=1
	s_or_b64 exec, exec, s[12:13]
.LBB81_121:                             ;   in Loop: Header=BB81_59 Depth=1
	s_or_b64 exec, exec, s[8:9]
	v_mul_f32_e32 v18, v37, v18
	v_bfe_u32 v19, v18, 16, 1
	v_add3_u32 v19, v18, v19, s21
	v_and_b32_e32 v19, 0xffff0000, v19
	v_cmp_o_f32_e32 vcc, v18, v18
	v_alignbit_b32 v6, v7, v6, 16
	v_cndmask_b32_e32 v18, v13, v19, vcc
	v_and_b32_e32 v6, 0xffff0000, v6
	v_mul_f32_e32 v6, v18, v6
	v_bfe_u32 v18, v6, 16, 1
	v_add3_u32 v18, v6, v18, s21
	v_and_b32_e32 v18, 0xffff0000, v18
	v_cmp_o_f32_e32 vcc, v6, v6
	v_cndmask_b32_e32 v6, v13, v18, vcc
	v_div_scale_f32 v18, s[8:9], v15, v15, v6
	v_rcp_f32_e32 v19, v18
	v_fma_f32 v20, -v18, v19, 1.0
	v_fmac_f32_e32 v19, v20, v19
	v_div_scale_f32 v20, vcc, v6, v15, v6
	v_mul_f32_e32 v21, v20, v19
	v_fma_f32 v22, -v18, v21, v20
	v_fmac_f32_e32 v21, v22, v19
	v_fma_f32 v18, -v18, v21, v20
	v_div_fmas_f32 v18, v18, v19, v21
	v_div_fixup_f32 v6, v18, v15, v6
	v_min_f32_e32 v6, 0x43e00000, v6
	v_max_f32_e32 v19, 0xc3e00000, v6
	v_and_b32_e32 v20, 0x7fffffff, v19
	v_cmp_gt_u32_e32 vcc, s22, v20
	v_mov_b32_e32 v18, 0x7f
	v_mov_b32_e32 v6, 0x7f
	s_and_saveexec_b64 s[8:9], vcc
	s_cbranch_execz .LBB81_127
; %bb.122:                              ;   in Loop: Header=BB81_59 Depth=1
	v_cmp_lt_u32_e32 vcc, s23, v20
                                        ; implicit-def: $vgpr6
	s_and_saveexec_b64 s[12:13], vcc
	s_xor_b64 s[12:13], exec, s[12:13]
; %bb.123:                              ;   in Loop: Header=BB81_59 Depth=1
	v_bfe_u32 v6, v19, 20, 1
	v_add3_u32 v6, v19, v6, s24
	v_lshrrev_b32_e32 v6, 20, v6
; %bb.124:                              ;   in Loop: Header=BB81_59 Depth=1
	s_andn2_saveexec_b64 s[12:13], s[12:13]
; %bb.125:                              ;   in Loop: Header=BB81_59 Depth=1
	v_add_f32_e64 v6, |v19|, s25
; %bb.126:                              ;   in Loop: Header=BB81_59 Depth=1
	s_or_b64 exec, exec, s[12:13]
.LBB81_127:                             ;   in Loop: Header=BB81_59 Depth=1
	s_or_b64 exec, exec, s[8:9]
	v_mul_f32_e32 v16, v37, v16
	v_bfe_u32 v20, v16, 16, 1
	v_add3_u32 v20, v16, v20, s21
	v_and_b32_e32 v20, 0xffff0000, v20
	v_cmp_o_f32_e32 vcc, v16, v16
	v_cndmask_b32_e32 v16, v13, v20, vcc
	v_and_b32_e32 v7, 0xffff0000, v7
	v_mul_f32_e32 v7, v16, v7
	v_bfe_u32 v16, v7, 16, 1
	v_add3_u32 v16, v7, v16, s21
	v_and_b32_e32 v16, 0xffff0000, v16
	v_cmp_o_f32_e32 vcc, v7, v7
	v_cndmask_b32_e32 v7, v13, v16, vcc
	v_div_scale_f32 v16, s[8:9], v15, v15, v7
	v_rcp_f32_e32 v20, v16
	v_fma_f32 v21, -v16, v20, 1.0
	v_fmac_f32_e32 v20, v21, v20
	v_div_scale_f32 v21, vcc, v7, v15, v7
	v_mul_f32_e32 v22, v21, v20
	v_fma_f32 v23, -v16, v22, v21
	v_fmac_f32_e32 v22, v23, v20
	v_fma_f32 v16, -v16, v22, v21
	v_div_fmas_f32 v16, v16, v20, v22
	v_div_fixup_f32 v7, v16, v15, v7
	v_min_f32_e32 v7, 0x43e00000, v7
	v_max_f32_e32 v7, 0xc3e00000, v7
	v_and_b32_e32 v15, 0x7fffffff, v7
	v_cmp_gt_u32_e32 vcc, s22, v15
	s_and_saveexec_b64 s[8:9], vcc
	s_cbranch_execz .LBB81_133
; %bb.128:                              ;   in Loop: Header=BB81_59 Depth=1
	v_cmp_lt_u32_e32 vcc, s23, v15
                                        ; implicit-def: $vgpr18
	s_and_saveexec_b64 s[12:13], vcc
	s_xor_b64 s[12:13], exec, s[12:13]
; %bb.129:                              ;   in Loop: Header=BB81_59 Depth=1
	v_bfe_u32 v15, v7, 20, 1
	v_add3_u32 v15, v7, v15, s24
	v_lshrrev_b32_e32 v18, 20, v15
; %bb.130:                              ;   in Loop: Header=BB81_59 Depth=1
	s_andn2_saveexec_b64 s[12:13], s[12:13]
; %bb.131:                              ;   in Loop: Header=BB81_59 Depth=1
	v_add_f32_e64 v18, |v7|, s25
; %bb.132:                              ;   in Loop: Header=BB81_59 Depth=1
	s_or_b64 exec, exec, s[12:13]
.LBB81_133:                             ;   in Loop: Header=BB81_59 Depth=1
	s_or_b64 exec, exec, s[8:9]
	v_and_b32_sdwa v15, v19, s26 dst_sel:DWORD dst_unused:UNUSED_PAD src0_sel:BYTE_3 src1_sel:DWORD
	v_lshlrev_b64 v[4:5], 2, v[4:5]
	v_and_b32_sdwa v16, v17, s26 dst_sel:DWORD dst_unused:UNUSED_PAD src0_sel:BYTE_3 src1_sel:DWORD
	v_mov_b32_e32 v17, s16
	v_add_co_u32_e32 v4, vcc, s11, v4
	v_and_or_b32 v6, v6, s27, v15
	v_addc_co_u32_e32 v5, vcc, v17, v5, vcc
	v_lshlrev_b32_e32 v17, 24, v18
	v_and_b32_e32 v7, 0x80000000, v7
	v_lshlrev_b32_e32 v6, 16, v6
	v_lshrrev_b32_e32 v9, 24, v9
	v_or3_b32 v6, v7, v17, v6
	v_and_or_b32 v3, v3, s27, v16
	v_and_b32_e32 v7, 0xff, v8
	v_lshlrev_b32_e32 v3, 8, v3
	v_and_or_b32 v7, v9, s26, v7
	v_add_u32_e32 v0, s17, v0
	v_or3_b32 v3, v6, v3, v7
	v_cmp_gt_u32_e32 vcc, s10, v0
	s_mov_b64 s[12:13], -1
	global_store_dword v[4:5], v3, off
	s_and_saveexec_b64 s[8:9], vcc
	s_cbranch_execz .LBB81_56
; %bb.134:                              ;   in Loop: Header=BB81_59 Depth=1
	v_lshlrev_b64 v[4:5], 3, v[0:1]
	v_mov_b32_e32 v3, s46
	v_add_co_u32_e32 v6, vcc, s33, v4
	v_addc_co_u32_e32 v7, vcc, v3, v5, vcc
	global_load_dwordx2 v[16:17], v[6:7], off
	v_mov_b32_e32 v7, s48
	v_add_co_u32_e32 v6, vcc, s47, v4
	v_addc_co_u32_e32 v7, vcc, v7, v5, vcc
	global_load_dwordx2 v[18:19], v[6:7], off
	;; [unrolled: 4-line block ×3, first 2 shown]
	v_lshrrev_b32_e32 v3, 2, v0
	v_and_b32_e32 v3, 0xffffffc, v3
	global_load_dword v8, v3, s[0:1]
	v_mov_b32_e32 v3, 0x7f
	s_waitcnt vmcnt(3)
	v_and_b32_e32 v9, 0xffff0000, v16
	v_lshlrev_b32_e32 v15, 16, v16
	v_alignbit_b32 v16, v17, v16, 16
	v_and_b32_e32 v17, 0xffff0000, v17
	v_and_b32_e32 v16, 0xffff0000, v16
	s_waitcnt vmcnt(2)
	v_and_b32_e32 v20, 0xffff0000, v18
	v_lshlrev_b32_e32 v21, 16, v18
	v_alignbit_b32 v18, v19, v18, 16
	v_and_b32_e32 v19, 0xffff0000, v19
	v_add_f32_e32 v21, v15, v21
	v_add_f32_e32 v15, v9, v20
	;; [unrolled: 1-line block ×3, first 2 shown]
	v_and_b32_e32 v18, 0xffff0000, v18
	v_bfe_u32 v19, v9, 16, 1
	v_add_f32_e32 v16, v16, v18
	v_bfe_u32 v18, v15, 16, 1
	v_add3_u32 v19, v9, v19, s21
	v_bfe_u32 v17, v21, 16, 1
	v_add3_u32 v18, v15, v18, s21
	v_and_b32_e32 v19, 0xffff0000, v19
	v_cmp_o_f32_e32 vcc, v9, v9
	v_mul_f32_e32 v20, v37, v21
	v_add3_u32 v17, v21, v17, s21
	v_bfe_u32 v23, v16, 16, 1
	v_and_b32_e32 v18, 0xffff0000, v18
	v_cndmask_b32_e32 v19, v13, v19, vcc
	v_cmp_o_f32_e32 vcc, v15, v15
	v_bfe_u32 v24, v20, 16, 1
	v_lshrrev_b32_e32 v17, 16, v17
	v_add3_u32 v23, v16, v23, s21
	v_cndmask_b32_e32 v18, v13, v18, vcc
	v_cmp_o_f32_e32 vcc, v21, v21
	v_add3_u32 v24, v20, v24, s21
	v_lshrrev_b32_e32 v23, 16, v23
	v_cndmask_b32_e32 v17, v14, v17, vcc
	v_cmp_o_f32_e32 vcc, v16, v16
	v_and_b32_e32 v21, 0xffff0000, v24
	v_cndmask_b32_e32 v23, v14, v23, vcc
	v_cmp_o_f32_e32 vcc, v20, v20
	s_waitcnt vmcnt(1)
	v_lshlrev_b32_e32 v22, 16, v4
	v_or_b32_e32 v17, v17, v18
	v_cndmask_b32_e32 v20, v13, v21, vcc
	v_or3_b32 v18, v17, 0, 0
	v_mul_f32_e32 v17, v20, v22
	v_bfe_u32 v20, v17, 16, 1
	v_add3_u32 v20, v17, v20, s21
	v_and_b32_e32 v20, 0xffff0000, v20
	v_cmp_o_f32_e32 vcc, v17, v17
	v_cndmask_b32_e32 v17, v13, v20, vcc
	s_waitcnt vmcnt(0)
	v_div_scale_f32 v20, s[12:13], v8, v8, v17
	v_rcp_f32_e32 v21, v20
	v_or3_b32 v19, 0, v23, v19
	global_store_dwordx2 v[6:7], v[18:19], off
	v_div_scale_f32 v6, vcc, v17, v8, v17
	v_fma_f32 v7, -v20, v21, 1.0
	v_fmac_f32_e32 v21, v7, v21
	v_mul_f32_e32 v7, v6, v21
	v_fma_f32 v18, -v20, v7, v6
	v_fmac_f32_e32 v7, v18, v21
	v_fma_f32 v6, -v20, v7, v6
	v_div_fmas_f32 v6, v6, v21, v7
	v_div_fixup_f32 v6, v6, v8, v17
	v_min_f32_e32 v6, 0x43e00000, v6
	v_max_f32_e32 v7, 0xc3e00000, v6
	v_and_b32_e32 v17, 0x7fffffff, v7
	v_cmp_gt_u32_e32 vcc, s22, v17
	v_mov_b32_e32 v6, 0x7f
	s_and_saveexec_b64 s[12:13], vcc
	s_cbranch_execz .LBB81_140
; %bb.135:                              ;   in Loop: Header=BB81_59 Depth=1
	v_cmp_lt_u32_e32 vcc, s23, v17
                                        ; implicit-def: $vgpr6
	s_and_saveexec_b64 s[14:15], vcc
	s_xor_b64 s[14:15], exec, s[14:15]
; %bb.136:                              ;   in Loop: Header=BB81_59 Depth=1
	v_bfe_u32 v6, v7, 20, 1
	v_add3_u32 v6, v7, v6, s24
	v_lshrrev_b32_e32 v6, 20, v6
; %bb.137:                              ;   in Loop: Header=BB81_59 Depth=1
	s_andn2_saveexec_b64 s[14:15], s[14:15]
; %bb.138:                              ;   in Loop: Header=BB81_59 Depth=1
	v_add_f32_e64 v6, |v7|, s25
; %bb.139:                              ;   in Loop: Header=BB81_59 Depth=1
	s_or_b64 exec, exec, s[14:15]
.LBB81_140:                             ;   in Loop: Header=BB81_59 Depth=1
	s_or_b64 exec, exec, s[12:13]
	v_mul_f32_e32 v15, v37, v15
	v_bfe_u32 v18, v15, 16, 1
	v_add3_u32 v18, v15, v18, s21
	v_and_b32_e32 v18, 0xffff0000, v18
	v_cmp_o_f32_e32 vcc, v15, v15
	v_and_b32_e32 v17, 0xffff0000, v4
	v_cndmask_b32_e32 v15, v13, v18, vcc
	v_mul_f32_e32 v15, v15, v17
	v_bfe_u32 v17, v15, 16, 1
	v_add3_u32 v17, v15, v17, s21
	v_and_b32_e32 v17, 0xffff0000, v17
	v_cmp_o_f32_e32 vcc, v15, v15
	v_cndmask_b32_e32 v15, v13, v17, vcc
	v_div_scale_f32 v17, s[12:13], v8, v8, v15
	v_rcp_f32_e32 v18, v17
	v_fma_f32 v19, -v17, v18, 1.0
	v_fmac_f32_e32 v18, v19, v18
	v_div_scale_f32 v19, vcc, v15, v8, v15
	v_mul_f32_e32 v20, v19, v18
	v_fma_f32 v21, -v17, v20, v19
	v_fmac_f32_e32 v20, v21, v18
	v_fma_f32 v17, -v17, v20, v19
	v_div_fmas_f32 v17, v17, v18, v20
	v_div_fixup_f32 v15, v17, v8, v15
	v_min_f32_e32 v15, 0x43e00000, v15
	v_max_f32_e32 v15, 0xc3e00000, v15
	v_and_b32_e32 v17, 0x7fffffff, v15
	v_cmp_gt_u32_e32 vcc, s22, v17
	s_and_saveexec_b64 s[12:13], vcc
	s_cbranch_execz .LBB81_146
; %bb.141:                              ;   in Loop: Header=BB81_59 Depth=1
	v_cmp_lt_u32_e32 vcc, s23, v17
                                        ; implicit-def: $vgpr3
	s_and_saveexec_b64 s[14:15], vcc
	s_xor_b64 s[14:15], exec, s[14:15]
; %bb.142:                              ;   in Loop: Header=BB81_59 Depth=1
	v_bfe_u32 v3, v15, 20, 1
	v_add3_u32 v3, v15, v3, s24
	v_lshrrev_b32_e32 v3, 20, v3
; %bb.143:                              ;   in Loop: Header=BB81_59 Depth=1
	s_andn2_saveexec_b64 s[14:15], s[14:15]
; %bb.144:                              ;   in Loop: Header=BB81_59 Depth=1
	v_add_f32_e64 v3, |v15|, s25
; %bb.145:                              ;   in Loop: Header=BB81_59 Depth=1
	s_or_b64 exec, exec, s[14:15]
.LBB81_146:                             ;   in Loop: Header=BB81_59 Depth=1
	s_or_b64 exec, exec, s[12:13]
	v_mul_f32_e32 v16, v37, v16
	v_bfe_u32 v17, v16, 16, 1
	v_add3_u32 v17, v16, v17, s21
	v_and_b32_e32 v17, 0xffff0000, v17
	v_cmp_o_f32_e32 vcc, v16, v16
	v_alignbit_b32 v4, v5, v4, 16
	v_cndmask_b32_e32 v16, v13, v17, vcc
	v_and_b32_e32 v4, 0xffff0000, v4
	v_mul_f32_e32 v4, v16, v4
	v_bfe_u32 v16, v4, 16, 1
	v_add3_u32 v16, v4, v16, s21
	v_and_b32_e32 v16, 0xffff0000, v16
	v_cmp_o_f32_e32 vcc, v4, v4
	v_cndmask_b32_e32 v4, v13, v16, vcc
	v_div_scale_f32 v16, s[12:13], v8, v8, v4
	v_rcp_f32_e32 v17, v16
	v_fma_f32 v18, -v16, v17, 1.0
	v_fmac_f32_e32 v17, v18, v17
	v_div_scale_f32 v18, vcc, v4, v8, v4
	v_mul_f32_e32 v19, v18, v17
	v_fma_f32 v20, -v16, v19, v18
	v_fmac_f32_e32 v19, v20, v17
	v_fma_f32 v16, -v16, v19, v18
	v_div_fmas_f32 v16, v16, v17, v19
	v_div_fixup_f32 v4, v16, v8, v4
	v_min_f32_e32 v4, 0x43e00000, v4
	v_max_f32_e32 v17, 0xc3e00000, v4
	v_and_b32_e32 v18, 0x7fffffff, v17
	v_cmp_gt_u32_e32 vcc, s22, v18
	v_mov_b32_e32 v16, 0x7f
	v_mov_b32_e32 v4, 0x7f
	s_and_saveexec_b64 s[12:13], vcc
	s_cbranch_execz .LBB81_152
; %bb.147:                              ;   in Loop: Header=BB81_59 Depth=1
	v_cmp_lt_u32_e32 vcc, s23, v18
                                        ; implicit-def: $vgpr4
	s_and_saveexec_b64 s[14:15], vcc
	s_xor_b64 s[14:15], exec, s[14:15]
; %bb.148:                              ;   in Loop: Header=BB81_59 Depth=1
	v_bfe_u32 v4, v17, 20, 1
	v_add3_u32 v4, v17, v4, s24
	v_lshrrev_b32_e32 v4, 20, v4
; %bb.149:                              ;   in Loop: Header=BB81_59 Depth=1
	s_andn2_saveexec_b64 s[14:15], s[14:15]
; %bb.150:                              ;   in Loop: Header=BB81_59 Depth=1
	v_add_f32_e64 v4, |v17|, s25
; %bb.151:                              ;   in Loop: Header=BB81_59 Depth=1
	s_or_b64 exec, exec, s[14:15]
.LBB81_152:                             ;   in Loop: Header=BB81_59 Depth=1
	s_or_b64 exec, exec, s[12:13]
	v_mul_f32_e32 v9, v37, v9
	v_bfe_u32 v18, v9, 16, 1
	v_add3_u32 v18, v9, v18, s21
	v_and_b32_e32 v18, 0xffff0000, v18
	v_cmp_o_f32_e32 vcc, v9, v9
	v_cndmask_b32_e32 v9, v13, v18, vcc
	v_and_b32_e32 v5, 0xffff0000, v5
	v_mul_f32_e32 v5, v9, v5
	v_bfe_u32 v9, v5, 16, 1
	v_add3_u32 v9, v5, v9, s21
	v_and_b32_e32 v9, 0xffff0000, v9
	v_cmp_o_f32_e32 vcc, v5, v5
	v_cndmask_b32_e32 v5, v13, v9, vcc
	v_div_scale_f32 v9, s[12:13], v8, v8, v5
	v_rcp_f32_e32 v18, v9
	v_fma_f32 v19, -v9, v18, 1.0
	v_fmac_f32_e32 v18, v19, v18
	v_div_scale_f32 v19, vcc, v5, v8, v5
	v_mul_f32_e32 v20, v19, v18
	v_fma_f32 v21, -v9, v20, v19
	v_fmac_f32_e32 v20, v21, v18
	v_fma_f32 v9, -v9, v20, v19
	v_div_fmas_f32 v9, v9, v18, v20
	v_div_fixup_f32 v5, v9, v8, v5
	v_min_f32_e32 v5, 0x43e00000, v5
	v_max_f32_e32 v5, 0xc3e00000, v5
	v_and_b32_e32 v8, 0x7fffffff, v5
	v_cmp_gt_u32_e32 vcc, s22, v8
	s_and_saveexec_b64 s[12:13], vcc
	s_cbranch_execz .LBB81_55
; %bb.153:                              ;   in Loop: Header=BB81_59 Depth=1
	v_cmp_lt_u32_e32 vcc, s23, v8
                                        ; implicit-def: $vgpr16
	s_and_saveexec_b64 s[14:15], vcc
	s_xor_b64 s[14:15], exec, s[14:15]
; %bb.154:                              ;   in Loop: Header=BB81_59 Depth=1
	v_bfe_u32 v8, v5, 20, 1
	v_add3_u32 v8, v5, v8, s24
	v_lshrrev_b32_e32 v16, 20, v8
; %bb.155:                              ;   in Loop: Header=BB81_59 Depth=1
	s_andn2_saveexec_b64 s[14:15], s[14:15]
	s_cbranch_execz .LBB81_54
; %bb.156:                              ;   in Loop: Header=BB81_59 Depth=1
	v_add_f32_e64 v16, |v5|, s25
	s_branch .LBB81_54
.LBB81_157:
	s_endpgm
	.section	.rodata,"a",@progbits
	.p2align	6, 0x0
	.amdhsa_kernel _ZN4vllm31rms_norm_per_block_quant_kernelIN3c108BFloat16ENS1_13Float8_e4m3fnELb1ELb0ELi64EEEvPT0_PfPKT_S9_PKffiiPS7_l
		.amdhsa_group_segment_fixed_size 4164
		.amdhsa_private_segment_fixed_size 0
		.amdhsa_kernarg_size 328
		.amdhsa_user_sgpr_count 6
		.amdhsa_user_sgpr_private_segment_buffer 1
		.amdhsa_user_sgpr_dispatch_ptr 0
		.amdhsa_user_sgpr_queue_ptr 0
		.amdhsa_user_sgpr_kernarg_segment_ptr 1
		.amdhsa_user_sgpr_dispatch_id 0
		.amdhsa_user_sgpr_flat_scratch_init 0
		.amdhsa_user_sgpr_kernarg_preload_length 0
		.amdhsa_user_sgpr_kernarg_preload_offset 0
		.amdhsa_user_sgpr_private_segment_size 0
		.amdhsa_uses_dynamic_stack 0
		.amdhsa_system_sgpr_private_segment_wavefront_offset 0
		.amdhsa_system_sgpr_workgroup_id_x 1
		.amdhsa_system_sgpr_workgroup_id_y 0
		.amdhsa_system_sgpr_workgroup_id_z 0
		.amdhsa_system_sgpr_workgroup_info 0
		.amdhsa_system_vgpr_workitem_id 0
		.amdhsa_next_free_vgpr 55
		.amdhsa_next_free_sgpr 49
		.amdhsa_accum_offset 56
		.amdhsa_reserve_vcc 1
		.amdhsa_reserve_flat_scratch 0
		.amdhsa_float_round_mode_32 0
		.amdhsa_float_round_mode_16_64 0
		.amdhsa_float_denorm_mode_32 3
		.amdhsa_float_denorm_mode_16_64 3
		.amdhsa_dx10_clamp 1
		.amdhsa_ieee_mode 1
		.amdhsa_fp16_overflow 0
		.amdhsa_tg_split 0
		.amdhsa_exception_fp_ieee_invalid_op 0
		.amdhsa_exception_fp_denorm_src 0
		.amdhsa_exception_fp_ieee_div_zero 0
		.amdhsa_exception_fp_ieee_overflow 0
		.amdhsa_exception_fp_ieee_underflow 0
		.amdhsa_exception_fp_ieee_inexact 0
		.amdhsa_exception_int_div_zero 0
	.end_amdhsa_kernel
	.section	.text._ZN4vllm31rms_norm_per_block_quant_kernelIN3c108BFloat16ENS1_13Float8_e4m3fnELb1ELb0ELi64EEEvPT0_PfPKT_S9_PKffiiPS7_l,"axG",@progbits,_ZN4vllm31rms_norm_per_block_quant_kernelIN3c108BFloat16ENS1_13Float8_e4m3fnELb1ELb0ELi64EEEvPT0_PfPKT_S9_PKffiiPS7_l,comdat
.Lfunc_end81:
	.size	_ZN4vllm31rms_norm_per_block_quant_kernelIN3c108BFloat16ENS1_13Float8_e4m3fnELb1ELb0ELi64EEEvPT0_PfPKT_S9_PKffiiPS7_l, .Lfunc_end81-_ZN4vllm31rms_norm_per_block_quant_kernelIN3c108BFloat16ENS1_13Float8_e4m3fnELb1ELb0ELi64EEEvPT0_PfPKT_S9_PKffiiPS7_l
                                        ; -- End function
	.section	.AMDGPU.csdata,"",@progbits
; Kernel info:
; codeLenInByte = 12300
; NumSgprs: 53
; NumVgprs: 55
; NumAgprs: 0
; TotalNumVgprs: 55
; ScratchSize: 0
; MemoryBound: 0
; FloatMode: 240
; IeeeMode: 1
; LDSByteSize: 4164 bytes/workgroup (compile time only)
; SGPRBlocks: 6
; VGPRBlocks: 6
; NumSGPRsForWavesPerEU: 53
; NumVGPRsForWavesPerEU: 55
; AccumOffset: 56
; Occupancy: 8
; WaveLimiterHint : 0
; COMPUTE_PGM_RSRC2:SCRATCH_EN: 0
; COMPUTE_PGM_RSRC2:USER_SGPR: 6
; COMPUTE_PGM_RSRC2:TRAP_HANDLER: 0
; COMPUTE_PGM_RSRC2:TGID_X_EN: 1
; COMPUTE_PGM_RSRC2:TGID_Y_EN: 0
; COMPUTE_PGM_RSRC2:TGID_Z_EN: 0
; COMPUTE_PGM_RSRC2:TIDIG_COMP_CNT: 0
; COMPUTE_PGM_RSRC3_GFX90A:ACCUM_OFFSET: 13
; COMPUTE_PGM_RSRC3_GFX90A:TG_SPLIT: 0
	.section	.text._ZN4vllm31rms_norm_per_block_quant_kernelIN3c108BFloat16ENS1_15Float8_e4m3fnuzELb1ELb0ELi64EEEvPT0_PfPKT_S9_PKffiiPS7_l,"axG",@progbits,_ZN4vllm31rms_norm_per_block_quant_kernelIN3c108BFloat16ENS1_15Float8_e4m3fnuzELb1ELb0ELi64EEEvPT0_PfPKT_S9_PKffiiPS7_l,comdat
	.protected	_ZN4vllm31rms_norm_per_block_quant_kernelIN3c108BFloat16ENS1_15Float8_e4m3fnuzELb1ELb0ELi64EEEvPT0_PfPKT_S9_PKffiiPS7_l ; -- Begin function _ZN4vllm31rms_norm_per_block_quant_kernelIN3c108BFloat16ENS1_15Float8_e4m3fnuzELb1ELb0ELi64EEEvPT0_PfPKT_S9_PKffiiPS7_l
	.globl	_ZN4vllm31rms_norm_per_block_quant_kernelIN3c108BFloat16ENS1_15Float8_e4m3fnuzELb1ELb0ELi64EEEvPT0_PfPKT_S9_PKffiiPS7_l
	.p2align	8
	.type	_ZN4vllm31rms_norm_per_block_quant_kernelIN3c108BFloat16ENS1_15Float8_e4m3fnuzELb1ELb0ELi64EEEvPT0_PfPKT_S9_PKffiiPS7_l,@function
_ZN4vllm31rms_norm_per_block_quant_kernelIN3c108BFloat16ENS1_15Float8_e4m3fnuzELb1ELb0ELi64EEEvPT0_PfPKT_S9_PKffiiPS7_l: ; @_ZN4vllm31rms_norm_per_block_quant_kernelIN3c108BFloat16ENS1_15Float8_e4m3fnuzELb1ELb0ELi64EEEvPT0_PfPKT_S9_PKffiiPS7_l
; %bb.0:
	s_load_dwordx4 s[8:11], s[4:5], 0x28
	s_load_dwordx8 s[12:19], s[4:5], 0x0
	s_load_dwordx2 s[34:35], s[4:5], 0x38
	v_mov_b32_e32 v1, 0
	s_waitcnt lgkmcnt(0)
	s_ashr_i32 s0, s10, 31
	s_mul_hi_u32 s1, s10, s6
	s_mul_i32 s0, s0, s6
	s_ashr_i32 s23, s9, 31
	s_add_i32 s1, s1, s0
	s_mul_i32 s0, s10, s6
	s_mul_hi_u32 s2, s9, s6
	s_mul_i32 s3, s23, s6
	s_add_i32 s21, s2, s3
	s_lshl_b64 s[30:31], s[0:1], 1
	s_mul_i32 s20, s9, s6
	s_add_u32 s33, s16, s30
	s_addc_u32 s46, s17, s31
	s_lshl_b64 s[36:37], s[20:21], 1
	s_add_u32 s47, s34, s36
	s_addc_u32 s48, s35, s37
	s_ashr_i32 s10, s9, 2
	s_add_u32 s2, s4, 0x48
	s_mov_b32 s22, s9
	v_cmp_gt_u32_e64 s[0:1], s10, v0
	s_addc_u32 s3, s5, 0
	s_and_saveexec_b64 s[24:25], s[0:1]
	s_cbranch_execz .LBB82_10
; %bb.1:
	s_load_dword s7, s[2:3], 0x0
	v_mov_b32_e32 v3, 0
	v_mov_b32_e32 v9, s46
	;; [unrolled: 1-line block ×4, first 2 shown]
	s_waitcnt lgkmcnt(0)
	s_cmp_lt_u32 s6, s7
	s_cselect_b32 s7, 12, 18
	s_add_u32 s26, s2, s7
	s_addc_u32 s27, s3, 0
	global_load_ushort v8, v3, s[26:27]
	s_mov_b64 s[26:27], 0
                                        ; implicit-def: $sgpr28_sgpr29
	s_waitcnt vmcnt(0)
	v_add_u32_e32 v1, v8, v8
	v_mul_lo_u32 v11, v8, 3
	v_lshlrev_b32_e32 v12, 1, v8
	v_add_u32_e32 v13, v1, v8
	v_mov_b32_e32 v1, v3
	s_branch .LBB82_5
.LBB82_2:                               ;   in Loop: Header=BB82_5 Depth=1
	s_or_b64 exec, exec, s[42:43]
	s_orn2_b64 s[42:43], s[44:45], exec
.LBB82_3:                               ;   in Loop: Header=BB82_5 Depth=1
	s_or_b64 exec, exec, s[40:41]
	s_andn2_b64 s[28:29], s[28:29], exec
	s_and_b64 s[40:41], s[42:43], exec
	s_or_b64 s[28:29], s[28:29], s[40:41]
.LBB82_4:                               ;   in Loop: Header=BB82_5 Depth=1
	s_or_b64 exec, exec, s[38:39]
	s_and_b64 s[38:39], exec, s[28:29]
	s_or_b64 s[26:27], s[38:39], s[26:27]
	s_andn2_b64 exec, exec, s[26:27]
	s_cbranch_execz .LBB82_9
.LBB82_5:                               ; =>This Inner Loop Header: Depth=1
	v_lshlrev_b64 v[4:5], 3, v[2:3]
	v_add_co_u32_e32 v6, vcc, s33, v4
	v_addc_co_u32_e32 v7, vcc, v9, v5, vcc
	v_add_co_u32_e32 v4, vcc, s47, v4
	v_addc_co_u32_e32 v5, vcc, v10, v5, vcc
	global_load_dwordx2 v[6:7], v[6:7], off
	s_or_b64 s[28:29], s[28:29], exec
	global_load_dwordx2 v[14:15], v[4:5], off
	v_add_u32_e32 v4, v2, v8
	v_cmp_gt_u32_e32 vcc, s10, v4
	s_waitcnt vmcnt(1)
	v_lshlrev_b32_e32 v16, 16, v6
	v_and_b32_e32 v5, 0xffff0000, v6
	s_waitcnt vmcnt(0)
	v_lshlrev_b32_e32 v18, 16, v14
	v_alignbit_b32 v6, v7, v6, 16
	v_and_b32_e32 v17, 0xffff0000, v14
	v_alignbit_b32 v14, v15, v14, 16
	v_add_f32_e32 v16, v16, v18
	v_and_b32_e32 v6, 0xffff0000, v6
	v_add_f32_e32 v5, v5, v17
	v_and_b32_e32 v14, 0xffff0000, v14
	v_fmac_f32_e32 v1, v16, v16
	v_and_b32_e32 v7, 0xffff0000, v7
	v_and_b32_e32 v15, 0xffff0000, v15
	v_add_f32_e32 v6, v6, v14
	v_fmac_f32_e32 v1, v5, v5
	v_add_f32_e32 v7, v7, v15
	v_fmac_f32_e32 v1, v6, v6
	v_fmac_f32_e32 v1, v7, v7
	s_and_saveexec_b64 s[38:39], vcc
	s_cbranch_execz .LBB82_4
; %bb.6:                                ;   in Loop: Header=BB82_5 Depth=1
	v_mov_b32_e32 v5, v3
	v_lshlrev_b64 v[6:7], 3, v[4:5]
	v_add_co_u32_e32 v14, vcc, s33, v6
	v_addc_co_u32_e32 v15, vcc, v9, v7, vcc
	v_add_co_u32_e32 v6, vcc, s47, v6
	v_addc_co_u32_e32 v7, vcc, v10, v7, vcc
	global_load_dwordx2 v[14:15], v[14:15], off
	s_mov_b64 s[42:43], -1
	global_load_dwordx2 v[16:17], v[6:7], off
	v_add_u32_e32 v6, v12, v2
	v_cmp_gt_u32_e32 vcc, s10, v6
	s_waitcnt vmcnt(1)
	v_lshlrev_b32_e32 v7, 16, v14
	v_and_b32_e32 v5, 0xffff0000, v14
	s_waitcnt vmcnt(0)
	v_lshlrev_b32_e32 v19, 16, v16
	v_alignbit_b32 v14, v15, v14, 16
	v_and_b32_e32 v18, 0xffff0000, v16
	v_alignbit_b32 v16, v17, v16, 16
	v_add_f32_e32 v7, v7, v19
	v_and_b32_e32 v14, 0xffff0000, v14
	v_add_f32_e32 v5, v5, v18
	v_and_b32_e32 v16, 0xffff0000, v16
	v_fmac_f32_e32 v1, v7, v7
	v_and_b32_e32 v15, 0xffff0000, v15
	v_and_b32_e32 v17, 0xffff0000, v17
	v_add_f32_e32 v14, v14, v16
	v_fmac_f32_e32 v1, v5, v5
	v_add_f32_e32 v15, v15, v17
	v_fmac_f32_e32 v1, v14, v14
	v_fmac_f32_e32 v1, v15, v15
	s_and_saveexec_b64 s[40:41], vcc
	s_cbranch_execz .LBB82_3
; %bb.7:                                ;   in Loop: Header=BB82_5 Depth=1
	v_mov_b32_e32 v7, v3
	v_lshlrev_b64 v[6:7], 3, v[6:7]
	v_add_co_u32_e32 v14, vcc, s33, v6
	v_addc_co_u32_e32 v15, vcc, v9, v7, vcc
	v_add_co_u32_e32 v6, vcc, s47, v6
	v_addc_co_u32_e32 v7, vcc, v10, v7, vcc
	global_load_dwordx2 v[14:15], v[14:15], off
	v_add_u32_e32 v2, v11, v2
	global_load_dwordx2 v[6:7], v[6:7], off
	v_cmp_gt_u32_e32 vcc, s10, v2
	s_mov_b64 s[44:45], -1
	s_waitcnt vmcnt(1)
	v_lshlrev_b32_e32 v16, 16, v14
	v_and_b32_e32 v5, 0xffff0000, v14
	s_waitcnt vmcnt(0)
	v_lshlrev_b32_e32 v18, 16, v6
	v_alignbit_b32 v14, v15, v14, 16
	v_and_b32_e32 v17, 0xffff0000, v6
	v_alignbit_b32 v6, v7, v6, 16
	v_add_f32_e32 v16, v16, v18
	v_and_b32_e32 v14, 0xffff0000, v14
	v_add_f32_e32 v5, v5, v17
	v_and_b32_e32 v6, 0xffff0000, v6
	v_fmac_f32_e32 v1, v16, v16
	v_and_b32_e32 v15, 0xffff0000, v15
	v_and_b32_e32 v7, 0xffff0000, v7
	v_add_f32_e32 v6, v14, v6
	v_fmac_f32_e32 v1, v5, v5
	v_add_f32_e32 v7, v15, v7
	v_fmac_f32_e32 v1, v6, v6
	v_fmac_f32_e32 v1, v7, v7
	s_and_saveexec_b64 s[42:43], vcc
	s_xor_b64 s[42:43], exec, s[42:43]
	s_cbranch_execz .LBB82_2
; %bb.8:                                ;   in Loop: Header=BB82_5 Depth=1
	v_lshlrev_b64 v[6:7], 3, v[2:3]
	v_mov_b32_e32 v2, s46
	v_add_co_u32_e32 v14, vcc, s33, v6
	v_addc_co_u32_e32 v15, vcc, v2, v7, vcc
	v_mov_b32_e32 v2, s48
	v_add_co_u32_e32 v6, vcc, s47, v6
	v_addc_co_u32_e32 v7, vcc, v2, v7, vcc
	global_load_dwordx2 v[14:15], v[14:15], off
	v_add_u32_e32 v2, v13, v4
	global_load_dwordx2 v[6:7], v[6:7], off
	v_cmp_le_u32_e32 vcc, s10, v2
	s_orn2_b64 s[44:45], vcc, exec
	s_waitcnt vmcnt(1)
	v_lshlrev_b32_e32 v5, 16, v14
	v_and_b32_e32 v4, 0xffff0000, v14
	s_waitcnt vmcnt(0)
	v_lshlrev_b32_e32 v17, 16, v6
	v_alignbit_b32 v14, v15, v14, 16
	v_and_b32_e32 v16, 0xffff0000, v6
	v_alignbit_b32 v6, v7, v6, 16
	v_add_f32_e32 v5, v5, v17
	v_and_b32_e32 v14, 0xffff0000, v14
	v_add_f32_e32 v4, v4, v16
	v_and_b32_e32 v6, 0xffff0000, v6
	v_fmac_f32_e32 v1, v5, v5
	v_and_b32_e32 v15, 0xffff0000, v15
	v_and_b32_e32 v7, 0xffff0000, v7
	v_add_f32_e32 v6, v14, v6
	v_fmac_f32_e32 v1, v4, v4
	v_add_f32_e32 v7, v15, v7
	v_fmac_f32_e32 v1, v6, v6
	v_fmac_f32_e32 v1, v7, v7
	s_branch .LBB82_2
.LBB82_9:
	s_or_b64 exec, exec, s[26:27]
.LBB82_10:
	s_or_b64 exec, exec, s[24:25]
	v_mbcnt_lo_u32_b32 v2, -1, 0
	v_mbcnt_hi_u32_b32 v2, -1, v2
	v_and_b32_e32 v3, 63, v2
	v_cmp_ne_u32_e32 vcc, 63, v3
	s_load_dword s2, s[2:3], 0xc
	v_addc_co_u32_e32 v4, vcc, 0, v2, vcc
	v_lshlrev_b32_e32 v4, 2, v4
	ds_bpermute_b32 v4, v4, v1
	s_waitcnt lgkmcnt(0)
	s_and_b32 s44, s2, 0xffff
	v_and_b32_e32 v5, 0x3c0, v0
	v_sub_u32_e64 v5, s44, v5 clamp
	v_add_u32_e32 v6, 1, v2
	v_add_f32_e32 v4, v1, v4
	v_cmp_lt_u32_e32 vcc, v6, v5
	v_cndmask_b32_e32 v1, v1, v4, vcc
	v_cmp_gt_u32_e32 vcc, 62, v3
	v_cndmask_b32_e64 v4, 0, 1, vcc
	v_lshlrev_b32_e32 v4, 1, v4
	v_add_lshl_u32 v4, v4, v2, 2
	ds_bpermute_b32 v4, v4, v1
	v_add_u32_e32 v6, 2, v2
	v_cmp_lt_u32_e32 vcc, v6, v5
	v_add_u32_e32 v6, 4, v2
	s_waitcnt lgkmcnt(0)
	v_add_f32_e32 v4, v1, v4
	v_cndmask_b32_e32 v1, v1, v4, vcc
	v_cmp_gt_u32_e32 vcc, 60, v3
	v_cndmask_b32_e64 v4, 0, 1, vcc
	v_lshlrev_b32_e32 v4, 2, v4
	v_add_lshl_u32 v4, v4, v2, 2
	ds_bpermute_b32 v4, v4, v1
	v_cmp_lt_u32_e32 vcc, v6, v5
	v_add_u32_e32 v6, 8, v2
	s_waitcnt lgkmcnt(0)
	v_add_f32_e32 v4, v1, v4
	v_cndmask_b32_e32 v1, v1, v4, vcc
	v_cmp_gt_u32_e32 vcc, 56, v3
	v_cndmask_b32_e64 v4, 0, 1, vcc
	v_lshlrev_b32_e32 v4, 3, v4
	v_add_lshl_u32 v4, v4, v2, 2
	ds_bpermute_b32 v4, v4, v1
	;; [unrolled: 10-line block ×3, first 2 shown]
	v_cmp_lt_u32_e32 vcc, v6, v5
	s_waitcnt lgkmcnt(0)
	v_add_f32_e32 v4, v1, v4
	v_cndmask_b32_e32 v1, v1, v4, vcc
	v_cmp_gt_u32_e32 vcc, 32, v3
	v_cndmask_b32_e64 v3, 0, 1, vcc
	v_lshlrev_b32_e32 v3, 5, v3
	v_add_lshl_u32 v3, v3, v2, 2
	ds_bpermute_b32 v3, v3, v1
	v_add_u32_e32 v4, 32, v2
	v_cmp_lt_u32_e32 vcc, v4, v5
	s_waitcnt lgkmcnt(0)
	v_add_f32_e32 v3, v1, v3
	v_cndmask_b32_e32 v1, v1, v3, vcc
	v_cmp_eq_u32_e32 vcc, 0, v2
	s_and_saveexec_b64 s[2:3], vcc
	s_cbranch_execz .LBB82_12
; %bb.11:
	v_lshrrev_b32_e32 v3, 4, v0
	v_and_b32_e32 v3, 60, v3
	ds_write_b32 v3, v1 offset:4096
.LBB82_12:
	s_or_b64 exec, exec, s[2:3]
	v_cmp_gt_u32_e32 vcc, 16, v0
	s_waitcnt lgkmcnt(0)
	s_barrier
	s_and_saveexec_b64 s[24:25], vcc
	s_cbranch_execz .LBB82_14
; %bb.13:
	v_lshlrev_b32_e32 v1, 2, v2
	ds_read_b32 v1, v1 offset:4096
	v_and_b32_e32 v3, 15, v2
	v_cmp_ne_u32_e32 vcc, 15, v3
	v_addc_co_u32_e32 v4, vcc, 0, v2, vcc
	v_lshlrev_b32_e32 v4, 2, v4
	s_waitcnt lgkmcnt(0)
	ds_bpermute_b32 v4, v4, v1
	s_add_i32 s2, s44, 63
	s_lshr_b32 s7, s2, 6
	v_add_u32_e32 v5, 1, v3
	v_cmp_gt_u32_e64 s[2:3], 14, v3
	v_cmp_gt_u32_e32 vcc, s7, v5
	v_cndmask_b32_e64 v5, 0, 1, s[2:3]
	s_waitcnt lgkmcnt(0)
	v_add_f32_e32 v4, v1, v4
	v_lshlrev_b32_e32 v5, 1, v5
	v_cndmask_b32_e32 v4, v1, v4, vcc
	v_add_lshl_u32 v5, v5, v2, 2
	ds_bpermute_b32 v5, v5, v4
	v_add_u32_e32 v6, 2, v3
	v_cmp_gt_u32_e64 s[2:3], s7, v6
	v_add_u32_e32 v6, 4, v3
	s_waitcnt lgkmcnt(0)
	v_add_f32_e32 v5, v4, v5
	v_cndmask_b32_e64 v4, v4, v5, s[2:3]
	v_cmp_gt_u32_e64 s[2:3], 12, v3
	v_cndmask_b32_e64 v5, 0, 1, s[2:3]
	v_lshlrev_b32_e32 v5, 2, v5
	v_add_lshl_u32 v5, v5, v2, 2
	ds_bpermute_b32 v5, v5, v4
	v_cmp_gt_u32_e64 s[2:3], s7, v6
	s_waitcnt lgkmcnt(0)
	v_add_f32_e32 v5, v4, v5
	v_cndmask_b32_e64 v4, v4, v5, s[2:3]
	v_cmp_gt_u32_e64 s[2:3], 8, v3
	v_cndmask_b32_e64 v5, 0, 1, s[2:3]
	v_lshlrev_b32_e32 v5, 3, v5
	v_add_lshl_u32 v2, v5, v2, 2
	ds_bpermute_b32 v2, v2, v4
	v_add_u32_e32 v3, 8, v3
	v_cmp_gt_u32_e64 s[2:3], s7, v3
	s_waitcnt lgkmcnt(0)
	v_add_f32_e32 v2, v4, v2
	v_cndmask_b32_e64 v2, v4, v2, s[2:3]
	v_cndmask_b32_e32 v1, v1, v2, vcc
.LBB82_14:
	s_or_b64 exec, exec, s[24:25]
	v_cmp_eq_u32_e32 vcc, 0, v0
	s_and_saveexec_b64 s[2:3], vcc
	s_cbranch_execz .LBB82_16
; %bb.15:
	v_cvt_f32_i32_e32 v2, s22
	s_mov_b32 s7, 0x800000
	v_div_scale_f32 v3, s[24:25], v2, v2, v1
	v_rcp_f32_e32 v4, v3
	v_div_scale_f32 v5, vcc, v1, v2, v1
	v_fma_f32 v6, -v3, v4, 1.0
	v_fmac_f32_e32 v4, v6, v4
	v_mul_f32_e32 v6, v5, v4
	v_fma_f32 v7, -v3, v6, v5
	v_fmac_f32_e32 v6, v7, v4
	v_fma_f32 v3, -v3, v6, v5
	v_div_fmas_f32 v3, v3, v4, v6
	v_div_fixup_f32 v1, v3, v2, v1
	v_add_f32_e32 v1, s8, v1
	v_mul_f32_e32 v2, 0x4b800000, v1
	v_cmp_gt_f32_e32 vcc, s7, v1
	v_cndmask_b32_e32 v1, v1, v2, vcc
	v_rsq_f32_e32 v1, v1
	v_mul_f32_e32 v2, 0x45800000, v1
	v_cndmask_b32_e32 v1, v1, v2, vcc
	v_mov_b32_e32 v2, 0
	ds_write_b32 v2, v1 offset:4160
.LBB82_16:
	s_or_b64 exec, exec, s[2:3]
	s_ashr_i32 s2, s22, 31
	s_lshr_b32 s2, s2, 26
	s_add_i32 s2, s22, s2
	s_ashr_i32 s24, s2, 6
	s_abs_i32 s3, s24
	v_cvt_f32_u32_e32 v1, s3
	s_sub_i32 s7, 0, s3
	s_ashr_i32 s2, s2, 31
	v_mov_b32_e32 v5, 0
	v_rcp_iflag_f32_e32 v1, v1
	s_waitcnt lgkmcnt(0)
	s_barrier
	v_mul_f32_e32 v1, 0x4f7ffffe, v1
	v_cvt_u32_f32_e32 v1, v1
	ds_read_b32 v37, v5 offset:4160
	v_readfirstlane_b32 s8, v1
	s_mul_i32 s7, s7, s8
	s_mul_hi_u32 s7, s8, s7
	s_add_i32 s8, s8, s7
	s_mul_hi_u32 s7, s44, s8
	s_mul_i32 s8, s7, s3
	s_sub_i32 s8, s44, s8
	s_add_i32 s9, s7, 1
	s_sub_i32 s11, s8, s3
	s_cmp_ge_u32 s8, s3
	s_cselect_b32 s7, s9, s7
	s_cselect_b32 s8, s11, s8
	s_add_i32 s9, s7, 1
	s_cmp_ge_u32 s8, s3
	s_cselect_b32 s3, s9, s7
	s_xor_b32 s3, s3, s2
	s_sub_i32 s26, s3, s2
	s_abs_i32 s2, s26
	v_cvt_f32_u32_e32 v1, s2
	s_sub_i32 s3, 0, s2
	s_ashr_i32 s27, s26, 31
	s_ashr_i32 s11, s10, 31
	v_rcp_iflag_f32_e32 v1, v1
	v_mul_f32_e32 v1, 0x4f7ffffe, v1
	v_cvt_u32_f32_e32 v1, v1
	v_mul_lo_u32 v2, s3, v1
	v_mul_hi_u32 v2, v1, v2
	v_add_u32_e32 v1, v1, v2
	v_mul_hi_u32 v1, v0, v1
	v_mul_lo_u32 v2, v1, s2
	v_sub_u32_e32 v2, v0, v2
	v_add_u32_e32 v3, 1, v1
	v_cmp_le_u32_e32 vcc, s2, v2
	v_cndmask_b32_e32 v1, v1, v3, vcc
	v_subrev_u32_e32 v3, s2, v2
	v_cndmask_b32_e32 v2, v2, v3, vcc
	v_add_u32_e32 v3, 1, v1
	v_cmp_le_u32_e32 vcc, s2, v2
	v_cndmask_b32_e32 v1, v1, v3, vcc
	v_xor_b32_e32 v1, s27, v1
	v_subrev_u32_e32 v2, s27, v1
	v_mul_lo_u32 v1, v2, s26
	v_ashrrev_i32_e32 v3, 31, v2
	v_sub_u32_e32 v4, v0, v1
	v_lshlrev_b64 v[8:9], 4, v[2:3]
	v_add_co_u32_e32 v6, vcc, v8, v4
	v_addc_co_u32_e32 v7, vcc, 0, v9, vcc
	v_add_co_u32_e32 v8, vcc, 16, v8
	v_addc_co_u32_e32 v9, vcc, 0, v9, vcc
	v_mov_b32_e32 v1, s11
	v_cmp_gt_i64_e32 vcc, s[10:11], v[8:9]
	v_cndmask_b32_e32 v9, v1, v9, vcc
	v_mov_b32_e32 v1, s10
	v_cndmask_b32_e32 v8, v1, v8, vcc
	v_ashrrev_i32_e32 v11, 31, v8
	v_mov_b32_e32 v10, v8
	v_cmp_lt_i64_e32 vcc, v[6:7], v[10:11]
	s_and_saveexec_b64 s[28:29], vcc
	s_cbranch_execz .LBB82_26
; %bb.17:
	v_lshlrev_b64 v[30:31], 7, v[2:3]
	s_mul_i32 s11, s26, 24
	v_lshlrev_b64 v[12:13], 3, v[4:5]
	v_mov_b32_e32 v1, s31
	v_add_co_u32_e32 v5, vcc, s30, v30
	s_mul_hi_i32 s7, s26, 24
	s_add_u32 s2, s16, s11
	v_addc_co_u32_e32 v19, vcc, v1, v31, vcc
	s_addc_u32 s3, s17, s7
	v_mov_b32_e32 v1, s3
	v_add_co_u32_e32 v14, vcc, s2, v5
	s_lshl_b64 s[30:31], s[26:27], 5
	s_lshl_b64 s[2:3], s[26:27], 4
	s_add_u32 s8, s16, s2
	v_addc_co_u32_e32 v1, vcc, v1, v19, vcc
	s_addc_u32 s9, s17, s3
	v_mov_b32_e32 v15, s9
	v_add_co_u32_e32 v16, vcc, s8, v5
	s_lshl_b64 s[8:9], s[26:27], 3
	s_add_u32 s25, s16, s8
	v_addc_co_u32_e32 v15, vcc, v15, v19, vcc
	s_addc_u32 s38, s17, s9
	v_mov_b32_e32 v17, s38
	v_add_co_u32_e32 v18, vcc, s25, v5
	v_addc_co_u32_e32 v17, vcc, v17, v19, vcc
	v_mov_b32_e32 v21, s17
	v_add_co_u32_e32 v20, vcc, s16, v5
	s_add_u32 s16, s18, s11
	v_addc_co_u32_e32 v19, vcc, v21, v19, vcc
	s_addc_u32 s17, s19, s7
	v_mov_b32_e32 v5, s17
	v_add_co_u32_e32 v22, vcc, s16, v30
	s_add_u32 s16, s18, s2
	v_addc_co_u32_e32 v21, vcc, v5, v31, vcc
	s_addc_u32 s17, s19, s3
	;; [unrolled: 5-line block ×3, first 2 shown]
	v_mov_b32_e32 v5, s17
	v_add_co_u32_e32 v26, vcc, s16, v30
	v_addc_co_u32_e32 v25, vcc, v5, v31, vcc
	v_mov_b32_e32 v5, s19
	v_add_co_u32_e32 v28, vcc, s18, v30
	v_addc_co_u32_e32 v27, vcc, v5, v31, vcc
	v_mov_b32_e32 v5, s37
	v_add_co_u32_e32 v35, vcc, s36, v30
	s_add_u32 s11, s34, s11
	v_addc_co_u32_e32 v5, vcc, v5, v31, vcc
	s_addc_u32 s7, s35, s7
	v_mov_b32_e32 v29, s7
	v_add_co_u32_e32 v30, vcc, s11, v35
	s_add_u32 s2, s34, s2
	v_addc_co_u32_e32 v29, vcc, v29, v5, vcc
	s_addc_u32 s3, s35, s3
	;; [unrolled: 5-line block ×3, first 2 shown]
	v_mov_b32_e32 v33, s3
	v_add_co_u32_e32 v34, vcc, s2, v35
	v_addc_co_u32_e32 v33, vcc, v33, v5, vcc
	v_mov_b32_e32 v38, s35
	v_add_co_u32_e32 v36, vcc, s34, v35
	v_addc_co_u32_e32 v35, vcc, v38, v5, vcc
	s_mul_hi_i32 s7, s26, 3
	s_mul_i32 s11, s26, 3
	s_lshl_b64 s[34:35], s[26:27], 1
	s_mov_b64 s[16:17], 0
	v_mov_b32_e32 v5, 0
	s_movk_i32 s25, 0x7fff
	v_mov_b32_e32 v42, 0x7fc00000
	v_pk_mov_b32 v[38:39], v[6:7], v[6:7] op_sel:[0,1]
                                        ; implicit-def: $sgpr36_sgpr37
	s_branch .LBB82_21
.LBB82_18:                              ;   in Loop: Header=BB82_21 Depth=1
	s_or_b64 exec, exec, s[42:43]
	s_orn2_b64 s[2:3], s[2:3], exec
.LBB82_19:                              ;   in Loop: Header=BB82_21 Depth=1
	s_or_b64 exec, exec, s[40:41]
	s_andn2_b64 s[8:9], s[36:37], exec
	s_and_b64 s[2:3], s[2:3], exec
	s_or_b64 s[36:37], s[8:9], s[2:3]
.LBB82_20:                              ;   in Loop: Header=BB82_21 Depth=1
	s_or_b64 exec, exec, s[38:39]
	s_and_b64 s[2:3], exec, s[36:37]
	s_or_b64 s[16:17], s[2:3], s[16:17]
	s_andn2_b64 exec, exec, s[16:17]
	s_cbranch_execz .LBB82_25
.LBB82_21:                              ; =>This Inner Loop Header: Depth=1
	v_add_co_u32_e32 v40, vcc, v20, v12
	v_addc_co_u32_e32 v41, vcc, v19, v13, vcc
	global_load_dwordx2 v[44:45], v[40:41], off
	v_add_co_u32_e32 v40, vcc, v28, v12
	v_addc_co_u32_e32 v41, vcc, v27, v13, vcc
	global_load_dwordx2 v[46:47], v[40:41], off
	;; [unrolled: 3-line block ×3, first 2 shown]
	v_mov_b32_e32 v41, s27
	v_add_co_u32_e32 v40, vcc, s26, v38
	v_addc_co_u32_e32 v41, vcc, v39, v41, vcc
	v_cmp_lt_i64_e32 vcc, v[40:41], v[10:11]
	s_or_b64 s[36:37], s[36:37], exec
	s_waitcnt vmcnt(2)
	v_and_b32_e32 v43, 0xffff0000, v44
	v_lshlrev_b32_e32 v51, 16, v44
	v_alignbit_b32 v44, v45, v44, 16
	v_and_b32_e32 v44, 0xffff0000, v44
	v_and_b32_e32 v45, 0xffff0000, v45
	s_waitcnt vmcnt(1)
	v_lshlrev_b32_e32 v54, 16, v46
	v_and_b32_e32 v50, 0xffff0000, v46
	v_alignbit_b32 v46, v47, v46, 16
	v_and_b32_e32 v47, 0xffff0000, v47
	v_and_b32_e32 v46, 0xffff0000, v46
	s_waitcnt vmcnt(0)
	v_and_b32_e32 v52, 0xffff0000, v48
	v_lshlrev_b32_e32 v53, 16, v48
	v_alignbit_b32 v48, v49, v48, 16
	v_add_f32_e32 v51, v51, v53
	v_and_b32_e32 v48, 0xffff0000, v48
	v_and_b32_e32 v49, 0xffff0000, v49
	v_add_f32_e32 v43, v43, v52
	v_add_f32_e32 v44, v44, v48
	s_waitcnt lgkmcnt(0)
	v_mul_f32_e32 v48, v37, v51
	v_add_f32_e32 v45, v45, v49
	v_mul_f32_e32 v43, v37, v43
	v_bfe_u32 v49, v48, 16, 1
	v_mul_f32_e32 v45, v37, v45
	v_bfe_u32 v51, v43, 16, 1
	v_add3_u32 v49, v48, v49, s25
	v_bfe_u32 v52, v45, 16, 1
	v_add3_u32 v51, v43, v51, s25
	v_and_b32_e32 v49, 0xffff0000, v49
	v_cmp_o_f32_e64 s[2:3], v48, v48
	v_mul_f32_e32 v44, v37, v44
	v_add3_u32 v52, v45, v52, s25
	v_and_b32_e32 v51, 0xffff0000, v51
	v_cndmask_b32_e64 v48, v42, v49, s[2:3]
	v_cmp_o_f32_e64 s[2:3], v43, v43
	v_bfe_u32 v53, v44, 16, 1
	v_and_b32_e32 v52, 0xffff0000, v52
	v_cndmask_b32_e64 v43, v42, v51, s[2:3]
	v_cmp_o_f32_e64 s[2:3], v45, v45
	v_add3_u32 v53, v44, v53, s25
	v_cndmask_b32_e64 v45, v42, v52, s[2:3]
	v_mul_f32_e32 v48, v48, v54
	v_and_b32_e32 v49, 0xffff0000, v53
	v_mul_f32_e32 v43, v43, v50
	v_cmp_o_f32_e64 s[2:3], v44, v44
	v_mul_f32_e32 v45, v45, v47
	v_bfe_u32 v47, v48, 16, 1
	v_cndmask_b32_e64 v44, v42, v49, s[2:3]
	v_bfe_u32 v49, v43, 16, 1
	v_add3_u32 v47, v48, v47, s25
	v_mul_f32_e32 v44, v44, v46
	v_bfe_u32 v46, v45, 16, 1
	v_add3_u32 v49, v43, v49, s25
	v_and_b32_e32 v47, 0xffff0000, v47
	v_cmp_o_f32_e64 s[2:3], v48, v48
	v_bfe_u32 v50, v44, 16, 1
	v_add3_u32 v46, v45, v46, s25
	v_and_b32_e32 v49, 0xffff0000, v49
	v_cndmask_b32_e64 v47, v42, |v47|, s[2:3]
	v_cmp_o_f32_e64 s[2:3], v43, v43
	v_add3_u32 v50, v44, v50, s25
	v_and_b32_e32 v46, 0xffff0000, v46
	v_cndmask_b32_e64 v43, v42, |v49|, s[2:3]
	v_cmp_o_f32_e64 s[2:3], v45, v45
	v_and_b32_e32 v48, 0xffff0000, v50
	v_cndmask_b32_e64 v45, v42, |v46|, s[2:3]
	v_cmp_o_f32_e64 s[2:3], v44, v44
	v_max3_f32 v5, v5, v47, v43
	v_cndmask_b32_e64 v43, v42, |v48|, s[2:3]
	v_max3_f32 v5, v5, v43, v45
	s_and_saveexec_b64 s[38:39], vcc
	s_cbranch_execz .LBB82_20
; %bb.22:                               ;   in Loop: Header=BB82_21 Depth=1
	v_add_co_u32_e32 v44, vcc, v18, v12
	v_addc_co_u32_e32 v45, vcc, v17, v13, vcc
	v_add_co_u32_e32 v46, vcc, v26, v12
	v_addc_co_u32_e32 v47, vcc, v25, v13, vcc
	;; [unrolled: 2-line block ×3, first 2 shown]
	global_load_dwordx2 v[44:45], v[44:45], off
	v_mov_b32_e32 v43, s35
	global_load_dwordx2 v[48:49], v[48:49], off
	v_add_co_u32_e32 v50, vcc, s34, v38
	global_load_dwordx2 v[46:47], v[46:47], off
	v_addc_co_u32_e32 v51, vcc, v43, v39, vcc
	v_cmp_lt_i64_e32 vcc, v[50:51], v[10:11]
	s_waitcnt vmcnt(2)
	v_and_b32_e32 v43, 0xffff0000, v44
	v_lshlrev_b32_e32 v51, 16, v44
	v_alignbit_b32 v44, v45, v44, 16
	s_waitcnt vmcnt(1)
	v_and_b32_e32 v52, 0xffff0000, v48
	v_lshlrev_b32_e32 v53, 16, v48
	v_alignbit_b32 v48, v49, v48, 16
	v_and_b32_e32 v44, 0xffff0000, v44
	v_add_f32_e32 v51, v51, v53
	v_and_b32_e32 v48, 0xffff0000, v48
	v_and_b32_e32 v45, 0xffff0000, v45
	;; [unrolled: 1-line block ×3, first 2 shown]
	v_add_f32_e32 v43, v43, v52
	v_add_f32_e32 v44, v44, v48
	v_mul_f32_e32 v48, v37, v51
	v_add_f32_e32 v45, v45, v49
	v_mul_f32_e32 v43, v37, v43
	v_bfe_u32 v49, v48, 16, 1
	v_mul_f32_e32 v45, v37, v45
	v_bfe_u32 v51, v43, 16, 1
	v_add3_u32 v49, v48, v49, s25
	v_bfe_u32 v52, v45, 16, 1
	v_add3_u32 v51, v43, v51, s25
	v_and_b32_e32 v49, 0xffff0000, v49
	v_cmp_o_f32_e64 s[2:3], v48, v48
	v_mul_f32_e32 v44, v37, v44
	v_add3_u32 v52, v45, v52, s25
	v_and_b32_e32 v51, 0xffff0000, v51
	v_cndmask_b32_e64 v48, v42, v49, s[2:3]
	v_cmp_o_f32_e64 s[2:3], v43, v43
	s_waitcnt vmcnt(0)
	v_lshlrev_b32_e32 v54, 16, v46
	v_bfe_u32 v53, v44, 16, 1
	v_and_b32_e32 v52, 0xffff0000, v52
	v_cndmask_b32_e64 v43, v42, v51, s[2:3]
	v_cmp_o_f32_e64 s[2:3], v45, v45
	v_and_b32_e32 v50, 0xffff0000, v46
	v_alignbit_b32 v46, v47, v46, 16
	v_and_b32_e32 v47, 0xffff0000, v47
	v_add3_u32 v53, v44, v53, s25
	v_cndmask_b32_e64 v45, v42, v52, s[2:3]
	v_mul_f32_e32 v48, v48, v54
	v_and_b32_e32 v49, 0xffff0000, v53
	v_mul_f32_e32 v43, v43, v50
	v_cmp_o_f32_e64 s[2:3], v44, v44
	v_mul_f32_e32 v45, v45, v47
	v_bfe_u32 v47, v48, 16, 1
	v_and_b32_e32 v46, 0xffff0000, v46
	v_cndmask_b32_e64 v44, v42, v49, s[2:3]
	v_bfe_u32 v49, v43, 16, 1
	v_add3_u32 v47, v48, v47, s25
	v_mul_f32_e32 v44, v44, v46
	v_bfe_u32 v46, v45, 16, 1
	v_add3_u32 v49, v43, v49, s25
	v_and_b32_e32 v47, 0xffff0000, v47
	v_cmp_o_f32_e64 s[2:3], v48, v48
	v_bfe_u32 v50, v44, 16, 1
	v_add3_u32 v46, v45, v46, s25
	v_and_b32_e32 v49, 0xffff0000, v49
	v_cndmask_b32_e64 v47, v42, |v47|, s[2:3]
	v_cmp_o_f32_e64 s[2:3], v43, v43
	v_add3_u32 v50, v44, v50, s25
	v_and_b32_e32 v46, 0xffff0000, v46
	v_cndmask_b32_e64 v43, v42, |v49|, s[2:3]
	v_cmp_o_f32_e64 s[2:3], v45, v45
	v_and_b32_e32 v48, 0xffff0000, v50
	v_cndmask_b32_e64 v45, v42, |v46|, s[2:3]
	v_cmp_o_f32_e64 s[2:3], v44, v44
	v_max3_f32 v5, v5, v47, v43
	v_cndmask_b32_e64 v43, v42, |v48|, s[2:3]
	v_max3_f32 v5, v5, v43, v45
	s_mov_b64 s[2:3], -1
	s_and_saveexec_b64 s[40:41], vcc
	s_cbranch_execz .LBB82_19
; %bb.23:                               ;   in Loop: Header=BB82_21 Depth=1
	v_add_co_u32_e32 v44, vcc, v16, v12
	v_addc_co_u32_e32 v45, vcc, v15, v13, vcc
	v_add_co_u32_e32 v46, vcc, v24, v12
	v_addc_co_u32_e32 v47, vcc, v23, v13, vcc
	;; [unrolled: 2-line block ×3, first 2 shown]
	global_load_dwordx2 v[44:45], v[44:45], off
	v_mov_b32_e32 v43, s7
	global_load_dwordx2 v[48:49], v[48:49], off
	v_add_co_u32_e32 v38, vcc, s11, v38
	global_load_dwordx2 v[46:47], v[46:47], off
	v_addc_co_u32_e32 v39, vcc, v43, v39, vcc
	v_cmp_lt_i64_e32 vcc, v[38:39], v[10:11]
	s_waitcnt vmcnt(2)
	v_lshlrev_b32_e32 v43, 16, v44
	v_and_b32_e32 v38, 0xffff0000, v44
	s_waitcnt vmcnt(1)
	v_lshlrev_b32_e32 v51, 16, v48
	v_alignbit_b32 v44, v45, v44, 16
	v_and_b32_e32 v50, 0xffff0000, v48
	v_alignbit_b32 v48, v49, v48, 16
	v_add_f32_e32 v43, v43, v51
	v_and_b32_e32 v45, 0xffff0000, v45
	v_and_b32_e32 v49, 0xffff0000, v49
	;; [unrolled: 1-line block ×3, first 2 shown]
	v_add_f32_e32 v38, v38, v50
	v_and_b32_e32 v48, 0xffff0000, v48
	v_mul_f32_e32 v43, v37, v43
	v_add_f32_e32 v45, v45, v49
	v_add_f32_e32 v44, v44, v48
	v_mul_f32_e32 v38, v37, v38
	v_bfe_u32 v48, v43, 16, 1
	v_mul_f32_e32 v45, v37, v45
	v_bfe_u32 v49, v38, 16, 1
	v_add3_u32 v48, v43, v48, s25
	v_bfe_u32 v50, v45, 16, 1
	v_add3_u32 v49, v38, v49, s25
	v_and_b32_e32 v48, 0xffff0000, v48
	v_cmp_o_f32_e64 s[2:3], v43, v43
	v_mul_f32_e32 v44, v37, v44
	v_add3_u32 v50, v45, v50, s25
	v_and_b32_e32 v49, 0xffff0000, v49
	v_cndmask_b32_e64 v43, v42, v48, s[2:3]
	v_cmp_o_f32_e64 s[2:3], v38, v38
	s_waitcnt vmcnt(0)
	v_lshlrev_b32_e32 v52, 16, v46
	v_bfe_u32 v51, v44, 16, 1
	v_and_b32_e32 v50, 0xffff0000, v50
	v_cndmask_b32_e64 v38, v42, v49, s[2:3]
	v_cmp_o_f32_e64 s[2:3], v45, v45
	v_and_b32_e32 v39, 0xffff0000, v46
	v_alignbit_b32 v46, v47, v46, 16
	v_and_b32_e32 v47, 0xffff0000, v47
	v_add3_u32 v51, v44, v51, s25
	v_cndmask_b32_e64 v45, v42, v50, s[2:3]
	v_mul_f32_e32 v43, v43, v52
	v_and_b32_e32 v48, 0xffff0000, v51
	v_mul_f32_e32 v38, v38, v39
	v_cmp_o_f32_e64 s[2:3], v44, v44
	v_mul_f32_e32 v44, v45, v47
	v_bfe_u32 v45, v43, 16, 1
	v_and_b32_e32 v46, 0xffff0000, v46
	v_cndmask_b32_e64 v39, v42, v48, s[2:3]
	v_bfe_u32 v47, v38, 16, 1
	v_add3_u32 v45, v43, v45, s25
	v_mul_f32_e32 v39, v39, v46
	v_bfe_u32 v46, v44, 16, 1
	v_add3_u32 v47, v38, v47, s25
	v_and_b32_e32 v45, 0xffff0000, v45
	v_cmp_o_f32_e64 s[2:3], v43, v43
	v_bfe_u32 v48, v39, 16, 1
	v_add3_u32 v46, v44, v46, s25
	v_and_b32_e32 v47, 0xffff0000, v47
	v_cndmask_b32_e64 v43, v42, |v45|, s[2:3]
	v_cmp_o_f32_e64 s[2:3], v38, v38
	v_add3_u32 v48, v39, v48, s25
	v_and_b32_e32 v46, 0xffff0000, v46
	v_cndmask_b32_e64 v38, v42, |v47|, s[2:3]
	v_cmp_o_f32_e64 s[2:3], v44, v44
	v_and_b32_e32 v45, 0xffff0000, v48
	v_cndmask_b32_e64 v44, v42, |v46|, s[2:3]
	v_cmp_o_f32_e64 s[2:3], v39, v39
	v_max3_f32 v5, v5, v43, v38
	v_cndmask_b32_e64 v38, v42, |v45|, s[2:3]
	v_max3_f32 v5, v5, v38, v44
	s_mov_b64 s[2:3], -1
                                        ; implicit-def: $vgpr38_vgpr39
	s_and_saveexec_b64 s[8:9], vcc
	s_xor_b64 s[42:43], exec, s[8:9]
	s_cbranch_execz .LBB82_18
; %bb.24:                               ;   in Loop: Header=BB82_21 Depth=1
	s_add_u32 s2, s26, s26
	s_addc_u32 s3, s27, s27
	s_add_u32 s2, s2, s26
	s_addc_u32 s3, s3, s27
	v_mov_b32_e32 v39, s3
	v_add_co_u32_e32 v38, vcc, s2, v40
	v_addc_co_u32_e32 v39, vcc, v39, v41, vcc
	v_add_co_u32_e32 v40, vcc, v14, v12
	v_addc_co_u32_e32 v41, vcc, v1, v13, vcc
	global_load_dwordx2 v[40:41], v[40:41], off
	s_waitcnt vmcnt(0)
	v_and_b32_e32 v43, 0xffff0000, v40
	v_lshlrev_b32_e32 v44, 16, v40
	v_alignbit_b32 v45, v41, v40, 16
	v_add_co_u32_e32 v40, vcc, v30, v12
	v_and_b32_e32 v46, 0xffff0000, v41
	v_addc_co_u32_e32 v41, vcc, v29, v13, vcc
	global_load_dwordx2 v[40:41], v[40:41], off
	v_and_b32_e32 v45, 0xffff0000, v45
	s_waitcnt vmcnt(0)
	v_and_b32_e32 v47, 0xffff0000, v40
	v_lshlrev_b32_e32 v48, 16, v40
	v_alignbit_b32 v49, v41, v40, 16
	v_add_co_u32_e32 v40, vcc, v22, v12
	v_and_b32_e32 v50, 0xffff0000, v41
	v_addc_co_u32_e32 v41, vcc, v21, v13, vcc
	global_load_dwordx2 v[40:41], v[40:41], off
	v_add_f32_e32 v44, v44, v48
	v_add_f32_e32 v43, v43, v47
	v_and_b32_e32 v47, 0xffff0000, v49
	v_mul_f32_e32 v44, v37, v44
	v_add_f32_e32 v45, v45, v47
	v_bfe_u32 v47, v44, 16, 1
	v_add3_u32 v47, v44, v47, s25
	v_and_b32_e32 v47, 0xffff0000, v47
	v_cmp_o_f32_e32 vcc, v44, v44
	v_mul_f32_e32 v43, v37, v43
	v_cndmask_b32_e32 v44, v42, v47, vcc
	v_bfe_u32 v47, v43, 16, 1
	v_add_f32_e32 v46, v46, v50
	v_add3_u32 v47, v43, v47, s25
	v_and_b32_e32 v47, 0xffff0000, v47
	v_cmp_o_f32_e32 vcc, v43, v43
	v_mul_f32_e32 v46, v37, v46
	v_cndmask_b32_e32 v43, v42, v47, vcc
	v_bfe_u32 v47, v46, 16, 1
	v_add3_u32 v47, v46, v47, s25
	v_and_b32_e32 v47, 0xffff0000, v47
	v_cmp_o_f32_e32 vcc, v46, v46
	v_cndmask_b32_e32 v46, v42, v47, vcc
	v_mul_f32_e32 v45, v37, v45
	v_cmp_o_f32_e32 vcc, v45, v45
	s_waitcnt vmcnt(0)
	v_and_b32_e32 v51, 0xffff0000, v40
	v_lshlrev_b32_e32 v52, 16, v40
	v_alignbit_b32 v40, v41, v40, 16
	v_and_b32_e32 v41, 0xffff0000, v41
	v_mul_f32_e32 v41, v46, v41
	v_bfe_u32 v46, v45, 16, 1
	v_add3_u32 v46, v45, v46, s25
	v_and_b32_e32 v46, 0xffff0000, v46
	v_mul_f32_e32 v43, v43, v51
	v_and_b32_e32 v40, 0xffff0000, v40
	v_cndmask_b32_e32 v45, v42, v46, vcc
	v_mul_f32_e32 v40, v45, v40
	v_bfe_u32 v45, v43, 16, 1
	v_mul_f32_e32 v44, v44, v52
	v_add3_u32 v45, v43, v45, s25
	v_cmp_o_f32_e32 vcc, v43, v43
	v_bfe_u32 v43, v40, 16, 1
	v_add3_u32 v43, v40, v43, s25
	v_cmp_o_f32_e64 s[2:3], v40, v40
	v_bfe_u32 v40, v44, 16, 1
	v_add3_u32 v40, v44, v40, s25
	v_and_b32_e32 v45, 0xffff0000, v45
	v_and_b32_e32 v40, 0xffff0000, v40
	v_cmp_o_f32_e64 s[8:9], v44, v44
	v_cndmask_b32_e64 v40, v42, |v40|, s[8:9]
	v_cndmask_b32_e64 v44, v42, |v45|, vcc
	v_max3_f32 v5, v5, v40, v44
	v_bfe_u32 v40, v41, 16, 1
	v_add3_u32 v40, v41, v40, s25
	v_and_b32_e32 v43, 0xffff0000, v43
	v_and_b32_e32 v40, 0xffff0000, v40
	v_cmp_o_f32_e32 vcc, v41, v41
	v_cndmask_b32_e64 v40, v42, |v40|, vcc
	v_cndmask_b32_e64 v41, v42, |v43|, s[2:3]
	v_max3_f32 v5, v5, v41, v40
	v_mov_b32_e32 v40, s31
	v_add_co_u32_e32 v14, vcc, s30, v14
	v_addc_co_u32_e32 v1, vcc, v1, v40, vcc
	v_add_co_u32_e32 v16, vcc, s30, v16
	v_addc_co_u32_e32 v15, vcc, v15, v40, vcc
	;; [unrolled: 2-line block ×12, first 2 shown]
	v_cmp_ge_i64_e32 vcc, v[38:39], v[10:11]
	s_orn2_b64 s[2:3], vcc, exec
	s_branch .LBB82_18
.LBB82_25:
	s_or_b64 exec, exec, s[16:17]
.LBB82_26:
	s_or_b64 exec, exec, s[28:29]
	s_lshr_b32 s7, s44, 6
	v_cvt_f32_u32_e32 v10, s7
	v_lshlrev_b32_e32 v1, 2, v0
	ds_write_b32 v1, v5
	s_sub_i32 s8, 0, s7
	v_rcp_iflag_f32_e32 v5, v10
	s_add_i32 s2, s24, s7
	s_add_i32 s2, s2, -1
	s_ashr_i32 s3, s2, 31
	v_mul_f32_e32 v5, 0x4f7ffffe, v5
	v_cvt_u32_f32_e32 v5, v5
	s_abs_i32 s2, s2
	s_ashr_i32 s25, s24, 31
	s_waitcnt lgkmcnt(0)
	v_readfirstlane_b32 s9, v5
	s_mul_i32 s8, s8, s9
	s_mul_hi_u32 s8, s9, s8
	s_add_i32 s9, s9, s8
	s_mul_hi_u32 s8, s2, s9
	s_mul_i32 s9, s8, s7
	s_sub_i32 s2, s2, s9
	s_add_i32 s9, s8, 1
	s_sub_i32 s11, s2, s7
	s_cmp_ge_u32 s2, s7
	s_cselect_b32 s8, s9, s8
	s_cselect_b32 s2, s11, s2
	s_add_i32 s9, s8, 1
	s_cmp_ge_u32 s2, s7
	s_cselect_b32 s2, s9, s8
	s_xor_b32 s2, s2, s3
	s_sub_i32 s2, s2, s3
	s_ashr_i32 s3, s2, 31
	v_cmp_lt_i64_e64 s[8:9], s[2:3], 1
	s_and_b64 vcc, exec, s[8:9]
	s_barrier
	s_cbranch_vccnz .LBB82_48
; %bb.27:
	v_and_b32_e32 v12, 63, v0
	v_add_co_u32_e32 v14, vcc, 32, v12
	v_addc_co_u32_e64 v15, s[8:9], 0, 0, vcc
	v_add_co_u32_e32 v16, vcc, 16, v12
	v_addc_co_u32_e64 v17, s[8:9], 0, 0, vcc
	;; [unrolled: 2-line block ×4, first 2 shown]
	v_add_co_u32_e32 v22, vcc, 2, v12
	v_lshrrev_b32_e32 v10, 6, v0
	v_addc_co_u32_e64 v23, s[8:9], 0, 0, vcc
	v_add_co_u32_e32 v24, vcc, 1, v12
	v_addc_co_u32_e64 v25, s[8:9], 0, 0, vcc
	v_mul_lo_u32 v5, s26, v10
	v_lshlrev_b32_e32 v5, 2, v5
	v_lshlrev_b32_e32 v26, 2, v12
	s_movk_i32 s8, 0x100
	v_mov_b32_e32 v11, 0
	v_add3_u32 v5, v5, v26, s8
	s_mul_i32 s8, s26, s7
	v_mov_b32_e32 v13, v11
	s_lshl_b32 s11, s8, 2
	s_mov_b64 s[8:9], 0
	v_mov_b32_e32 v36, s7
	s_mov_b64 s[16:17], src_shared_base
	s_branch .LBB82_30
.LBB82_28:                              ;   in Loop: Header=BB82_30 Depth=1
	s_or_b64 exec, exec, s[30:31]
	v_mov_b32_e32 v27, s17
	flat_load_dword v26, v[26:27] glc
	s_waitcnt vmcnt(0)
.LBB82_29:                              ;   in Loop: Header=BB82_30 Depth=1
	s_or_b64 exec, exec, s[28:29]
	s_add_u32 s8, s8, 1
	s_addc_u32 s9, s9, 0
	s_cmp_eq_u64 s[8:9], s[2:3]
	v_add_u32_e32 v5, s11, v5
	s_cbranch_scc1 .LBB82_48
.LBB82_30:                              ; =>This Loop Header: Depth=1
                                        ;     Child Loop BB82_33 Depth 2
	v_mad_u64_u32 v[30:31], s[28:29], s8, v36, v[10:11]
	s_mul_i32 s16, s9, s7
	v_add_u32_e32 v31, s16, v31
	v_cmp_gt_i64_e32 vcc, s[24:25], v[30:31]
	s_and_saveexec_b64 s[28:29], vcc
	s_cbranch_execz .LBB82_29
; %bb.31:                               ;   in Loop: Header=BB82_30 Depth=1
	v_pk_mov_b32 v[32:33], s[26:27], s[26:27] op_sel:[0,1]
	v_mul_lo_u32 v29, v31, s26
	v_mul_lo_u32 v38, v30, s27
	v_mad_u64_u32 v[32:33], s[30:31], v30, s26, v[32:33]
	v_add3_u32 v33, v29, v33, v38
	v_mov_b32_e32 v28, s23
	v_cmp_gt_i64_e32 vcc, s[22:23], v[32:33]
	s_waitcnt lgkmcnt(0)
	v_mad_u64_u32 v[26:27], s[30:31], v30, s26, v[12:13]
	v_cndmask_b32_e32 v33, v28, v33, vcc
	v_mov_b32_e32 v28, s22
	v_add3_u32 v27, v29, v27, v38
	v_cndmask_b32_e32 v32, v28, v32, vcc
	v_add_co_u32_e32 v34, vcc, 64, v26
	v_addc_co_u32_e32 v35, vcc, 0, v27, vcc
	v_cmp_lt_i64_e32 vcc, v[34:35], v[32:33]
	v_lshlrev_b32_e32 v28, 2, v26
	s_and_saveexec_b64 s[30:31], vcc
	s_cbranch_execz .LBB82_34
; %bb.32:                               ;   in Loop: Header=BB82_30 Depth=1
	ds_read_b32 v31, v28
	s_mov_b64 s[34:35], 0
	v_mov_b32_e32 v27, v5
.LBB82_33:                              ;   Parent Loop BB82_30 Depth=1
                                        ; =>  This Inner Loop Header: Depth=2
	ds_read_b32 v39, v27
	v_add_co_u32_e32 v34, vcc, 64, v34
	v_addc_co_u32_e32 v35, vcc, 0, v35, vcc
	s_waitcnt lgkmcnt(1)
	v_max_f32_e32 v31, v31, v31
	v_cmp_ge_i64_e32 vcc, v[34:35], v[32:33]
	s_waitcnt lgkmcnt(0)
	v_max_f32_e32 v39, v39, v39
	v_add_u32_e32 v27, 0x100, v27
	s_or_b64 s[34:35], vcc, s[34:35]
	v_max_f32_e32 v31, v31, v39
	ds_write_b32 v28, v31
	s_andn2_b64 exec, exec, s[34:35]
	s_cbranch_execnz .LBB82_33
.LBB82_34:                              ;   in Loop: Header=BB82_30 Depth=1
	s_or_b64 exec, exec, s[30:31]
	v_mad_u64_u32 v[30:31], s[30:31], v30, s26, 0
	v_add3_u32 v27, v31, v38, v29
	v_sub_co_u32_e32 v30, vcc, v32, v30
	v_subb_co_u32_e32 v31, vcc, v33, v27, vcc
	v_cmp_gt_i64_e32 vcc, 64, v[30:31]
	v_cndmask_b32_e32 v31, 0, v31, vcc
	v_cndmask_b32_e32 v30, 64, v30, vcc
	v_cmp_lt_i64_e32 vcc, v[14:15], v[30:31]
	s_and_saveexec_b64 s[30:31], vcc
	s_cbranch_execnz .LBB82_46
; %bb.35:                               ;   in Loop: Header=BB82_30 Depth=1
	s_or_b64 exec, exec, s[30:31]
	v_cmp_lt_i64_e32 vcc, v[16:17], v[30:31]
	s_and_saveexec_b64 s[30:31], vcc
	s_cbranch_execnz .LBB82_47
.LBB82_36:                              ;   in Loop: Header=BB82_30 Depth=1
	s_or_b64 exec, exec, s[30:31]
	v_cmp_lt_i64_e32 vcc, v[18:19], v[30:31]
	s_and_saveexec_b64 s[30:31], vcc
	s_cbranch_execz .LBB82_38
.LBB82_37:                              ;   in Loop: Header=BB82_30 Depth=1
	v_mov_b32_e32 v29, s17
	v_add_u32_e32 v32, 32, v28
	v_mov_b32_e32 v33, s17
	flat_load_dword v27, v[28:29] glc
	s_waitcnt vmcnt(0)
	flat_load_dword v34, v[32:33] glc
	s_waitcnt vmcnt(0) lgkmcnt(0)
	v_max_f32_e32 v27, v27, v27
	v_max_f32_e32 v32, v34, v34
	;; [unrolled: 1-line block ×3, first 2 shown]
	flat_store_dword v[28:29], v27
	s_waitcnt vmcnt(0)
.LBB82_38:                              ;   in Loop: Header=BB82_30 Depth=1
	s_or_b64 exec, exec, s[30:31]
	v_cmp_ge_i64_e32 vcc, v[20:21], v[30:31]
	s_and_saveexec_b64 s[30:31], vcc
	s_xor_b64 s[30:31], exec, s[30:31]
; %bb.39:                               ;   in Loop: Header=BB82_30 Depth=1
                                        ; implicit-def: $vgpr28
; %bb.40:                               ;   in Loop: Header=BB82_30 Depth=1
	s_andn2_saveexec_b64 s[30:31], s[30:31]
	s_cbranch_execz .LBB82_42
; %bb.41:                               ;   in Loop: Header=BB82_30 Depth=1
	v_mov_b32_e32 v29, s17
	v_add_u32_e32 v32, 16, v28
	v_mov_b32_e32 v33, s17
	flat_load_dword v27, v[28:29] glc
	s_waitcnt vmcnt(0)
	flat_load_dword v34, v[32:33] glc
	s_waitcnt vmcnt(0) lgkmcnt(0)
	v_max_f32_e32 v27, v27, v27
	v_max_f32_e32 v32, v34, v34
	;; [unrolled: 1-line block ×3, first 2 shown]
	flat_store_dword v[28:29], v27
	s_waitcnt vmcnt(0)
.LBB82_42:                              ;   in Loop: Header=BB82_30 Depth=1
	s_or_b64 exec, exec, s[30:31]
	v_cmp_lt_i64_e32 vcc, v[22:23], v[30:31]
	v_lshlrev_b32_e32 v26, 2, v26
	s_and_saveexec_b64 s[30:31], vcc
	s_cbranch_execz .LBB82_44
; %bb.43:                               ;   in Loop: Header=BB82_30 Depth=1
	v_mov_b32_e32 v27, s17
	v_add_u32_e32 v28, 8, v26
	v_mov_b32_e32 v29, s17
	flat_load_dword v32, v[26:27] glc
	s_waitcnt vmcnt(0)
	flat_load_dword v33, v[28:29] glc
	s_waitcnt vmcnt(0) lgkmcnt(0)
	v_max_f32_e32 v28, v32, v32
	v_max_f32_e32 v29, v33, v33
	;; [unrolled: 1-line block ×3, first 2 shown]
	flat_store_dword v[26:27], v28
	s_waitcnt vmcnt(0)
.LBB82_44:                              ;   in Loop: Header=BB82_30 Depth=1
	s_or_b64 exec, exec, s[30:31]
	v_cmp_lt_i64_e32 vcc, v[24:25], v[30:31]
	s_and_saveexec_b64 s[30:31], vcc
	s_cbranch_execz .LBB82_28
; %bb.45:                               ;   in Loop: Header=BB82_30 Depth=1
	v_mov_b32_e32 v27, s17
	v_add_u32_e32 v28, 4, v26
	v_mov_b32_e32 v29, s17
	flat_load_dword v30, v[26:27] glc
	s_waitcnt vmcnt(0)
	flat_load_dword v31, v[28:29] glc
	s_waitcnt vmcnt(0) lgkmcnt(0)
	v_max_f32_e32 v28, v30, v30
	v_max_f32_e32 v29, v31, v31
	;; [unrolled: 1-line block ×3, first 2 shown]
	flat_store_dword v[26:27], v28
	s_waitcnt vmcnt(0)
	s_branch .LBB82_28
.LBB82_46:                              ;   in Loop: Header=BB82_30 Depth=1
	v_mov_b32_e32 v29, s17
	v_add_u32_e32 v32, 0x80, v28
	v_mov_b32_e32 v33, s17
	flat_load_dword v27, v[28:29] glc
	s_waitcnt vmcnt(0)
	flat_load_dword v34, v[32:33] glc
	s_waitcnt vmcnt(0) lgkmcnt(0)
	v_max_f32_e32 v27, v27, v27
	v_max_f32_e32 v32, v34, v34
	;; [unrolled: 1-line block ×3, first 2 shown]
	flat_store_dword v[28:29], v27
	s_waitcnt vmcnt(0)
	s_or_b64 exec, exec, s[30:31]
	v_cmp_lt_i64_e32 vcc, v[16:17], v[30:31]
	s_and_saveexec_b64 s[30:31], vcc
	s_cbranch_execz .LBB82_36
.LBB82_47:                              ;   in Loop: Header=BB82_30 Depth=1
	v_mov_b32_e32 v29, s17
	v_add_u32_e32 v32, 64, v28
	v_mov_b32_e32 v33, s17
	flat_load_dword v27, v[28:29] glc
	s_waitcnt vmcnt(0)
	flat_load_dword v34, v[32:33] glc
	s_waitcnt vmcnt(0) lgkmcnt(0)
	v_max_f32_e32 v27, v27, v27
	v_max_f32_e32 v32, v34, v34
	;; [unrolled: 1-line block ×3, first 2 shown]
	flat_store_dword v[28:29], v27
	s_waitcnt vmcnt(0)
	s_or_b64 exec, exec, s[30:31]
	v_cmp_lt_i64_e32 vcc, v[18:19], v[30:31]
	s_and_saveexec_b64 s[30:31], vcc
	s_cbranch_execnz .LBB82_37
	s_branch .LBB82_38
.LBB82_48:
	v_cmp_eq_u32_e32 vcc, 0, v4
	v_cmp_lt_i64_e64 s[2:3], v[6:7], v[8:9]
	s_and_b64 s[16:17], vcc, s[2:3]
	s_mul_i32 s8, s25, s6
	s_mul_hi_u32 s9, s24, s6
	s_mul_i32 s2, s24, s6
	s_waitcnt lgkmcnt(0)
	s_barrier
	s_and_saveexec_b64 s[6:7], s[16:17]
	s_cbranch_execz .LBB82_52
; %bb.49:
	s_load_dwordx2 s[4:5], s[4:5], 0x20
	ds_read_b32 v1, v1
	s_waitcnt lgkmcnt(0)
	s_cmp_eq_u64 s[4:5], 0
	s_cbranch_scc1 .LBB82_51
; %bb.50:
	s_load_dword s3, s[4:5], 0x0
	v_max_f32_e32 v1, v1, v1
	s_waitcnt lgkmcnt(0)
	v_max_f32_e64 v4, s3, s3
	v_min_f32_e32 v1, v1, v4
.LBB82_51:
	s_mov_b32 s3, 0x43600000
	v_div_scale_f32 v4, s[4:5], s3, s3, v1
	v_rcp_f32_e32 v5, v4
	v_div_scale_f32 v6, vcc, v1, s3, v1
	v_lshlrev_b64 v[2:3], 2, v[2:3]
	v_fma_f32 v7, -v4, v5, 1.0
	v_fmac_f32_e32 v5, v7, v5
	v_mul_f32_e32 v7, v6, v5
	v_fma_f32 v8, -v4, v7, v6
	v_fmac_f32_e32 v7, v8, v5
	v_fma_f32 v4, -v4, v7, v6
	v_div_fmas_f32 v4, v4, v5, v7
	v_div_fixup_f32 v1, v4, s3, v1
	s_add_i32 s3, s9, s8
	s_lshl_b64 s[4:5], s[2:3], 2
	s_add_u32 s3, s14, s4
	s_addc_u32 s4, s15, s5
	v_mov_b32_e32 v4, s4
	v_add_co_u32_e32 v2, vcc, s3, v2
	v_max_f32_e32 v1, 0x37124925, v1
	v_addc_co_u32_e32 v3, vcc, v4, v3, vcc
	global_store_dword v[2:3], v1, off
.LBB82_52:
	s_or_b64 exec, exec, s[6:7]
	s_barrier
	s_and_saveexec_b64 s[4:5], s[0:1]
	s_cbranch_execz .LBB82_189
; %bb.53:
	s_add_u32 s11, s12, s20
	s_addc_u32 s20, s13, s21
	s_add_i32 s3, s9, s8
	s_lshl_b64 s[0:1], s[2:3], 2
	s_add_u32 s0, s14, s0
	s_addc_u32 s1, s15, s1
	s_mul_i32 s21, s44, 3
	s_lshl_b32 s22, s44, 1
	s_mov_b64 s[2:3], 0
	v_mov_b32_e32 v10, s46
	v_mov_b32_e32 v11, s19
	v_mov_b32_e32 v12, s48
	s_movk_i32 s23, 0x7fff
	v_mov_b32_e32 v13, 0x7fc00000
	v_mov_b32_e32 v14, 0x7fc0
	s_mov_b32 s24, 0x43800000
	s_mov_b32 s25, 0x3bffffff
	;; [unrolled: 1-line block ×4, first 2 shown]
	s_movk_i32 s28, 0x80
	s_mov_b32 s29, 0x4020c0c
	v_mov_b32_e32 v1, 0
	s_branch .LBB82_59
.LBB82_54:                              ;   in Loop: Header=BB82_59 Depth=1
	s_or_b64 exec, exec, s[16:17]
.LBB82_55:                              ;   in Loop: Header=BB82_59 Depth=1
	s_or_b64 exec, exec, s[12:13]
	v_lshlrev_b64 v[8:9], 2, v[0:1]
	v_mov_b32_e32 v0, s20
	v_add_co_u32_e32 v8, vcc, s11, v8
	v_addc_co_u32_e32 v9, vcc, v0, v9, vcc
	v_lshlrev_b32_e32 v0, 16, v7
	v_lshlrev_b32_e32 v3, 8, v3
	v_perm_b32 v0, v4, v0, s29
	v_and_b32_e32 v3, 0xff00, v3
	v_and_b32_e32 v4, 0xff, v6
	s_add_i32 s12, s44, s44
	v_or3_b32 v0, v0, v3, v4
	s_add_i32 s12, s12, s44
	global_store_dword v[8:9], v0, off
	v_add_u32_e32 v0, s12, v2
	v_cmp_le_u32_e32 vcc, s10, v0
	s_orn2_b64 s[12:13], vcc, exec
.LBB82_56:                              ;   in Loop: Header=BB82_59 Depth=1
	s_or_b64 exec, exec, s[8:9]
	s_orn2_b64 s[8:9], s[12:13], exec
.LBB82_57:                              ;   in Loop: Header=BB82_59 Depth=1
	s_or_b64 exec, exec, s[6:7]
	s_orn2_b64 s[6:7], s[8:9], exec
.LBB82_58:                              ;   in Loop: Header=BB82_59 Depth=1
	s_or_b64 exec, exec, s[4:5]
	s_and_b64 s[4:5], exec, s[6:7]
	s_or_b64 s[2:3], s[4:5], s[2:3]
	s_andn2_b64 exec, exec, s[2:3]
	s_cbranch_execz .LBB82_189
.LBB82_59:                              ; =>This Inner Loop Header: Depth=1
	v_lshlrev_b64 v[2:3], 3, v[0:1]
	v_add_co_u32_e32 v4, vcc, s33, v2
	v_addc_co_u32_e32 v5, vcc, v10, v3, vcc
	global_load_dwordx2 v[8:9], v[4:5], off
	v_add_co_u32_e32 v4, vcc, s47, v2
	v_addc_co_u32_e32 v5, vcc, v12, v3, vcc
	global_load_dwordx2 v[16:17], v[4:5], off
	;; [unrolled: 3-line block ×3, first 2 shown]
	v_lshrrev_b32_e32 v6, 2, v0
	v_and_b32_e32 v6, 0xffffffc, v6
	global_load_dword v7, v6, s[0:1]
	v_mov_b32_e32 v6, 0x80
	s_waitcnt vmcnt(3)
	v_and_b32_e32 v15, 0xffff0000, v8
	v_lshlrev_b32_e32 v18, 16, v8
	v_alignbit_b32 v8, v9, v8, 16
	v_and_b32_e32 v9, 0xffff0000, v9
	v_and_b32_e32 v22, 0xffff0000, v8
	s_waitcnt vmcnt(2)
	v_and_b32_e32 v19, 0xffff0000, v16
	v_lshlrev_b32_e32 v20, 16, v16
	v_alignbit_b32 v16, v17, v16, 16
	v_and_b32_e32 v17, 0xffff0000, v17
	v_add_f32_e32 v8, v9, v17
	v_add_f32_e32 v15, v15, v19
	v_bfe_u32 v19, v8, 16, 1
	v_add_f32_e32 v18, v18, v20
	v_and_b32_e32 v16, 0xffff0000, v16
	v_bfe_u32 v17, v15, 16, 1
	v_add3_u32 v19, v8, v19, s23
	v_add_f32_e32 v9, v22, v16
	v_bfe_u32 v16, v18, 16, 1
	v_add3_u32 v17, v15, v17, s23
	v_and_b32_e32 v19, 0xffff0000, v19
	v_cmp_o_f32_e32 vcc, v8, v8
	v_mul_f32_e32 v20, v37, v18
	v_add3_u32 v16, v18, v16, s23
	v_bfe_u32 v22, v9, 16, 1
	v_and_b32_e32 v17, 0xffff0000, v17
	v_cndmask_b32_e32 v19, v13, v19, vcc
	v_cmp_o_f32_e32 vcc, v15, v15
	v_bfe_u32 v23, v20, 16, 1
	v_lshrrev_b32_e32 v16, 16, v16
	v_add3_u32 v22, v9, v22, s23
	v_cndmask_b32_e32 v17, v13, v17, vcc
	v_cmp_o_f32_e32 vcc, v18, v18
	v_add3_u32 v23, v20, v23, s23
	v_lshrrev_b32_e32 v22, 16, v22
	v_cndmask_b32_e32 v16, v14, v16, vcc
	v_cmp_o_f32_e32 vcc, v9, v9
	v_and_b32_e32 v18, 0xffff0000, v23
	v_cndmask_b32_e32 v22, v14, v22, vcc
	v_cmp_o_f32_e32 vcc, v20, v20
	s_waitcnt vmcnt(1)
	v_lshlrev_b32_e32 v21, 16, v2
	v_cndmask_b32_e32 v18, v13, v18, vcc
	v_mul_f32_e32 v18, v18, v21
	v_or_b32_e32 v16, v16, v17
	v_or3_b32 v17, 0, v22, v19
	v_bfe_u32 v19, v18, 16, 1
	v_add3_u32 v19, v18, v19, s23
	v_and_b32_e32 v19, 0xffff0000, v19
	v_cmp_o_f32_e32 vcc, v18, v18
	v_cndmask_b32_e32 v18, v13, v19, vcc
	s_waitcnt vmcnt(0)
	v_div_scale_f32 v19, s[4:5], v7, v7, v18
	v_rcp_f32_e32 v20, v19
	v_or3_b32 v16, v16, 0, 0
	global_store_dwordx2 v[4:5], v[16:17], off
	v_div_scale_f32 v4, vcc, v18, v7, v18
	v_fma_f32 v5, -v19, v20, 1.0
	v_fmac_f32_e32 v20, v5, v20
	v_mul_f32_e32 v5, v4, v20
	v_fma_f32 v16, -v19, v5, v4
	v_fmac_f32_e32 v5, v16, v20
	v_fma_f32 v4, -v19, v5, v4
	v_div_fmas_f32 v4, v4, v20, v5
	v_div_fixup_f32 v4, v4, v7, v18
	v_min_f32_e32 v4, 0x43600000, v4
	v_max_f32_e32 v5, 0xc3600000, v4
	v_and_b32_e32 v16, 0x7fffffff, v5
	v_cmp_gt_u32_e32 vcc, s24, v16
	v_mov_b32_e32 v4, 0x80
	s_and_saveexec_b64 s[4:5], vcc
	s_cbranch_execz .LBB82_65
; %bb.60:                               ;   in Loop: Header=BB82_59 Depth=1
	v_cmp_lt_u32_e32 vcc, s25, v16
	s_mov_b64 s[6:7], 0
                                        ; implicit-def: $vgpr16
	s_and_saveexec_b64 s[8:9], vcc
	s_xor_b64 s[8:9], exec, s[8:9]
	s_cbranch_execnz .LBB82_156
; %bb.61:                               ;   in Loop: Header=BB82_59 Depth=1
	s_or_saveexec_b64 s[8:9], s[8:9]
                                        ; implicit-def: $sgpr12
	s_xor_b64 exec, exec, s[8:9]
	s_cbranch_execnz .LBB82_157
.LBB82_62:                              ;   in Loop: Header=BB82_59 Depth=1
	s_or_b64 exec, exec, s[8:9]
	v_mov_b32_e32 v4, s12
	s_and_saveexec_b64 s[8:9], s[6:7]
.LBB82_63:                              ;   in Loop: Header=BB82_59 Depth=1
	v_lshrrev_b32_e32 v4, 24, v5
	v_and_or_b32 v4, v4, s28, v16
.LBB82_64:                              ;   in Loop: Header=BB82_59 Depth=1
	s_or_b64 exec, exec, s[8:9]
.LBB82_65:                              ;   in Loop: Header=BB82_59 Depth=1
	s_or_b64 exec, exec, s[4:5]
	v_mul_f32_e32 v15, v37, v15
	v_bfe_u32 v16, v15, 16, 1
	v_add3_u32 v16, v15, v16, s23
	v_and_b32_e32 v16, 0xffff0000, v16
	v_cmp_o_f32_e32 vcc, v15, v15
	v_and_b32_e32 v5, 0xffff0000, v2
	v_cndmask_b32_e32 v15, v13, v16, vcc
	v_mul_f32_e32 v5, v15, v5
	v_bfe_u32 v15, v5, 16, 1
	v_add3_u32 v15, v5, v15, s23
	v_and_b32_e32 v15, 0xffff0000, v15
	v_cmp_o_f32_e32 vcc, v5, v5
	v_cndmask_b32_e32 v5, v13, v15, vcc
	v_div_scale_f32 v15, s[4:5], v7, v7, v5
	v_rcp_f32_e32 v16, v15
	v_fma_f32 v17, -v15, v16, 1.0
	v_fmac_f32_e32 v16, v17, v16
	v_div_scale_f32 v17, vcc, v5, v7, v5
	v_mul_f32_e32 v18, v17, v16
	v_fma_f32 v19, -v15, v18, v17
	v_fmac_f32_e32 v18, v19, v16
	v_fma_f32 v15, -v15, v18, v17
	v_div_fmas_f32 v15, v15, v16, v18
	v_div_fixup_f32 v5, v15, v7, v5
	v_min_f32_e32 v5, 0x43600000, v5
	v_max_f32_e32 v5, 0xc3600000, v5
	v_and_b32_e32 v15, 0x7fffffff, v5
	v_cmp_gt_u32_e32 vcc, s24, v15
	s_and_saveexec_b64 s[4:5], vcc
	s_cbranch_execz .LBB82_71
; %bb.66:                               ;   in Loop: Header=BB82_59 Depth=1
	v_cmp_lt_u32_e32 vcc, s25, v15
	s_mov_b64 s[6:7], 0
                                        ; implicit-def: $vgpr15
	s_and_saveexec_b64 s[8:9], vcc
	s_xor_b64 s[8:9], exec, s[8:9]
	s_cbranch_execnz .LBB82_158
; %bb.67:                               ;   in Loop: Header=BB82_59 Depth=1
	s_or_saveexec_b64 s[8:9], s[8:9]
                                        ; implicit-def: $sgpr12
	s_xor_b64 exec, exec, s[8:9]
	s_cbranch_execnz .LBB82_159
.LBB82_68:                              ;   in Loop: Header=BB82_59 Depth=1
	s_or_b64 exec, exec, s[8:9]
	v_mov_b32_e32 v6, s12
	s_and_saveexec_b64 s[8:9], s[6:7]
.LBB82_69:                              ;   in Loop: Header=BB82_59 Depth=1
	v_lshrrev_b32_e32 v5, 24, v5
	v_and_or_b32 v6, v5, s28, v15
.LBB82_70:                              ;   in Loop: Header=BB82_59 Depth=1
	s_or_b64 exec, exec, s[8:9]
.LBB82_71:                              ;   in Loop: Header=BB82_59 Depth=1
	s_or_b64 exec, exec, s[4:5]
	v_mul_f32_e32 v5, v37, v9
	v_bfe_u32 v9, v5, 16, 1
	v_add3_u32 v9, v5, v9, s23
	v_and_b32_e32 v9, 0xffff0000, v9
	v_cmp_o_f32_e32 vcc, v5, v5
	v_alignbit_b32 v2, v3, v2, 16
	v_cndmask_b32_e32 v5, v13, v9, vcc
	v_and_b32_e32 v2, 0xffff0000, v2
	v_mul_f32_e32 v2, v5, v2
	v_bfe_u32 v5, v2, 16, 1
	v_add3_u32 v5, v2, v5, s23
	v_and_b32_e32 v5, 0xffff0000, v5
	v_cmp_o_f32_e32 vcc, v2, v2
	v_cndmask_b32_e32 v2, v13, v5, vcc
	v_div_scale_f32 v5, s[4:5], v7, v7, v2
	v_rcp_f32_e32 v9, v5
	v_fma_f32 v15, -v5, v9, 1.0
	v_fmac_f32_e32 v9, v15, v9
	v_div_scale_f32 v15, vcc, v2, v7, v2
	v_mul_f32_e32 v16, v15, v9
	v_fma_f32 v17, -v5, v16, v15
	v_fmac_f32_e32 v16, v17, v9
	v_fma_f32 v5, -v5, v16, v15
	v_div_fmas_f32 v5, v5, v9, v16
	v_div_fixup_f32 v2, v5, v7, v2
	v_min_f32_e32 v2, 0x43600000, v2
	v_max_f32_e32 v9, 0xc3600000, v2
	v_and_b32_e32 v15, 0x7fffffff, v9
	v_cmp_gt_u32_e32 vcc, s24, v15
	v_mov_b32_e32 v2, 0x80
	v_mov_b32_e32 v5, 0x80
	s_and_saveexec_b64 s[4:5], vcc
	s_cbranch_execz .LBB82_77
; %bb.72:                               ;   in Loop: Header=BB82_59 Depth=1
	v_cmp_lt_u32_e32 vcc, s25, v15
	s_mov_b64 s[6:7], 0
                                        ; implicit-def: $vgpr15
	s_and_saveexec_b64 s[8:9], vcc
	s_xor_b64 s[8:9], exec, s[8:9]
	s_cbranch_execnz .LBB82_160
; %bb.73:                               ;   in Loop: Header=BB82_59 Depth=1
	s_or_saveexec_b64 s[8:9], s[8:9]
                                        ; implicit-def: $sgpr12
	s_xor_b64 exec, exec, s[8:9]
	s_cbranch_execnz .LBB82_161
.LBB82_74:                              ;   in Loop: Header=BB82_59 Depth=1
	s_or_b64 exec, exec, s[8:9]
	v_mov_b32_e32 v5, s12
	s_and_saveexec_b64 s[8:9], s[6:7]
.LBB82_75:                              ;   in Loop: Header=BB82_59 Depth=1
	v_lshrrev_b32_e32 v5, 24, v9
	v_and_or_b32 v5, v5, s28, v15
.LBB82_76:                              ;   in Loop: Header=BB82_59 Depth=1
	s_or_b64 exec, exec, s[8:9]
.LBB82_77:                              ;   in Loop: Header=BB82_59 Depth=1
	s_or_b64 exec, exec, s[4:5]
	v_mul_f32_e32 v8, v37, v8
	v_bfe_u32 v9, v8, 16, 1
	v_add3_u32 v9, v8, v9, s23
	v_and_b32_e32 v9, 0xffff0000, v9
	v_cmp_o_f32_e32 vcc, v8, v8
	v_cndmask_b32_e32 v8, v13, v9, vcc
	v_and_b32_e32 v3, 0xffff0000, v3
	v_mul_f32_e32 v3, v8, v3
	v_bfe_u32 v8, v3, 16, 1
	v_add3_u32 v8, v3, v8, s23
	v_and_b32_e32 v8, 0xffff0000, v8
	v_cmp_o_f32_e32 vcc, v3, v3
	v_cndmask_b32_e32 v3, v13, v8, vcc
	v_div_scale_f32 v8, s[4:5], v7, v7, v3
	v_rcp_f32_e32 v9, v8
	v_fma_f32 v15, -v8, v9, 1.0
	v_fmac_f32_e32 v9, v15, v9
	v_div_scale_f32 v15, vcc, v3, v7, v3
	v_mul_f32_e32 v16, v15, v9
	v_fma_f32 v17, -v8, v16, v15
	v_fmac_f32_e32 v16, v17, v9
	v_fma_f32 v8, -v8, v16, v15
	v_div_fmas_f32 v8, v8, v9, v16
	v_div_fixup_f32 v3, v8, v7, v3
	v_min_f32_e32 v3, 0x43600000, v3
	v_max_f32_e32 v3, 0xc3600000, v3
	v_and_b32_e32 v7, 0x7fffffff, v3
	v_cmp_gt_u32_e32 vcc, s24, v7
	s_and_saveexec_b64 s[4:5], vcc
	s_cbranch_execz .LBB82_83
; %bb.78:                               ;   in Loop: Header=BB82_59 Depth=1
	v_cmp_lt_u32_e32 vcc, s25, v7
	s_mov_b64 s[6:7], 0
                                        ; implicit-def: $vgpr7
	s_and_saveexec_b64 s[8:9], vcc
	s_xor_b64 s[8:9], exec, s[8:9]
	s_cbranch_execnz .LBB82_162
; %bb.79:                               ;   in Loop: Header=BB82_59 Depth=1
	s_or_saveexec_b64 s[8:9], s[8:9]
                                        ; implicit-def: $sgpr12
	s_xor_b64 exec, exec, s[8:9]
	s_cbranch_execnz .LBB82_163
.LBB82_80:                              ;   in Loop: Header=BB82_59 Depth=1
	s_or_b64 exec, exec, s[8:9]
	v_mov_b32_e32 v2, s12
	s_and_saveexec_b64 s[8:9], s[6:7]
.LBB82_81:                              ;   in Loop: Header=BB82_59 Depth=1
	v_lshrrev_b32_e32 v2, 24, v3
	v_and_or_b32 v2, v2, s28, v7
.LBB82_82:                              ;   in Loop: Header=BB82_59 Depth=1
	s_or_b64 exec, exec, s[8:9]
.LBB82_83:                              ;   in Loop: Header=BB82_59 Depth=1
	s_or_b64 exec, exec, s[4:5]
	v_lshlrev_b64 v[8:9], 2, v[0:1]
	v_mov_b32_e32 v3, s20
	v_add_co_u32_e32 v8, vcc, s11, v8
	v_addc_co_u32_e32 v9, vcc, v3, v9, vcc
	v_lshlrev_b32_e32 v3, 16, v5
	v_perm_b32 v2, v2, v3, s29
	v_lshlrev_b32_e32 v3, 8, v6
	v_and_b32_e32 v3, 0xff00, v3
	v_and_b32_e32 v4, 0xff, v4
	v_or3_b32 v2, v2, v3, v4
	global_store_dword v[8:9], v2, off
	v_add_u32_e32 v2, s44, v0
	v_cmp_gt_u32_e32 vcc, s10, v2
	s_mov_b64 s[6:7], -1
	s_and_saveexec_b64 s[4:5], vcc
	s_cbranch_execz .LBB82_58
; %bb.84:                               ;   in Loop: Header=BB82_59 Depth=1
	v_mov_b32_e32 v3, v1
	v_lshlrev_b64 v[4:5], 3, v[2:3]
	v_mov_b32_e32 v7, s46
	v_add_co_u32_e32 v6, vcc, s33, v4
	v_addc_co_u32_e32 v7, vcc, v7, v5, vcc
	global_load_dwordx2 v[16:17], v[6:7], off
	v_mov_b32_e32 v7, s48
	v_add_co_u32_e32 v6, vcc, s47, v4
	v_addc_co_u32_e32 v7, vcc, v7, v5, vcc
	global_load_dwordx2 v[18:19], v[6:7], off
	;; [unrolled: 4-line block ×3, first 2 shown]
	v_lshrrev_b32_e32 v8, 2, v2
	v_and_b32_e32 v8, 0xffffffc, v8
	global_load_dword v9, v8, s[0:1]
	v_mov_b32_e32 v8, 0x80
	s_waitcnt vmcnt(3)
	v_and_b32_e32 v15, 0xffff0000, v16
	v_lshlrev_b32_e32 v20, 16, v16
	v_alignbit_b32 v16, v17, v16, 16
	v_and_b32_e32 v21, 0xffff0000, v17
	v_and_b32_e32 v16, 0xffff0000, v16
	s_waitcnt vmcnt(2)
	v_and_b32_e32 v17, 0xffff0000, v18
	v_lshlrev_b32_e32 v22, 16, v18
	v_alignbit_b32 v18, v19, v18, 16
	v_and_b32_e32 v19, 0xffff0000, v19
	v_add_f32_e32 v17, v15, v17
	v_add_f32_e32 v15, v21, v19
	v_bfe_u32 v21, v15, 16, 1
	v_add_f32_e32 v20, v20, v22
	v_and_b32_e32 v18, 0xffff0000, v18
	v_bfe_u32 v19, v17, 16, 1
	v_add3_u32 v21, v15, v21, s23
	v_add_f32_e32 v16, v16, v18
	v_bfe_u32 v18, v20, 16, 1
	v_add3_u32 v19, v17, v19, s23
	v_and_b32_e32 v21, 0xffff0000, v21
	v_cmp_o_f32_e32 vcc, v15, v15
	v_mul_f32_e32 v22, v37, v20
	v_add3_u32 v18, v20, v18, s23
	v_bfe_u32 v24, v16, 16, 1
	v_and_b32_e32 v19, 0xffff0000, v19
	v_cndmask_b32_e32 v21, v13, v21, vcc
	v_cmp_o_f32_e32 vcc, v17, v17
	v_bfe_u32 v25, v22, 16, 1
	v_lshrrev_b32_e32 v18, 16, v18
	v_add3_u32 v24, v16, v24, s23
	v_cndmask_b32_e32 v19, v13, v19, vcc
	v_cmp_o_f32_e32 vcc, v20, v20
	v_add3_u32 v25, v22, v25, s23
	v_lshrrev_b32_e32 v24, 16, v24
	v_cndmask_b32_e32 v18, v14, v18, vcc
	v_cmp_o_f32_e32 vcc, v16, v16
	v_and_b32_e32 v20, 0xffff0000, v25
	v_cndmask_b32_e32 v24, v14, v24, vcc
	v_cmp_o_f32_e32 vcc, v22, v22
	s_waitcnt vmcnt(1)
	v_lshlrev_b32_e32 v23, 16, v4
	v_cndmask_b32_e32 v20, v13, v20, vcc
	v_mul_f32_e32 v20, v20, v23
	v_or_b32_e32 v18, v18, v19
	v_or3_b32 v19, 0, v24, v21
	v_bfe_u32 v21, v20, 16, 1
	v_add3_u32 v21, v20, v21, s23
	v_and_b32_e32 v21, 0xffff0000, v21
	v_cmp_o_f32_e32 vcc, v20, v20
	v_cndmask_b32_e32 v20, v13, v21, vcc
	s_waitcnt vmcnt(0)
	v_div_scale_f32 v21, s[6:7], v9, v9, v20
	v_rcp_f32_e32 v22, v21
	v_or3_b32 v18, v18, 0, 0
	global_store_dwordx2 v[6:7], v[18:19], off
	v_div_scale_f32 v6, vcc, v20, v9, v20
	v_fma_f32 v7, -v21, v22, 1.0
	v_fmac_f32_e32 v22, v7, v22
	v_mul_f32_e32 v7, v6, v22
	v_fma_f32 v18, -v21, v7, v6
	v_fmac_f32_e32 v7, v18, v22
	v_fma_f32 v6, -v21, v7, v6
	v_div_fmas_f32 v6, v6, v22, v7
	v_div_fixup_f32 v6, v6, v9, v20
	v_min_f32_e32 v6, 0x43600000, v6
	v_max_f32_e32 v7, 0xc3600000, v6
	v_and_b32_e32 v18, 0x7fffffff, v7
	v_cmp_gt_u32_e32 vcc, s24, v18
	v_mov_b32_e32 v6, 0x80
	s_and_saveexec_b64 s[6:7], vcc
	s_cbranch_execz .LBB82_90
; %bb.85:                               ;   in Loop: Header=BB82_59 Depth=1
	v_cmp_lt_u32_e32 vcc, s25, v18
	s_mov_b64 s[8:9], 0
                                        ; implicit-def: $vgpr18
	s_and_saveexec_b64 s[12:13], vcc
	s_xor_b64 s[12:13], exec, s[12:13]
	s_cbranch_execnz .LBB82_164
; %bb.86:                               ;   in Loop: Header=BB82_59 Depth=1
	s_or_saveexec_b64 s[12:13], s[12:13]
                                        ; implicit-def: $sgpr14
	s_xor_b64 exec, exec, s[12:13]
	s_cbranch_execnz .LBB82_165
.LBB82_87:                              ;   in Loop: Header=BB82_59 Depth=1
	s_or_b64 exec, exec, s[12:13]
	v_mov_b32_e32 v6, s14
	s_and_saveexec_b64 s[12:13], s[8:9]
.LBB82_88:                              ;   in Loop: Header=BB82_59 Depth=1
	v_lshrrev_b32_e32 v6, 24, v7
	v_and_or_b32 v6, v6, s28, v18
.LBB82_89:                              ;   in Loop: Header=BB82_59 Depth=1
	s_or_b64 exec, exec, s[12:13]
.LBB82_90:                              ;   in Loop: Header=BB82_59 Depth=1
	s_or_b64 exec, exec, s[6:7]
	v_mul_f32_e32 v17, v37, v17
	v_bfe_u32 v18, v17, 16, 1
	v_add3_u32 v18, v17, v18, s23
	v_and_b32_e32 v18, 0xffff0000, v18
	v_cmp_o_f32_e32 vcc, v17, v17
	v_and_b32_e32 v7, 0xffff0000, v4
	v_cndmask_b32_e32 v17, v13, v18, vcc
	v_mul_f32_e32 v7, v17, v7
	v_bfe_u32 v17, v7, 16, 1
	v_add3_u32 v17, v7, v17, s23
	v_and_b32_e32 v17, 0xffff0000, v17
	v_cmp_o_f32_e32 vcc, v7, v7
	v_cndmask_b32_e32 v7, v13, v17, vcc
	v_div_scale_f32 v17, s[6:7], v9, v9, v7
	v_rcp_f32_e32 v18, v17
	v_fma_f32 v19, -v17, v18, 1.0
	v_fmac_f32_e32 v18, v19, v18
	v_div_scale_f32 v19, vcc, v7, v9, v7
	v_mul_f32_e32 v20, v19, v18
	v_fma_f32 v21, -v17, v20, v19
	v_fmac_f32_e32 v20, v21, v18
	v_fma_f32 v17, -v17, v20, v19
	v_div_fmas_f32 v17, v17, v18, v20
	v_div_fixup_f32 v7, v17, v9, v7
	v_min_f32_e32 v7, 0x43600000, v7
	v_max_f32_e32 v7, 0xc3600000, v7
	v_and_b32_e32 v17, 0x7fffffff, v7
	v_cmp_gt_u32_e32 vcc, s24, v17
	s_and_saveexec_b64 s[6:7], vcc
	s_cbranch_execz .LBB82_96
; %bb.91:                               ;   in Loop: Header=BB82_59 Depth=1
	v_cmp_lt_u32_e32 vcc, s25, v17
	s_mov_b64 s[8:9], 0
                                        ; implicit-def: $vgpr17
	s_and_saveexec_b64 s[12:13], vcc
	s_xor_b64 s[12:13], exec, s[12:13]
	s_cbranch_execnz .LBB82_166
; %bb.92:                               ;   in Loop: Header=BB82_59 Depth=1
	s_or_saveexec_b64 s[12:13], s[12:13]
                                        ; implicit-def: $sgpr14
	s_xor_b64 exec, exec, s[12:13]
	s_cbranch_execnz .LBB82_167
.LBB82_93:                              ;   in Loop: Header=BB82_59 Depth=1
	s_or_b64 exec, exec, s[12:13]
	v_mov_b32_e32 v8, s14
	s_and_saveexec_b64 s[12:13], s[8:9]
.LBB82_94:                              ;   in Loop: Header=BB82_59 Depth=1
	v_lshrrev_b32_e32 v7, 24, v7
	v_and_or_b32 v8, v7, s28, v17
.LBB82_95:                              ;   in Loop: Header=BB82_59 Depth=1
	s_or_b64 exec, exec, s[12:13]
.LBB82_96:                              ;   in Loop: Header=BB82_59 Depth=1
	s_or_b64 exec, exec, s[6:7]
	v_mul_f32_e32 v7, v37, v16
	v_bfe_u32 v16, v7, 16, 1
	v_add3_u32 v16, v7, v16, s23
	v_and_b32_e32 v16, 0xffff0000, v16
	v_cmp_o_f32_e32 vcc, v7, v7
	v_alignbit_b32 v4, v5, v4, 16
	v_cndmask_b32_e32 v7, v13, v16, vcc
	v_and_b32_e32 v4, 0xffff0000, v4
	v_mul_f32_e32 v4, v7, v4
	v_bfe_u32 v7, v4, 16, 1
	v_add3_u32 v7, v4, v7, s23
	v_and_b32_e32 v7, 0xffff0000, v7
	v_cmp_o_f32_e32 vcc, v4, v4
	v_cndmask_b32_e32 v4, v13, v7, vcc
	v_div_scale_f32 v7, s[6:7], v9, v9, v4
	v_rcp_f32_e32 v16, v7
	v_fma_f32 v17, -v7, v16, 1.0
	v_fmac_f32_e32 v16, v17, v16
	v_div_scale_f32 v17, vcc, v4, v9, v4
	v_mul_f32_e32 v18, v17, v16
	v_fma_f32 v19, -v7, v18, v17
	v_fmac_f32_e32 v18, v19, v16
	v_fma_f32 v7, -v7, v18, v17
	v_div_fmas_f32 v7, v7, v16, v18
	v_div_fixup_f32 v4, v7, v9, v4
	v_min_f32_e32 v4, 0x43600000, v4
	v_max_f32_e32 v16, 0xc3600000, v4
	v_and_b32_e32 v17, 0x7fffffff, v16
	v_cmp_gt_u32_e32 vcc, s24, v17
	v_mov_b32_e32 v4, 0x80
	v_mov_b32_e32 v7, 0x80
	s_and_saveexec_b64 s[6:7], vcc
	s_cbranch_execz .LBB82_102
; %bb.97:                               ;   in Loop: Header=BB82_59 Depth=1
	v_cmp_lt_u32_e32 vcc, s25, v17
	s_mov_b64 s[8:9], 0
                                        ; implicit-def: $vgpr17
	s_and_saveexec_b64 s[12:13], vcc
	s_xor_b64 s[12:13], exec, s[12:13]
	s_cbranch_execnz .LBB82_168
; %bb.98:                               ;   in Loop: Header=BB82_59 Depth=1
	s_or_saveexec_b64 s[12:13], s[12:13]
                                        ; implicit-def: $sgpr14
	s_xor_b64 exec, exec, s[12:13]
	s_cbranch_execnz .LBB82_169
.LBB82_99:                              ;   in Loop: Header=BB82_59 Depth=1
	s_or_b64 exec, exec, s[12:13]
	v_mov_b32_e32 v7, s14
	s_and_saveexec_b64 s[12:13], s[8:9]
.LBB82_100:                             ;   in Loop: Header=BB82_59 Depth=1
	v_lshrrev_b32_e32 v7, 24, v16
	v_and_or_b32 v7, v7, s28, v17
.LBB82_101:                             ;   in Loop: Header=BB82_59 Depth=1
	s_or_b64 exec, exec, s[12:13]
.LBB82_102:                             ;   in Loop: Header=BB82_59 Depth=1
	s_or_b64 exec, exec, s[6:7]
	v_mul_f32_e32 v15, v37, v15
	v_bfe_u32 v16, v15, 16, 1
	v_add3_u32 v16, v15, v16, s23
	v_and_b32_e32 v16, 0xffff0000, v16
	v_cmp_o_f32_e32 vcc, v15, v15
	v_cndmask_b32_e32 v15, v13, v16, vcc
	v_and_b32_e32 v5, 0xffff0000, v5
	v_mul_f32_e32 v5, v15, v5
	v_bfe_u32 v15, v5, 16, 1
	v_add3_u32 v15, v5, v15, s23
	v_and_b32_e32 v15, 0xffff0000, v15
	v_cmp_o_f32_e32 vcc, v5, v5
	v_cndmask_b32_e32 v5, v13, v15, vcc
	v_div_scale_f32 v15, s[6:7], v9, v9, v5
	v_rcp_f32_e32 v16, v15
	v_fma_f32 v17, -v15, v16, 1.0
	v_fmac_f32_e32 v16, v17, v16
	v_div_scale_f32 v17, vcc, v5, v9, v5
	v_mul_f32_e32 v18, v17, v16
	v_fma_f32 v19, -v15, v18, v17
	v_fmac_f32_e32 v18, v19, v16
	v_fma_f32 v15, -v15, v18, v17
	v_div_fmas_f32 v15, v15, v16, v18
	v_div_fixup_f32 v5, v15, v9, v5
	v_min_f32_e32 v5, 0x43600000, v5
	v_max_f32_e32 v5, 0xc3600000, v5
	v_and_b32_e32 v9, 0x7fffffff, v5
	v_cmp_gt_u32_e32 vcc, s24, v9
	s_and_saveexec_b64 s[6:7], vcc
	s_cbranch_execz .LBB82_108
; %bb.103:                              ;   in Loop: Header=BB82_59 Depth=1
	v_cmp_lt_u32_e32 vcc, s25, v9
	s_mov_b64 s[8:9], 0
                                        ; implicit-def: $vgpr9
	s_and_saveexec_b64 s[12:13], vcc
	s_xor_b64 s[12:13], exec, s[12:13]
	s_cbranch_execnz .LBB82_170
; %bb.104:                              ;   in Loop: Header=BB82_59 Depth=1
	s_or_saveexec_b64 s[12:13], s[12:13]
                                        ; implicit-def: $sgpr14
	s_xor_b64 exec, exec, s[12:13]
	s_cbranch_execnz .LBB82_171
.LBB82_105:                             ;   in Loop: Header=BB82_59 Depth=1
	s_or_b64 exec, exec, s[12:13]
	v_mov_b32_e32 v4, s14
	s_and_saveexec_b64 s[12:13], s[8:9]
.LBB82_106:                             ;   in Loop: Header=BB82_59 Depth=1
	v_lshrrev_b32_e32 v4, 24, v5
	v_and_or_b32 v4, v4, s28, v9
.LBB82_107:                             ;   in Loop: Header=BB82_59 Depth=1
	s_or_b64 exec, exec, s[12:13]
.LBB82_108:                             ;   in Loop: Header=BB82_59 Depth=1
	s_or_b64 exec, exec, s[6:7]
	v_lshlrev_b64 v[16:17], 2, v[2:3]
	v_mov_b32_e32 v3, s20
	v_add_co_u32_e32 v16, vcc, s11, v16
	v_addc_co_u32_e32 v17, vcc, v3, v17, vcc
	v_lshlrev_b32_e32 v3, 16, v7
	v_perm_b32 v3, v4, v3, s29
	v_lshlrev_b32_e32 v4, 8, v8
	v_and_b32_e32 v4, 0xff00, v4
	v_and_b32_e32 v5, 0xff, v6
	v_or3_b32 v3, v3, v4, v5
	v_add_u32_e32 v4, s22, v0
	v_cmp_gt_u32_e32 vcc, s10, v4
	s_mov_b64 s[8:9], -1
	global_store_dword v[16:17], v3, off
	s_and_saveexec_b64 s[6:7], vcc
	s_cbranch_execz .LBB82_57
; %bb.109:                              ;   in Loop: Header=BB82_59 Depth=1
	v_mov_b32_e32 v5, v1
	v_lshlrev_b64 v[6:7], 3, v[4:5]
	v_mov_b32_e32 v3, s46
	v_add_co_u32_e32 v8, vcc, s33, v6
	v_addc_co_u32_e32 v9, vcc, v3, v7, vcc
	global_load_dwordx2 v[16:17], v[8:9], off
	v_mov_b32_e32 v9, s48
	v_add_co_u32_e32 v8, vcc, s47, v6
	v_addc_co_u32_e32 v9, vcc, v9, v7, vcc
	global_load_dwordx2 v[18:19], v[8:9], off
	;; [unrolled: 4-line block ×3, first 2 shown]
	v_lshrrev_b32_e32 v3, 2, v4
	v_and_b32_e32 v3, 0xffffffc, v3
	global_load_dword v15, v3, s[0:1]
	v_mov_b32_e32 v3, 0x80
	s_waitcnt vmcnt(3)
	v_and_b32_e32 v20, 0xffff0000, v16
	v_lshlrev_b32_e32 v21, 16, v16
	v_alignbit_b32 v16, v17, v16, 16
	v_and_b32_e32 v17, 0xffff0000, v17
	v_and_b32_e32 v26, 0xffff0000, v16
	s_waitcnt vmcnt(2)
	v_alignbit_b32 v24, v19, v18, 16
	v_and_b32_e32 v19, 0xffff0000, v19
	v_and_b32_e32 v22, 0xffff0000, v18
	v_add_f32_e32 v16, v17, v19
	v_lshlrev_b32_e32 v23, 16, v18
	v_add_f32_e32 v18, v20, v22
	v_and_b32_e32 v20, 0xffff0000, v24
	v_bfe_u32 v22, v16, 16, 1
	v_add_f32_e32 v21, v21, v23
	v_add_f32_e32 v17, v26, v20
	v_bfe_u32 v20, v18, 16, 1
	v_add3_u32 v22, v16, v22, s23
	v_bfe_u32 v19, v21, 16, 1
	v_add3_u32 v20, v18, v20, s23
	v_and_b32_e32 v22, 0xffff0000, v22
	v_cmp_o_f32_e32 vcc, v16, v16
	v_mul_f32_e32 v23, v37, v21
	v_add3_u32 v19, v21, v19, s23
	v_bfe_u32 v24, v17, 16, 1
	v_and_b32_e32 v20, 0xffff0000, v20
	v_cndmask_b32_e32 v22, v13, v22, vcc
	v_cmp_o_f32_e32 vcc, v18, v18
	v_bfe_u32 v26, v23, 16, 1
	v_lshrrev_b32_e32 v19, 16, v19
	v_add3_u32 v24, v17, v24, s23
	v_cndmask_b32_e32 v20, v13, v20, vcc
	v_cmp_o_f32_e32 vcc, v21, v21
	v_add3_u32 v26, v23, v26, s23
	v_lshrrev_b32_e32 v24, 16, v24
	v_cndmask_b32_e32 v19, v14, v19, vcc
	v_cmp_o_f32_e32 vcc, v17, v17
	v_and_b32_e32 v21, 0xffff0000, v26
	v_cndmask_b32_e32 v24, v14, v24, vcc
	v_cmp_o_f32_e32 vcc, v23, v23
	s_waitcnt vmcnt(1)
	v_lshlrev_b32_e32 v25, 16, v6
	v_or_b32_e32 v19, v19, v20
	v_cndmask_b32_e32 v23, v13, v21, vcc
	v_or3_b32 v20, v19, 0, 0
	v_mul_f32_e32 v19, v23, v25
	v_or3_b32 v21, 0, v24, v22
	v_bfe_u32 v22, v19, 16, 1
	v_add3_u32 v22, v19, v22, s23
	v_and_b32_e32 v22, 0xffff0000, v22
	v_cmp_o_f32_e32 vcc, v19, v19
	v_cndmask_b32_e32 v19, v13, v22, vcc
	s_waitcnt vmcnt(0)
	v_div_scale_f32 v22, s[8:9], v15, v15, v19
	v_rcp_f32_e32 v23, v22
	global_store_dwordx2 v[8:9], v[20:21], off
	v_div_scale_f32 v8, vcc, v19, v15, v19
	v_fma_f32 v9, -v22, v23, 1.0
	v_fmac_f32_e32 v23, v9, v23
	v_mul_f32_e32 v9, v8, v23
	v_fma_f32 v20, -v22, v9, v8
	v_fmac_f32_e32 v9, v20, v23
	v_fma_f32 v8, -v22, v9, v8
	v_div_fmas_f32 v8, v8, v23, v9
	v_div_fixup_f32 v8, v8, v15, v19
	v_min_f32_e32 v8, 0x43600000, v8
	v_max_f32_e32 v9, 0xc3600000, v8
	v_and_b32_e32 v19, 0x7fffffff, v9
	v_cmp_gt_u32_e32 vcc, s24, v19
	v_mov_b32_e32 v8, 0x80
	s_and_saveexec_b64 s[8:9], vcc
	s_cbranch_execz .LBB82_115
; %bb.110:                              ;   in Loop: Header=BB82_59 Depth=1
	v_cmp_lt_u32_e32 vcc, s25, v19
	s_mov_b64 s[12:13], 0
                                        ; implicit-def: $vgpr19
	s_and_saveexec_b64 s[14:15], vcc
	s_xor_b64 s[14:15], exec, s[14:15]
	s_cbranch_execnz .LBB82_172
; %bb.111:                              ;   in Loop: Header=BB82_59 Depth=1
	s_or_saveexec_b64 s[14:15], s[14:15]
                                        ; implicit-def: $sgpr16
	s_xor_b64 exec, exec, s[14:15]
	s_cbranch_execnz .LBB82_173
.LBB82_112:                             ;   in Loop: Header=BB82_59 Depth=1
	s_or_b64 exec, exec, s[14:15]
	v_mov_b32_e32 v8, s16
	s_and_saveexec_b64 s[14:15], s[12:13]
.LBB82_113:                             ;   in Loop: Header=BB82_59 Depth=1
	v_lshrrev_b32_e32 v8, 24, v9
	v_and_or_b32 v8, v8, s28, v19
.LBB82_114:                             ;   in Loop: Header=BB82_59 Depth=1
	s_or_b64 exec, exec, s[14:15]
.LBB82_115:                             ;   in Loop: Header=BB82_59 Depth=1
	s_or_b64 exec, exec, s[8:9]
	v_mul_f32_e32 v18, v37, v18
	v_bfe_u32 v19, v18, 16, 1
	v_add3_u32 v19, v18, v19, s23
	v_and_b32_e32 v19, 0xffff0000, v19
	v_cmp_o_f32_e32 vcc, v18, v18
	v_and_b32_e32 v9, 0xffff0000, v6
	v_cndmask_b32_e32 v18, v13, v19, vcc
	v_mul_f32_e32 v9, v18, v9
	v_bfe_u32 v18, v9, 16, 1
	v_add3_u32 v18, v9, v18, s23
	v_and_b32_e32 v18, 0xffff0000, v18
	v_cmp_o_f32_e32 vcc, v9, v9
	v_cndmask_b32_e32 v9, v13, v18, vcc
	v_div_scale_f32 v18, s[8:9], v15, v15, v9
	v_rcp_f32_e32 v19, v18
	v_fma_f32 v20, -v18, v19, 1.0
	v_fmac_f32_e32 v19, v20, v19
	v_div_scale_f32 v20, vcc, v9, v15, v9
	v_mul_f32_e32 v21, v20, v19
	v_fma_f32 v22, -v18, v21, v20
	v_fmac_f32_e32 v21, v22, v19
	v_fma_f32 v18, -v18, v21, v20
	v_div_fmas_f32 v18, v18, v19, v21
	v_div_fixup_f32 v9, v18, v15, v9
	v_min_f32_e32 v9, 0x43600000, v9
	v_max_f32_e32 v9, 0xc3600000, v9
	v_and_b32_e32 v18, 0x7fffffff, v9
	v_cmp_gt_u32_e32 vcc, s24, v18
	s_and_saveexec_b64 s[8:9], vcc
	s_cbranch_execz .LBB82_121
; %bb.116:                              ;   in Loop: Header=BB82_59 Depth=1
	v_cmp_lt_u32_e32 vcc, s25, v18
	s_mov_b64 s[12:13], 0
                                        ; implicit-def: $vgpr18
	s_and_saveexec_b64 s[14:15], vcc
	s_xor_b64 s[14:15], exec, s[14:15]
	s_cbranch_execnz .LBB82_174
; %bb.117:                              ;   in Loop: Header=BB82_59 Depth=1
	s_or_saveexec_b64 s[14:15], s[14:15]
                                        ; implicit-def: $sgpr16
	s_xor_b64 exec, exec, s[14:15]
	s_cbranch_execnz .LBB82_175
.LBB82_118:                             ;   in Loop: Header=BB82_59 Depth=1
	s_or_b64 exec, exec, s[14:15]
	v_mov_b32_e32 v3, s16
	s_and_saveexec_b64 s[14:15], s[12:13]
.LBB82_119:                             ;   in Loop: Header=BB82_59 Depth=1
	v_lshrrev_b32_e32 v3, 24, v9
	v_and_or_b32 v3, v3, s28, v18
.LBB82_120:                             ;   in Loop: Header=BB82_59 Depth=1
	s_or_b64 exec, exec, s[14:15]
.LBB82_121:                             ;   in Loop: Header=BB82_59 Depth=1
	s_or_b64 exec, exec, s[8:9]
	v_mul_f32_e32 v9, v37, v17
	v_bfe_u32 v17, v9, 16, 1
	v_add3_u32 v17, v9, v17, s23
	v_and_b32_e32 v17, 0xffff0000, v17
	v_cmp_o_f32_e32 vcc, v9, v9
	v_alignbit_b32 v6, v7, v6, 16
	v_cndmask_b32_e32 v9, v13, v17, vcc
	v_and_b32_e32 v6, 0xffff0000, v6
	v_mul_f32_e32 v6, v9, v6
	v_bfe_u32 v9, v6, 16, 1
	v_add3_u32 v9, v6, v9, s23
	v_and_b32_e32 v9, 0xffff0000, v9
	v_cmp_o_f32_e32 vcc, v6, v6
	v_cndmask_b32_e32 v6, v13, v9, vcc
	v_div_scale_f32 v9, s[8:9], v15, v15, v6
	v_rcp_f32_e32 v17, v9
	v_fma_f32 v18, -v9, v17, 1.0
	v_fmac_f32_e32 v17, v18, v17
	v_div_scale_f32 v18, vcc, v6, v15, v6
	v_mul_f32_e32 v19, v18, v17
	v_fma_f32 v20, -v9, v19, v18
	v_fmac_f32_e32 v19, v20, v17
	v_fma_f32 v9, -v9, v19, v18
	v_div_fmas_f32 v9, v9, v17, v19
	v_div_fixup_f32 v6, v9, v15, v6
	v_min_f32_e32 v6, 0x43600000, v6
	v_max_f32_e32 v17, 0xc3600000, v6
	v_and_b32_e32 v18, 0x7fffffff, v17
	v_cmp_gt_u32_e32 vcc, s24, v18
	v_mov_b32_e32 v6, 0x80
	v_mov_b32_e32 v9, 0x80
	s_and_saveexec_b64 s[8:9], vcc
	s_cbranch_execz .LBB82_127
; %bb.122:                              ;   in Loop: Header=BB82_59 Depth=1
	v_cmp_lt_u32_e32 vcc, s25, v18
	s_mov_b64 s[12:13], 0
                                        ; implicit-def: $vgpr18
	s_and_saveexec_b64 s[14:15], vcc
	s_xor_b64 s[14:15], exec, s[14:15]
	s_cbranch_execnz .LBB82_176
; %bb.123:                              ;   in Loop: Header=BB82_59 Depth=1
	s_or_saveexec_b64 s[14:15], s[14:15]
                                        ; implicit-def: $sgpr16
	s_xor_b64 exec, exec, s[14:15]
	s_cbranch_execnz .LBB82_177
.LBB82_124:                             ;   in Loop: Header=BB82_59 Depth=1
	s_or_b64 exec, exec, s[14:15]
	v_mov_b32_e32 v9, s16
	s_and_saveexec_b64 s[14:15], s[12:13]
.LBB82_125:                             ;   in Loop: Header=BB82_59 Depth=1
	v_lshrrev_b32_e32 v9, 24, v17
	v_and_or_b32 v9, v9, s28, v18
.LBB82_126:                             ;   in Loop: Header=BB82_59 Depth=1
	s_or_b64 exec, exec, s[14:15]
.LBB82_127:                             ;   in Loop: Header=BB82_59 Depth=1
	s_or_b64 exec, exec, s[8:9]
	v_mul_f32_e32 v16, v37, v16
	v_bfe_u32 v17, v16, 16, 1
	v_add3_u32 v17, v16, v17, s23
	v_and_b32_e32 v17, 0xffff0000, v17
	v_cmp_o_f32_e32 vcc, v16, v16
	v_cndmask_b32_e32 v16, v13, v17, vcc
	v_and_b32_e32 v7, 0xffff0000, v7
	v_mul_f32_e32 v7, v16, v7
	v_bfe_u32 v16, v7, 16, 1
	v_add3_u32 v16, v7, v16, s23
	v_and_b32_e32 v16, 0xffff0000, v16
	v_cmp_o_f32_e32 vcc, v7, v7
	v_cndmask_b32_e32 v7, v13, v16, vcc
	v_div_scale_f32 v16, s[8:9], v15, v15, v7
	v_rcp_f32_e32 v17, v16
	v_fma_f32 v18, -v16, v17, 1.0
	v_fmac_f32_e32 v17, v18, v17
	v_div_scale_f32 v18, vcc, v7, v15, v7
	v_mul_f32_e32 v19, v18, v17
	v_fma_f32 v20, -v16, v19, v18
	v_fmac_f32_e32 v19, v20, v17
	v_fma_f32 v16, -v16, v19, v18
	v_div_fmas_f32 v16, v16, v17, v19
	v_div_fixup_f32 v7, v16, v15, v7
	v_min_f32_e32 v7, 0x43600000, v7
	v_max_f32_e32 v7, 0xc3600000, v7
	v_and_b32_e32 v15, 0x7fffffff, v7
	v_cmp_gt_u32_e32 vcc, s24, v15
	s_and_saveexec_b64 s[8:9], vcc
	s_cbranch_execz .LBB82_133
; %bb.128:                              ;   in Loop: Header=BB82_59 Depth=1
	v_cmp_lt_u32_e32 vcc, s25, v15
	s_mov_b64 s[12:13], 0
                                        ; implicit-def: $vgpr15
	s_and_saveexec_b64 s[14:15], vcc
	s_xor_b64 s[14:15], exec, s[14:15]
	s_cbranch_execnz .LBB82_178
; %bb.129:                              ;   in Loop: Header=BB82_59 Depth=1
	s_or_saveexec_b64 s[14:15], s[14:15]
                                        ; implicit-def: $sgpr16
	s_xor_b64 exec, exec, s[14:15]
	s_cbranch_execnz .LBB82_179
.LBB82_130:                             ;   in Loop: Header=BB82_59 Depth=1
	s_or_b64 exec, exec, s[14:15]
	v_mov_b32_e32 v6, s16
	s_and_saveexec_b64 s[14:15], s[12:13]
.LBB82_131:                             ;   in Loop: Header=BB82_59 Depth=1
	v_lshrrev_b32_e32 v6, 24, v7
	v_and_or_b32 v6, v6, s28, v15
.LBB82_132:                             ;   in Loop: Header=BB82_59 Depth=1
	s_or_b64 exec, exec, s[14:15]
.LBB82_133:                             ;   in Loop: Header=BB82_59 Depth=1
	s_or_b64 exec, exec, s[8:9]
	v_lshlrev_b64 v[4:5], 2, v[4:5]
	v_mov_b32_e32 v7, s20
	v_add_co_u32_e32 v4, vcc, s11, v4
	v_addc_co_u32_e32 v5, vcc, v7, v5, vcc
	v_lshlrev_b32_e32 v7, 16, v9
	v_lshlrev_b32_e32 v3, 8, v3
	v_perm_b32 v6, v6, v7, s29
	v_and_b32_e32 v3, 0xff00, v3
	v_and_b32_e32 v7, 0xff, v8
	v_add_u32_e32 v0, s21, v0
	v_or3_b32 v3, v6, v3, v7
	v_cmp_gt_u32_e32 vcc, s10, v0
	s_mov_b64 s[12:13], -1
	global_store_dword v[4:5], v3, off
	s_and_saveexec_b64 s[8:9], vcc
	s_cbranch_execz .LBB82_56
; %bb.134:                              ;   in Loop: Header=BB82_59 Depth=1
	v_lshlrev_b64 v[4:5], 3, v[0:1]
	v_mov_b32_e32 v3, s46
	v_add_co_u32_e32 v6, vcc, s33, v4
	v_addc_co_u32_e32 v7, vcc, v3, v5, vcc
	global_load_dwordx2 v[16:17], v[6:7], off
	v_mov_b32_e32 v7, s48
	v_add_co_u32_e32 v6, vcc, s47, v4
	v_addc_co_u32_e32 v7, vcc, v7, v5, vcc
	global_load_dwordx2 v[18:19], v[6:7], off
	;; [unrolled: 4-line block ×3, first 2 shown]
	v_lshrrev_b32_e32 v3, 2, v0
	v_and_b32_e32 v3, 0xffffffc, v3
	global_load_dword v8, v3, s[0:1]
	v_mov_b32_e32 v3, 0x80
	s_waitcnt vmcnt(3)
	v_and_b32_e32 v9, 0xffff0000, v16
	v_lshlrev_b32_e32 v15, 16, v16
	v_alignbit_b32 v16, v17, v16, 16
	v_and_b32_e32 v17, 0xffff0000, v17
	v_and_b32_e32 v23, 0xffff0000, v16
	s_waitcnt vmcnt(2)
	v_and_b32_e32 v20, 0xffff0000, v18
	v_lshlrev_b32_e32 v21, 16, v18
	v_alignbit_b32 v18, v19, v18, 16
	v_and_b32_e32 v19, 0xffff0000, v19
	v_add_f32_e32 v16, v9, v20
	v_add_f32_e32 v9, v17, v19
	v_bfe_u32 v19, v9, 16, 1
	v_add_f32_e32 v21, v15, v21
	v_and_b32_e32 v15, 0xffff0000, v18
	v_bfe_u32 v18, v16, 16, 1
	v_add3_u32 v19, v9, v19, s23
	v_add_f32_e32 v15, v23, v15
	v_bfe_u32 v17, v21, 16, 1
	v_add3_u32 v18, v16, v18, s23
	v_and_b32_e32 v19, 0xffff0000, v19
	v_cmp_o_f32_e32 vcc, v9, v9
	v_mul_f32_e32 v20, v37, v21
	v_add3_u32 v17, v21, v17, s23
	v_bfe_u32 v23, v15, 16, 1
	v_and_b32_e32 v18, 0xffff0000, v18
	v_cndmask_b32_e32 v19, v13, v19, vcc
	v_cmp_o_f32_e32 vcc, v16, v16
	v_bfe_u32 v24, v20, 16, 1
	v_lshrrev_b32_e32 v17, 16, v17
	v_add3_u32 v23, v15, v23, s23
	v_cndmask_b32_e32 v18, v13, v18, vcc
	v_cmp_o_f32_e32 vcc, v21, v21
	v_add3_u32 v24, v20, v24, s23
	v_lshrrev_b32_e32 v23, 16, v23
	v_cndmask_b32_e32 v17, v14, v17, vcc
	v_cmp_o_f32_e32 vcc, v15, v15
	v_and_b32_e32 v21, 0xffff0000, v24
	v_cndmask_b32_e32 v23, v14, v23, vcc
	v_cmp_o_f32_e32 vcc, v20, v20
	s_waitcnt vmcnt(1)
	v_lshlrev_b32_e32 v22, 16, v4
	v_or_b32_e32 v17, v17, v18
	v_cndmask_b32_e32 v20, v13, v21, vcc
	v_or3_b32 v18, v17, 0, 0
	v_mul_f32_e32 v17, v20, v22
	v_bfe_u32 v20, v17, 16, 1
	v_add3_u32 v20, v17, v20, s23
	v_and_b32_e32 v20, 0xffff0000, v20
	v_cmp_o_f32_e32 vcc, v17, v17
	v_cndmask_b32_e32 v17, v13, v20, vcc
	s_waitcnt vmcnt(0)
	v_div_scale_f32 v20, s[12:13], v8, v8, v17
	v_rcp_f32_e32 v21, v20
	v_or3_b32 v19, 0, v23, v19
	global_store_dwordx2 v[6:7], v[18:19], off
	v_div_scale_f32 v6, vcc, v17, v8, v17
	v_fma_f32 v7, -v20, v21, 1.0
	v_fmac_f32_e32 v21, v7, v21
	v_mul_f32_e32 v7, v6, v21
	v_fma_f32 v18, -v20, v7, v6
	v_fmac_f32_e32 v7, v18, v21
	v_fma_f32 v6, -v20, v7, v6
	v_div_fmas_f32 v6, v6, v21, v7
	v_div_fixup_f32 v6, v6, v8, v17
	v_min_f32_e32 v6, 0x43600000, v6
	v_max_f32_e32 v7, 0xc3600000, v6
	v_and_b32_e32 v17, 0x7fffffff, v7
	v_cmp_gt_u32_e32 vcc, s24, v17
	v_mov_b32_e32 v6, 0x80
	s_and_saveexec_b64 s[12:13], vcc
	s_cbranch_execz .LBB82_140
; %bb.135:                              ;   in Loop: Header=BB82_59 Depth=1
	v_cmp_lt_u32_e32 vcc, s25, v17
	s_mov_b64 s[14:15], 0
                                        ; implicit-def: $vgpr17
	s_and_saveexec_b64 s[16:17], vcc
	s_xor_b64 s[16:17], exec, s[16:17]
	s_cbranch_execnz .LBB82_180
; %bb.136:                              ;   in Loop: Header=BB82_59 Depth=1
	s_or_saveexec_b64 s[16:17], s[16:17]
                                        ; implicit-def: $sgpr30
	s_xor_b64 exec, exec, s[16:17]
	s_cbranch_execnz .LBB82_181
.LBB82_137:                             ;   in Loop: Header=BB82_59 Depth=1
	s_or_b64 exec, exec, s[16:17]
	v_mov_b32_e32 v6, s30
	s_and_saveexec_b64 s[16:17], s[14:15]
.LBB82_138:                             ;   in Loop: Header=BB82_59 Depth=1
	v_lshrrev_b32_e32 v6, 24, v7
	v_and_or_b32 v6, v6, s28, v17
.LBB82_139:                             ;   in Loop: Header=BB82_59 Depth=1
	s_or_b64 exec, exec, s[16:17]
.LBB82_140:                             ;   in Loop: Header=BB82_59 Depth=1
	s_or_b64 exec, exec, s[12:13]
	v_mul_f32_e32 v16, v37, v16
	v_bfe_u32 v17, v16, 16, 1
	v_add3_u32 v17, v16, v17, s23
	v_and_b32_e32 v17, 0xffff0000, v17
	v_cmp_o_f32_e32 vcc, v16, v16
	v_and_b32_e32 v7, 0xffff0000, v4
	v_cndmask_b32_e32 v16, v13, v17, vcc
	v_mul_f32_e32 v7, v16, v7
	v_bfe_u32 v16, v7, 16, 1
	v_add3_u32 v16, v7, v16, s23
	v_and_b32_e32 v16, 0xffff0000, v16
	v_cmp_o_f32_e32 vcc, v7, v7
	v_cndmask_b32_e32 v7, v13, v16, vcc
	v_div_scale_f32 v16, s[12:13], v8, v8, v7
	v_rcp_f32_e32 v17, v16
	v_fma_f32 v18, -v16, v17, 1.0
	v_fmac_f32_e32 v17, v18, v17
	v_div_scale_f32 v18, vcc, v7, v8, v7
	v_mul_f32_e32 v19, v18, v17
	v_fma_f32 v20, -v16, v19, v18
	v_fmac_f32_e32 v19, v20, v17
	v_fma_f32 v16, -v16, v19, v18
	v_div_fmas_f32 v16, v16, v17, v19
	v_div_fixup_f32 v7, v16, v8, v7
	v_min_f32_e32 v7, 0x43600000, v7
	v_max_f32_e32 v7, 0xc3600000, v7
	v_and_b32_e32 v16, 0x7fffffff, v7
	v_cmp_gt_u32_e32 vcc, s24, v16
	s_and_saveexec_b64 s[12:13], vcc
	s_cbranch_execz .LBB82_146
; %bb.141:                              ;   in Loop: Header=BB82_59 Depth=1
	v_cmp_lt_u32_e32 vcc, s25, v16
	s_mov_b64 s[14:15], 0
                                        ; implicit-def: $vgpr16
	s_and_saveexec_b64 s[16:17], vcc
	s_xor_b64 s[16:17], exec, s[16:17]
	s_cbranch_execnz .LBB82_182
; %bb.142:                              ;   in Loop: Header=BB82_59 Depth=1
	s_or_saveexec_b64 s[16:17], s[16:17]
                                        ; implicit-def: $sgpr30
	s_xor_b64 exec, exec, s[16:17]
	s_cbranch_execnz .LBB82_183
.LBB82_143:                             ;   in Loop: Header=BB82_59 Depth=1
	s_or_b64 exec, exec, s[16:17]
	v_mov_b32_e32 v3, s30
	s_and_saveexec_b64 s[16:17], s[14:15]
.LBB82_144:                             ;   in Loop: Header=BB82_59 Depth=1
	v_lshrrev_b32_e32 v3, 24, v7
	v_and_or_b32 v3, v3, s28, v16
.LBB82_145:                             ;   in Loop: Header=BB82_59 Depth=1
	s_or_b64 exec, exec, s[16:17]
.LBB82_146:                             ;   in Loop: Header=BB82_59 Depth=1
	s_or_b64 exec, exec, s[12:13]
	v_mul_f32_e32 v7, v37, v15
	v_bfe_u32 v15, v7, 16, 1
	v_add3_u32 v15, v7, v15, s23
	v_and_b32_e32 v15, 0xffff0000, v15
	v_cmp_o_f32_e32 vcc, v7, v7
	v_alignbit_b32 v4, v5, v4, 16
	v_cndmask_b32_e32 v7, v13, v15, vcc
	v_and_b32_e32 v4, 0xffff0000, v4
	v_mul_f32_e32 v4, v7, v4
	v_bfe_u32 v7, v4, 16, 1
	v_add3_u32 v7, v4, v7, s23
	v_and_b32_e32 v7, 0xffff0000, v7
	v_cmp_o_f32_e32 vcc, v4, v4
	v_cndmask_b32_e32 v4, v13, v7, vcc
	v_div_scale_f32 v7, s[12:13], v8, v8, v4
	v_rcp_f32_e32 v15, v7
	v_fma_f32 v16, -v7, v15, 1.0
	v_fmac_f32_e32 v15, v16, v15
	v_div_scale_f32 v16, vcc, v4, v8, v4
	v_mul_f32_e32 v17, v16, v15
	v_fma_f32 v18, -v7, v17, v16
	v_fmac_f32_e32 v17, v18, v15
	v_fma_f32 v7, -v7, v17, v16
	v_div_fmas_f32 v7, v7, v15, v17
	v_div_fixup_f32 v4, v7, v8, v4
	v_min_f32_e32 v4, 0x43600000, v4
	v_max_f32_e32 v15, 0xc3600000, v4
	v_and_b32_e32 v16, 0x7fffffff, v15
	v_cmp_gt_u32_e32 vcc, s24, v16
	v_mov_b32_e32 v4, 0x80
	v_mov_b32_e32 v7, 0x80
	s_and_saveexec_b64 s[12:13], vcc
	s_cbranch_execz .LBB82_152
; %bb.147:                              ;   in Loop: Header=BB82_59 Depth=1
	v_cmp_lt_u32_e32 vcc, s25, v16
	s_mov_b64 s[14:15], 0
                                        ; implicit-def: $vgpr16
	s_and_saveexec_b64 s[16:17], vcc
	s_xor_b64 s[16:17], exec, s[16:17]
	s_cbranch_execnz .LBB82_184
; %bb.148:                              ;   in Loop: Header=BB82_59 Depth=1
	s_or_saveexec_b64 s[16:17], s[16:17]
                                        ; implicit-def: $sgpr30
	s_xor_b64 exec, exec, s[16:17]
	s_cbranch_execnz .LBB82_185
.LBB82_149:                             ;   in Loop: Header=BB82_59 Depth=1
	s_or_b64 exec, exec, s[16:17]
	v_mov_b32_e32 v7, s30
	s_and_saveexec_b64 s[16:17], s[14:15]
.LBB82_150:                             ;   in Loop: Header=BB82_59 Depth=1
	v_lshrrev_b32_e32 v7, 24, v15
	v_and_or_b32 v7, v7, s28, v16
.LBB82_151:                             ;   in Loop: Header=BB82_59 Depth=1
	s_or_b64 exec, exec, s[16:17]
.LBB82_152:                             ;   in Loop: Header=BB82_59 Depth=1
	s_or_b64 exec, exec, s[12:13]
	v_mul_f32_e32 v9, v37, v9
	v_bfe_u32 v15, v9, 16, 1
	v_add3_u32 v15, v9, v15, s23
	v_and_b32_e32 v15, 0xffff0000, v15
	v_cmp_o_f32_e32 vcc, v9, v9
	v_cndmask_b32_e32 v9, v13, v15, vcc
	v_and_b32_e32 v5, 0xffff0000, v5
	v_mul_f32_e32 v5, v9, v5
	v_bfe_u32 v9, v5, 16, 1
	v_add3_u32 v9, v5, v9, s23
	v_and_b32_e32 v9, 0xffff0000, v9
	v_cmp_o_f32_e32 vcc, v5, v5
	v_cndmask_b32_e32 v5, v13, v9, vcc
	v_div_scale_f32 v9, s[12:13], v8, v8, v5
	v_rcp_f32_e32 v15, v9
	v_fma_f32 v16, -v9, v15, 1.0
	v_fmac_f32_e32 v15, v16, v15
	v_div_scale_f32 v16, vcc, v5, v8, v5
	v_mul_f32_e32 v17, v16, v15
	v_fma_f32 v18, -v9, v17, v16
	v_fmac_f32_e32 v17, v18, v15
	v_fma_f32 v9, -v9, v17, v16
	v_div_fmas_f32 v9, v9, v15, v17
	v_div_fixup_f32 v5, v9, v8, v5
	v_min_f32_e32 v5, 0x43600000, v5
	v_max_f32_e32 v5, 0xc3600000, v5
	v_and_b32_e32 v8, 0x7fffffff, v5
	v_cmp_gt_u32_e32 vcc, s24, v8
	s_and_saveexec_b64 s[12:13], vcc
	s_cbranch_execz .LBB82_55
; %bb.153:                              ;   in Loop: Header=BB82_59 Depth=1
	v_cmp_lt_u32_e32 vcc, s25, v8
	s_mov_b64 s[14:15], 0
                                        ; implicit-def: $vgpr8
	s_and_saveexec_b64 s[16:17], vcc
	s_xor_b64 s[16:17], exec, s[16:17]
	s_cbranch_execnz .LBB82_186
; %bb.154:                              ;   in Loop: Header=BB82_59 Depth=1
	s_or_saveexec_b64 s[16:17], s[16:17]
                                        ; implicit-def: $sgpr30
	s_xor_b64 exec, exec, s[16:17]
	s_cbranch_execnz .LBB82_187
.LBB82_155:                             ;   in Loop: Header=BB82_59 Depth=1
	s_or_b64 exec, exec, s[16:17]
	v_mov_b32_e32 v4, s30
	s_and_saveexec_b64 s[16:17], s[14:15]
	s_cbranch_execz .LBB82_54
	s_branch .LBB82_188
.LBB82_156:                             ;   in Loop: Header=BB82_59 Depth=1
	v_bfe_u32 v4, v5, 20, 1
	v_add3_u32 v4, v5, v4, s26
	s_mov_b64 s[6:7], exec
	v_lshrrev_b32_e32 v16, 20, v4
	s_or_saveexec_b64 s[8:9], s[8:9]
                                        ; implicit-def: $sgpr12
	s_xor_b64 exec, exec, s[8:9]
	s_cbranch_execz .LBB82_62
.LBB82_157:                             ;   in Loop: Header=BB82_59 Depth=1
	v_add_f32_e64 v4, |v5|, s27
	v_and_b32_e32 v16, 0xff, v4
	v_cmp_ne_u32_e32 vcc, 0, v16
	s_andn2_b64 s[6:7], s[6:7], exec
	s_and_b64 s[14:15], vcc, exec
	s_mov_b32 s12, 0
	s_or_b64 s[6:7], s[6:7], s[14:15]
	s_or_b64 exec, exec, s[8:9]
	v_mov_b32_e32 v4, s12
	s_and_saveexec_b64 s[8:9], s[6:7]
	s_cbranch_execnz .LBB82_63
	s_branch .LBB82_64
.LBB82_158:                             ;   in Loop: Header=BB82_59 Depth=1
	v_bfe_u32 v6, v5, 20, 1
	v_add3_u32 v6, v5, v6, s26
	s_mov_b64 s[6:7], exec
	v_lshrrev_b32_e32 v15, 20, v6
	s_or_saveexec_b64 s[8:9], s[8:9]
                                        ; implicit-def: $sgpr12
	s_xor_b64 exec, exec, s[8:9]
	s_cbranch_execz .LBB82_68
.LBB82_159:                             ;   in Loop: Header=BB82_59 Depth=1
	v_add_f32_e64 v6, |v5|, s27
	v_and_b32_e32 v15, 0xff, v6
	v_cmp_ne_u32_e32 vcc, 0, v15
	s_andn2_b64 s[6:7], s[6:7], exec
	s_and_b64 s[14:15], vcc, exec
	s_mov_b32 s12, 0
	s_or_b64 s[6:7], s[6:7], s[14:15]
	s_or_b64 exec, exec, s[8:9]
	v_mov_b32_e32 v6, s12
	s_and_saveexec_b64 s[8:9], s[6:7]
	s_cbranch_execnz .LBB82_69
	s_branch .LBB82_70
.LBB82_160:                             ;   in Loop: Header=BB82_59 Depth=1
	v_bfe_u32 v5, v9, 20, 1
	v_add3_u32 v5, v9, v5, s26
	s_mov_b64 s[6:7], exec
	v_lshrrev_b32_e32 v15, 20, v5
	s_or_saveexec_b64 s[8:9], s[8:9]
                                        ; implicit-def: $sgpr12
	s_xor_b64 exec, exec, s[8:9]
	s_cbranch_execz .LBB82_74
.LBB82_161:                             ;   in Loop: Header=BB82_59 Depth=1
	v_add_f32_e64 v5, |v9|, s27
	v_and_b32_e32 v15, 0xff, v5
	v_cmp_ne_u32_e32 vcc, 0, v15
	s_andn2_b64 s[6:7], s[6:7], exec
	s_and_b64 s[14:15], vcc, exec
	s_mov_b32 s12, 0
	s_or_b64 s[6:7], s[6:7], s[14:15]
	s_or_b64 exec, exec, s[8:9]
	v_mov_b32_e32 v5, s12
	s_and_saveexec_b64 s[8:9], s[6:7]
	s_cbranch_execnz .LBB82_75
	s_branch .LBB82_76
.LBB82_162:                             ;   in Loop: Header=BB82_59 Depth=1
	v_bfe_u32 v2, v3, 20, 1
	v_add3_u32 v2, v3, v2, s26
	s_mov_b64 s[6:7], exec
	v_lshrrev_b32_e32 v7, 20, v2
	s_or_saveexec_b64 s[8:9], s[8:9]
                                        ; implicit-def: $sgpr12
	s_xor_b64 exec, exec, s[8:9]
	s_cbranch_execz .LBB82_80
.LBB82_163:                             ;   in Loop: Header=BB82_59 Depth=1
	v_add_f32_e64 v2, |v3|, s27
	v_and_b32_e32 v7, 0xff, v2
	v_cmp_ne_u32_e32 vcc, 0, v7
	s_andn2_b64 s[6:7], s[6:7], exec
	s_and_b64 s[14:15], vcc, exec
	s_mov_b32 s12, 0
	s_or_b64 s[6:7], s[6:7], s[14:15]
	s_or_b64 exec, exec, s[8:9]
	v_mov_b32_e32 v2, s12
	s_and_saveexec_b64 s[8:9], s[6:7]
	s_cbranch_execnz .LBB82_81
	s_branch .LBB82_82
.LBB82_164:                             ;   in Loop: Header=BB82_59 Depth=1
	v_bfe_u32 v6, v7, 20, 1
	v_add3_u32 v6, v7, v6, s26
	s_mov_b64 s[8:9], exec
	v_lshrrev_b32_e32 v18, 20, v6
	s_or_saveexec_b64 s[12:13], s[12:13]
                                        ; implicit-def: $sgpr14
	s_xor_b64 exec, exec, s[12:13]
	s_cbranch_execz .LBB82_87
.LBB82_165:                             ;   in Loop: Header=BB82_59 Depth=1
	v_add_f32_e64 v6, |v7|, s27
	v_and_b32_e32 v18, 0xff, v6
	v_cmp_ne_u32_e32 vcc, 0, v18
	s_andn2_b64 s[8:9], s[8:9], exec
	s_and_b64 s[16:17], vcc, exec
	s_mov_b32 s14, 0
	s_or_b64 s[8:9], s[8:9], s[16:17]
	s_or_b64 exec, exec, s[12:13]
	v_mov_b32_e32 v6, s14
	s_and_saveexec_b64 s[12:13], s[8:9]
	s_cbranch_execnz .LBB82_88
	s_branch .LBB82_89
.LBB82_166:                             ;   in Loop: Header=BB82_59 Depth=1
	v_bfe_u32 v8, v7, 20, 1
	v_add3_u32 v8, v7, v8, s26
	s_mov_b64 s[8:9], exec
	v_lshrrev_b32_e32 v17, 20, v8
	s_or_saveexec_b64 s[12:13], s[12:13]
                                        ; implicit-def: $sgpr14
	s_xor_b64 exec, exec, s[12:13]
	s_cbranch_execz .LBB82_93
.LBB82_167:                             ;   in Loop: Header=BB82_59 Depth=1
	v_add_f32_e64 v8, |v7|, s27
	v_and_b32_e32 v17, 0xff, v8
	v_cmp_ne_u32_e32 vcc, 0, v17
	s_andn2_b64 s[8:9], s[8:9], exec
	s_and_b64 s[16:17], vcc, exec
	s_mov_b32 s14, 0
	s_or_b64 s[8:9], s[8:9], s[16:17]
	s_or_b64 exec, exec, s[12:13]
	v_mov_b32_e32 v8, s14
	s_and_saveexec_b64 s[12:13], s[8:9]
	s_cbranch_execnz .LBB82_94
	s_branch .LBB82_95
.LBB82_168:                             ;   in Loop: Header=BB82_59 Depth=1
	v_bfe_u32 v7, v16, 20, 1
	v_add3_u32 v7, v16, v7, s26
	s_mov_b64 s[8:9], exec
	v_lshrrev_b32_e32 v17, 20, v7
	s_or_saveexec_b64 s[12:13], s[12:13]
                                        ; implicit-def: $sgpr14
	s_xor_b64 exec, exec, s[12:13]
	s_cbranch_execz .LBB82_99
.LBB82_169:                             ;   in Loop: Header=BB82_59 Depth=1
	v_add_f32_e64 v7, |v16|, s27
	v_and_b32_e32 v17, 0xff, v7
	v_cmp_ne_u32_e32 vcc, 0, v17
	s_andn2_b64 s[8:9], s[8:9], exec
	s_and_b64 s[16:17], vcc, exec
	s_mov_b32 s14, 0
	s_or_b64 s[8:9], s[8:9], s[16:17]
	s_or_b64 exec, exec, s[12:13]
	v_mov_b32_e32 v7, s14
	s_and_saveexec_b64 s[12:13], s[8:9]
	s_cbranch_execnz .LBB82_100
	s_branch .LBB82_101
.LBB82_170:                             ;   in Loop: Header=BB82_59 Depth=1
	v_bfe_u32 v4, v5, 20, 1
	v_add3_u32 v4, v5, v4, s26
	s_mov_b64 s[8:9], exec
	v_lshrrev_b32_e32 v9, 20, v4
	s_or_saveexec_b64 s[12:13], s[12:13]
                                        ; implicit-def: $sgpr14
	s_xor_b64 exec, exec, s[12:13]
	s_cbranch_execz .LBB82_105
.LBB82_171:                             ;   in Loop: Header=BB82_59 Depth=1
	v_add_f32_e64 v4, |v5|, s27
	v_and_b32_e32 v9, 0xff, v4
	v_cmp_ne_u32_e32 vcc, 0, v9
	s_andn2_b64 s[8:9], s[8:9], exec
	s_and_b64 s[16:17], vcc, exec
	s_mov_b32 s14, 0
	s_or_b64 s[8:9], s[8:9], s[16:17]
	s_or_b64 exec, exec, s[12:13]
	v_mov_b32_e32 v4, s14
	s_and_saveexec_b64 s[12:13], s[8:9]
	s_cbranch_execnz .LBB82_106
	s_branch .LBB82_107
.LBB82_172:                             ;   in Loop: Header=BB82_59 Depth=1
	v_bfe_u32 v8, v9, 20, 1
	v_add3_u32 v8, v9, v8, s26
	s_mov_b64 s[12:13], exec
	v_lshrrev_b32_e32 v19, 20, v8
	s_or_saveexec_b64 s[14:15], s[14:15]
                                        ; implicit-def: $sgpr16
	s_xor_b64 exec, exec, s[14:15]
	s_cbranch_execz .LBB82_112
.LBB82_173:                             ;   in Loop: Header=BB82_59 Depth=1
	v_add_f32_e64 v8, |v9|, s27
	v_and_b32_e32 v19, 0xff, v8
	v_cmp_ne_u32_e32 vcc, 0, v19
	s_andn2_b64 s[12:13], s[12:13], exec
	s_and_b64 s[30:31], vcc, exec
	s_mov_b32 s16, 0
	s_or_b64 s[12:13], s[12:13], s[30:31]
	s_or_b64 exec, exec, s[14:15]
	v_mov_b32_e32 v8, s16
	s_and_saveexec_b64 s[14:15], s[12:13]
	s_cbranch_execnz .LBB82_113
	s_branch .LBB82_114
.LBB82_174:                             ;   in Loop: Header=BB82_59 Depth=1
	v_bfe_u32 v3, v9, 20, 1
	v_add3_u32 v3, v9, v3, s26
	s_mov_b64 s[12:13], exec
	v_lshrrev_b32_e32 v18, 20, v3
	s_or_saveexec_b64 s[14:15], s[14:15]
                                        ; implicit-def: $sgpr16
	s_xor_b64 exec, exec, s[14:15]
	s_cbranch_execz .LBB82_118
.LBB82_175:                             ;   in Loop: Header=BB82_59 Depth=1
	v_add_f32_e64 v3, |v9|, s27
	v_and_b32_e32 v18, 0xff, v3
	v_cmp_ne_u32_e32 vcc, 0, v18
	s_andn2_b64 s[12:13], s[12:13], exec
	s_and_b64 s[30:31], vcc, exec
	s_mov_b32 s16, 0
	s_or_b64 s[12:13], s[12:13], s[30:31]
	s_or_b64 exec, exec, s[14:15]
	v_mov_b32_e32 v3, s16
	s_and_saveexec_b64 s[14:15], s[12:13]
	s_cbranch_execnz .LBB82_119
	s_branch .LBB82_120
.LBB82_176:                             ;   in Loop: Header=BB82_59 Depth=1
	v_bfe_u32 v9, v17, 20, 1
	v_add3_u32 v9, v17, v9, s26
	s_mov_b64 s[12:13], exec
	v_lshrrev_b32_e32 v18, 20, v9
	s_or_saveexec_b64 s[14:15], s[14:15]
                                        ; implicit-def: $sgpr16
	s_xor_b64 exec, exec, s[14:15]
	s_cbranch_execz .LBB82_124
.LBB82_177:                             ;   in Loop: Header=BB82_59 Depth=1
	v_add_f32_e64 v9, |v17|, s27
	v_and_b32_e32 v18, 0xff, v9
	v_cmp_ne_u32_e32 vcc, 0, v18
	s_andn2_b64 s[12:13], s[12:13], exec
	s_and_b64 s[30:31], vcc, exec
	s_mov_b32 s16, 0
	s_or_b64 s[12:13], s[12:13], s[30:31]
	s_or_b64 exec, exec, s[14:15]
	v_mov_b32_e32 v9, s16
	s_and_saveexec_b64 s[14:15], s[12:13]
	s_cbranch_execnz .LBB82_125
	s_branch .LBB82_126
.LBB82_178:                             ;   in Loop: Header=BB82_59 Depth=1
	v_bfe_u32 v6, v7, 20, 1
	v_add3_u32 v6, v7, v6, s26
	s_mov_b64 s[12:13], exec
	v_lshrrev_b32_e32 v15, 20, v6
	s_or_saveexec_b64 s[14:15], s[14:15]
                                        ; implicit-def: $sgpr16
	s_xor_b64 exec, exec, s[14:15]
	s_cbranch_execz .LBB82_130
.LBB82_179:                             ;   in Loop: Header=BB82_59 Depth=1
	v_add_f32_e64 v6, |v7|, s27
	v_and_b32_e32 v15, 0xff, v6
	v_cmp_ne_u32_e32 vcc, 0, v15
	s_andn2_b64 s[12:13], s[12:13], exec
	s_and_b64 s[30:31], vcc, exec
	s_mov_b32 s16, 0
	s_or_b64 s[12:13], s[12:13], s[30:31]
	s_or_b64 exec, exec, s[14:15]
	v_mov_b32_e32 v6, s16
	s_and_saveexec_b64 s[14:15], s[12:13]
	s_cbranch_execnz .LBB82_131
	s_branch .LBB82_132
.LBB82_180:                             ;   in Loop: Header=BB82_59 Depth=1
	v_bfe_u32 v6, v7, 20, 1
	v_add3_u32 v6, v7, v6, s26
	s_mov_b64 s[14:15], exec
	v_lshrrev_b32_e32 v17, 20, v6
	s_or_saveexec_b64 s[16:17], s[16:17]
                                        ; implicit-def: $sgpr30
	s_xor_b64 exec, exec, s[16:17]
	s_cbranch_execz .LBB82_137
.LBB82_181:                             ;   in Loop: Header=BB82_59 Depth=1
	v_add_f32_e64 v6, |v7|, s27
	v_and_b32_e32 v17, 0xff, v6
	v_cmp_ne_u32_e32 vcc, 0, v17
	s_andn2_b64 s[14:15], s[14:15], exec
	s_and_b64 s[34:35], vcc, exec
	s_mov_b32 s30, 0
	s_or_b64 s[14:15], s[14:15], s[34:35]
	s_or_b64 exec, exec, s[16:17]
	v_mov_b32_e32 v6, s30
	s_and_saveexec_b64 s[16:17], s[14:15]
	s_cbranch_execnz .LBB82_138
	s_branch .LBB82_139
.LBB82_182:                             ;   in Loop: Header=BB82_59 Depth=1
	v_bfe_u32 v3, v7, 20, 1
	v_add3_u32 v3, v7, v3, s26
	s_mov_b64 s[14:15], exec
	v_lshrrev_b32_e32 v16, 20, v3
	s_or_saveexec_b64 s[16:17], s[16:17]
                                        ; implicit-def: $sgpr30
	s_xor_b64 exec, exec, s[16:17]
	s_cbranch_execz .LBB82_143
.LBB82_183:                             ;   in Loop: Header=BB82_59 Depth=1
	v_add_f32_e64 v3, |v7|, s27
	v_and_b32_e32 v16, 0xff, v3
	v_cmp_ne_u32_e32 vcc, 0, v16
	s_andn2_b64 s[14:15], s[14:15], exec
	s_and_b64 s[34:35], vcc, exec
	s_mov_b32 s30, 0
	s_or_b64 s[14:15], s[14:15], s[34:35]
	s_or_b64 exec, exec, s[16:17]
	v_mov_b32_e32 v3, s30
	s_and_saveexec_b64 s[16:17], s[14:15]
	s_cbranch_execnz .LBB82_144
	s_branch .LBB82_145
.LBB82_184:                             ;   in Loop: Header=BB82_59 Depth=1
	v_bfe_u32 v7, v15, 20, 1
	v_add3_u32 v7, v15, v7, s26
	s_mov_b64 s[14:15], exec
	v_lshrrev_b32_e32 v16, 20, v7
	s_or_saveexec_b64 s[16:17], s[16:17]
                                        ; implicit-def: $sgpr30
	s_xor_b64 exec, exec, s[16:17]
	s_cbranch_execz .LBB82_149
.LBB82_185:                             ;   in Loop: Header=BB82_59 Depth=1
	v_add_f32_e64 v7, |v15|, s27
	v_and_b32_e32 v16, 0xff, v7
	v_cmp_ne_u32_e32 vcc, 0, v16
	s_andn2_b64 s[14:15], s[14:15], exec
	s_and_b64 s[34:35], vcc, exec
	s_mov_b32 s30, 0
	s_or_b64 s[14:15], s[14:15], s[34:35]
	s_or_b64 exec, exec, s[16:17]
	v_mov_b32_e32 v7, s30
	s_and_saveexec_b64 s[16:17], s[14:15]
	s_cbranch_execnz .LBB82_150
	s_branch .LBB82_151
.LBB82_186:                             ;   in Loop: Header=BB82_59 Depth=1
	v_bfe_u32 v4, v5, 20, 1
	v_add3_u32 v4, v5, v4, s26
	s_mov_b64 s[14:15], exec
	v_lshrrev_b32_e32 v8, 20, v4
	s_or_saveexec_b64 s[16:17], s[16:17]
                                        ; implicit-def: $sgpr30
	s_xor_b64 exec, exec, s[16:17]
	s_cbranch_execz .LBB82_155
.LBB82_187:                             ;   in Loop: Header=BB82_59 Depth=1
	v_add_f32_e64 v4, |v5|, s27
	v_and_b32_e32 v8, 0xff, v4
	v_cmp_ne_u32_e32 vcc, 0, v8
	s_andn2_b64 s[14:15], s[14:15], exec
	s_and_b64 s[34:35], vcc, exec
	s_mov_b32 s30, 0
	s_or_b64 s[14:15], s[14:15], s[34:35]
	s_or_b64 exec, exec, s[16:17]
	v_mov_b32_e32 v4, s30
	s_and_saveexec_b64 s[16:17], s[14:15]
	s_cbranch_execz .LBB82_54
.LBB82_188:                             ;   in Loop: Header=BB82_59 Depth=1
	v_lshrrev_b32_e32 v4, 24, v5
	v_and_or_b32 v4, v4, s28, v8
	s_branch .LBB82_54
.LBB82_189:
	s_endpgm
	.section	.rodata,"a",@progbits
	.p2align	6, 0x0
	.amdhsa_kernel _ZN4vllm31rms_norm_per_block_quant_kernelIN3c108BFloat16ENS1_15Float8_e4m3fnuzELb1ELb0ELi64EEEvPT0_PfPKT_S9_PKffiiPS7_l
		.amdhsa_group_segment_fixed_size 4164
		.amdhsa_private_segment_fixed_size 0
		.amdhsa_kernarg_size 328
		.amdhsa_user_sgpr_count 6
		.amdhsa_user_sgpr_private_segment_buffer 1
		.amdhsa_user_sgpr_dispatch_ptr 0
		.amdhsa_user_sgpr_queue_ptr 0
		.amdhsa_user_sgpr_kernarg_segment_ptr 1
		.amdhsa_user_sgpr_dispatch_id 0
		.amdhsa_user_sgpr_flat_scratch_init 0
		.amdhsa_user_sgpr_kernarg_preload_length 0
		.amdhsa_user_sgpr_kernarg_preload_offset 0
		.amdhsa_user_sgpr_private_segment_size 0
		.amdhsa_uses_dynamic_stack 0
		.amdhsa_system_sgpr_private_segment_wavefront_offset 0
		.amdhsa_system_sgpr_workgroup_id_x 1
		.amdhsa_system_sgpr_workgroup_id_y 0
		.amdhsa_system_sgpr_workgroup_id_z 0
		.amdhsa_system_sgpr_workgroup_info 0
		.amdhsa_system_vgpr_workitem_id 0
		.amdhsa_next_free_vgpr 55
		.amdhsa_next_free_sgpr 49
		.amdhsa_accum_offset 56
		.amdhsa_reserve_vcc 1
		.amdhsa_reserve_flat_scratch 0
		.amdhsa_float_round_mode_32 0
		.amdhsa_float_round_mode_16_64 0
		.amdhsa_float_denorm_mode_32 3
		.amdhsa_float_denorm_mode_16_64 3
		.amdhsa_dx10_clamp 1
		.amdhsa_ieee_mode 1
		.amdhsa_fp16_overflow 0
		.amdhsa_tg_split 0
		.amdhsa_exception_fp_ieee_invalid_op 0
		.amdhsa_exception_fp_denorm_src 0
		.amdhsa_exception_fp_ieee_div_zero 0
		.amdhsa_exception_fp_ieee_overflow 0
		.amdhsa_exception_fp_ieee_underflow 0
		.amdhsa_exception_fp_ieee_inexact 0
		.amdhsa_exception_int_div_zero 0
	.end_amdhsa_kernel
	.section	.text._ZN4vllm31rms_norm_per_block_quant_kernelIN3c108BFloat16ENS1_15Float8_e4m3fnuzELb1ELb0ELi64EEEvPT0_PfPKT_S9_PKffiiPS7_l,"axG",@progbits,_ZN4vllm31rms_norm_per_block_quant_kernelIN3c108BFloat16ENS1_15Float8_e4m3fnuzELb1ELb0ELi64EEEvPT0_PfPKT_S9_PKffiiPS7_l,comdat
.Lfunc_end82:
	.size	_ZN4vllm31rms_norm_per_block_quant_kernelIN3c108BFloat16ENS1_15Float8_e4m3fnuzELb1ELb0ELi64EEEvPT0_PfPKT_S9_PKffiiPS7_l, .Lfunc_end82-_ZN4vllm31rms_norm_per_block_quant_kernelIN3c108BFloat16ENS1_15Float8_e4m3fnuzELb1ELb0ELi64EEEvPT0_PfPKT_S9_PKffiiPS7_l
                                        ; -- End function
	.section	.AMDGPU.csdata,"",@progbits
; Kernel info:
; codeLenInByte = 13776
; NumSgprs: 53
; NumVgprs: 55
; NumAgprs: 0
; TotalNumVgprs: 55
; ScratchSize: 0
; MemoryBound: 0
; FloatMode: 240
; IeeeMode: 1
; LDSByteSize: 4164 bytes/workgroup (compile time only)
; SGPRBlocks: 6
; VGPRBlocks: 6
; NumSGPRsForWavesPerEU: 53
; NumVGPRsForWavesPerEU: 55
; AccumOffset: 56
; Occupancy: 8
; WaveLimiterHint : 0
; COMPUTE_PGM_RSRC2:SCRATCH_EN: 0
; COMPUTE_PGM_RSRC2:USER_SGPR: 6
; COMPUTE_PGM_RSRC2:TRAP_HANDLER: 0
; COMPUTE_PGM_RSRC2:TGID_X_EN: 1
; COMPUTE_PGM_RSRC2:TGID_Y_EN: 0
; COMPUTE_PGM_RSRC2:TGID_Z_EN: 0
; COMPUTE_PGM_RSRC2:TIDIG_COMP_CNT: 0
; COMPUTE_PGM_RSRC3_GFX90A:ACCUM_OFFSET: 13
; COMPUTE_PGM_RSRC3_GFX90A:TG_SPLIT: 0
	.section	.text._ZN4vllm31rms_norm_per_block_quant_kernelIN3c108BFloat16EaLb1ELb0ELi64EEEvPT0_PfPKT_S8_PKffiiPS6_l,"axG",@progbits,_ZN4vllm31rms_norm_per_block_quant_kernelIN3c108BFloat16EaLb1ELb0ELi64EEEvPT0_PfPKT_S8_PKffiiPS6_l,comdat
	.protected	_ZN4vllm31rms_norm_per_block_quant_kernelIN3c108BFloat16EaLb1ELb0ELi64EEEvPT0_PfPKT_S8_PKffiiPS6_l ; -- Begin function _ZN4vllm31rms_norm_per_block_quant_kernelIN3c108BFloat16EaLb1ELb0ELi64EEEvPT0_PfPKT_S8_PKffiiPS6_l
	.globl	_ZN4vllm31rms_norm_per_block_quant_kernelIN3c108BFloat16EaLb1ELb0ELi64EEEvPT0_PfPKT_S8_PKffiiPS6_l
	.p2align	8
	.type	_ZN4vllm31rms_norm_per_block_quant_kernelIN3c108BFloat16EaLb1ELb0ELi64EEEvPT0_PfPKT_S8_PKffiiPS6_l,@function
_ZN4vllm31rms_norm_per_block_quant_kernelIN3c108BFloat16EaLb1ELb0ELi64EEEvPT0_PfPKT_S8_PKffiiPS6_l: ; @_ZN4vllm31rms_norm_per_block_quant_kernelIN3c108BFloat16EaLb1ELb0ELi64EEEvPT0_PfPKT_S8_PKffiiPS6_l
; %bb.0:
	s_load_dwordx4 s[8:11], s[4:5], 0x28
	s_load_dwordx8 s[12:19], s[4:5], 0x0
	s_load_dwordx2 s[34:35], s[4:5], 0x38
	v_mov_b32_e32 v1, 0
	s_waitcnt lgkmcnt(0)
	s_ashr_i32 s0, s10, 31
	s_mul_hi_u32 s1, s10, s6
	s_mul_i32 s0, s0, s6
	s_ashr_i32 s23, s9, 31
	s_add_i32 s1, s1, s0
	s_mul_i32 s0, s10, s6
	s_mul_hi_u32 s2, s9, s6
	s_mul_i32 s3, s23, s6
	s_add_i32 s21, s2, s3
	s_lshl_b64 s[30:31], s[0:1], 1
	s_mul_i32 s20, s9, s6
	s_add_u32 s33, s16, s30
	s_addc_u32 s46, s17, s31
	s_lshl_b64 s[36:37], s[20:21], 1
	s_add_u32 s47, s34, s36
	s_addc_u32 s48, s35, s37
	s_ashr_i32 s10, s9, 2
	s_add_u32 s2, s4, 0x48
	s_mov_b32 s22, s9
	v_cmp_gt_u32_e64 s[0:1], s10, v0
	s_addc_u32 s3, s5, 0
	s_and_saveexec_b64 s[24:25], s[0:1]
	s_cbranch_execz .LBB83_10
; %bb.1:
	s_load_dword s7, s[2:3], 0x0
	v_mov_b32_e32 v3, 0
	v_mov_b32_e32 v9, s46
	;; [unrolled: 1-line block ×4, first 2 shown]
	s_waitcnt lgkmcnt(0)
	s_cmp_lt_u32 s6, s7
	s_cselect_b32 s7, 12, 18
	s_add_u32 s26, s2, s7
	s_addc_u32 s27, s3, 0
	global_load_ushort v8, v3, s[26:27]
	s_mov_b64 s[26:27], 0
                                        ; implicit-def: $sgpr28_sgpr29
	s_waitcnt vmcnt(0)
	v_add_u32_e32 v1, v8, v8
	v_mul_lo_u32 v11, v8, 3
	v_lshlrev_b32_e32 v12, 1, v8
	v_add_u32_e32 v13, v1, v8
	v_mov_b32_e32 v1, v3
	s_branch .LBB83_5
.LBB83_2:                               ;   in Loop: Header=BB83_5 Depth=1
	s_or_b64 exec, exec, s[42:43]
	s_orn2_b64 s[42:43], s[44:45], exec
.LBB83_3:                               ;   in Loop: Header=BB83_5 Depth=1
	s_or_b64 exec, exec, s[40:41]
	s_andn2_b64 s[28:29], s[28:29], exec
	s_and_b64 s[40:41], s[42:43], exec
	s_or_b64 s[28:29], s[28:29], s[40:41]
.LBB83_4:                               ;   in Loop: Header=BB83_5 Depth=1
	s_or_b64 exec, exec, s[38:39]
	s_and_b64 s[38:39], exec, s[28:29]
	s_or_b64 s[26:27], s[38:39], s[26:27]
	s_andn2_b64 exec, exec, s[26:27]
	s_cbranch_execz .LBB83_9
.LBB83_5:                               ; =>This Inner Loop Header: Depth=1
	v_lshlrev_b64 v[4:5], 3, v[2:3]
	v_add_co_u32_e32 v6, vcc, s33, v4
	v_addc_co_u32_e32 v7, vcc, v9, v5, vcc
	v_add_co_u32_e32 v4, vcc, s47, v4
	v_addc_co_u32_e32 v5, vcc, v10, v5, vcc
	global_load_dwordx2 v[6:7], v[6:7], off
	s_or_b64 s[28:29], s[28:29], exec
	global_load_dwordx2 v[14:15], v[4:5], off
	v_add_u32_e32 v4, v2, v8
	v_cmp_gt_u32_e32 vcc, s10, v4
	s_waitcnt vmcnt(1)
	v_lshlrev_b32_e32 v16, 16, v6
	v_and_b32_e32 v5, 0xffff0000, v6
	s_waitcnt vmcnt(0)
	v_lshlrev_b32_e32 v18, 16, v14
	v_alignbit_b32 v6, v7, v6, 16
	v_and_b32_e32 v17, 0xffff0000, v14
	v_alignbit_b32 v14, v15, v14, 16
	v_add_f32_e32 v16, v16, v18
	v_and_b32_e32 v6, 0xffff0000, v6
	v_add_f32_e32 v5, v5, v17
	v_and_b32_e32 v14, 0xffff0000, v14
	v_fmac_f32_e32 v1, v16, v16
	v_and_b32_e32 v7, 0xffff0000, v7
	v_and_b32_e32 v15, 0xffff0000, v15
	v_add_f32_e32 v6, v6, v14
	v_fmac_f32_e32 v1, v5, v5
	v_add_f32_e32 v7, v7, v15
	v_fmac_f32_e32 v1, v6, v6
	v_fmac_f32_e32 v1, v7, v7
	s_and_saveexec_b64 s[38:39], vcc
	s_cbranch_execz .LBB83_4
; %bb.6:                                ;   in Loop: Header=BB83_5 Depth=1
	v_mov_b32_e32 v5, v3
	v_lshlrev_b64 v[6:7], 3, v[4:5]
	v_add_co_u32_e32 v14, vcc, s33, v6
	v_addc_co_u32_e32 v15, vcc, v9, v7, vcc
	v_add_co_u32_e32 v6, vcc, s47, v6
	v_addc_co_u32_e32 v7, vcc, v10, v7, vcc
	global_load_dwordx2 v[14:15], v[14:15], off
	s_mov_b64 s[42:43], -1
	global_load_dwordx2 v[16:17], v[6:7], off
	v_add_u32_e32 v6, v12, v2
	v_cmp_gt_u32_e32 vcc, s10, v6
	s_waitcnt vmcnt(1)
	v_lshlrev_b32_e32 v7, 16, v14
	v_and_b32_e32 v5, 0xffff0000, v14
	s_waitcnt vmcnt(0)
	v_lshlrev_b32_e32 v19, 16, v16
	v_alignbit_b32 v14, v15, v14, 16
	v_and_b32_e32 v18, 0xffff0000, v16
	v_alignbit_b32 v16, v17, v16, 16
	v_add_f32_e32 v7, v7, v19
	v_and_b32_e32 v14, 0xffff0000, v14
	v_add_f32_e32 v5, v5, v18
	v_and_b32_e32 v16, 0xffff0000, v16
	v_fmac_f32_e32 v1, v7, v7
	v_and_b32_e32 v15, 0xffff0000, v15
	v_and_b32_e32 v17, 0xffff0000, v17
	v_add_f32_e32 v14, v14, v16
	v_fmac_f32_e32 v1, v5, v5
	v_add_f32_e32 v15, v15, v17
	v_fmac_f32_e32 v1, v14, v14
	v_fmac_f32_e32 v1, v15, v15
	s_and_saveexec_b64 s[40:41], vcc
	s_cbranch_execz .LBB83_3
; %bb.7:                                ;   in Loop: Header=BB83_5 Depth=1
	v_mov_b32_e32 v7, v3
	v_lshlrev_b64 v[6:7], 3, v[6:7]
	v_add_co_u32_e32 v14, vcc, s33, v6
	v_addc_co_u32_e32 v15, vcc, v9, v7, vcc
	v_add_co_u32_e32 v6, vcc, s47, v6
	v_addc_co_u32_e32 v7, vcc, v10, v7, vcc
	global_load_dwordx2 v[14:15], v[14:15], off
	v_add_u32_e32 v2, v11, v2
	global_load_dwordx2 v[6:7], v[6:7], off
	v_cmp_gt_u32_e32 vcc, s10, v2
	s_mov_b64 s[44:45], -1
	s_waitcnt vmcnt(1)
	v_lshlrev_b32_e32 v16, 16, v14
	v_and_b32_e32 v5, 0xffff0000, v14
	s_waitcnt vmcnt(0)
	v_lshlrev_b32_e32 v18, 16, v6
	v_alignbit_b32 v14, v15, v14, 16
	v_and_b32_e32 v17, 0xffff0000, v6
	v_alignbit_b32 v6, v7, v6, 16
	v_add_f32_e32 v16, v16, v18
	v_and_b32_e32 v14, 0xffff0000, v14
	v_add_f32_e32 v5, v5, v17
	v_and_b32_e32 v6, 0xffff0000, v6
	v_fmac_f32_e32 v1, v16, v16
	v_and_b32_e32 v15, 0xffff0000, v15
	v_and_b32_e32 v7, 0xffff0000, v7
	v_add_f32_e32 v6, v14, v6
	v_fmac_f32_e32 v1, v5, v5
	v_add_f32_e32 v7, v15, v7
	v_fmac_f32_e32 v1, v6, v6
	v_fmac_f32_e32 v1, v7, v7
	s_and_saveexec_b64 s[42:43], vcc
	s_xor_b64 s[42:43], exec, s[42:43]
	s_cbranch_execz .LBB83_2
; %bb.8:                                ;   in Loop: Header=BB83_5 Depth=1
	v_lshlrev_b64 v[6:7], 3, v[2:3]
	v_mov_b32_e32 v2, s46
	v_add_co_u32_e32 v14, vcc, s33, v6
	v_addc_co_u32_e32 v15, vcc, v2, v7, vcc
	v_mov_b32_e32 v2, s48
	v_add_co_u32_e32 v6, vcc, s47, v6
	v_addc_co_u32_e32 v7, vcc, v2, v7, vcc
	global_load_dwordx2 v[14:15], v[14:15], off
	v_add_u32_e32 v2, v13, v4
	global_load_dwordx2 v[6:7], v[6:7], off
	v_cmp_le_u32_e32 vcc, s10, v2
	s_orn2_b64 s[44:45], vcc, exec
	s_waitcnt vmcnt(1)
	v_lshlrev_b32_e32 v5, 16, v14
	v_and_b32_e32 v4, 0xffff0000, v14
	s_waitcnt vmcnt(0)
	v_lshlrev_b32_e32 v17, 16, v6
	v_alignbit_b32 v14, v15, v14, 16
	v_and_b32_e32 v16, 0xffff0000, v6
	v_alignbit_b32 v6, v7, v6, 16
	v_add_f32_e32 v5, v5, v17
	v_and_b32_e32 v14, 0xffff0000, v14
	v_add_f32_e32 v4, v4, v16
	v_and_b32_e32 v6, 0xffff0000, v6
	v_fmac_f32_e32 v1, v5, v5
	v_and_b32_e32 v15, 0xffff0000, v15
	v_and_b32_e32 v7, 0xffff0000, v7
	v_add_f32_e32 v6, v14, v6
	v_fmac_f32_e32 v1, v4, v4
	v_add_f32_e32 v7, v15, v7
	v_fmac_f32_e32 v1, v6, v6
	v_fmac_f32_e32 v1, v7, v7
	s_branch .LBB83_2
.LBB83_9:
	s_or_b64 exec, exec, s[26:27]
.LBB83_10:
	s_or_b64 exec, exec, s[24:25]
	v_mbcnt_lo_u32_b32 v2, -1, 0
	v_mbcnt_hi_u32_b32 v2, -1, v2
	v_and_b32_e32 v3, 63, v2
	v_cmp_ne_u32_e32 vcc, 63, v3
	s_load_dword s2, s[2:3], 0xc
	v_addc_co_u32_e32 v4, vcc, 0, v2, vcc
	v_lshlrev_b32_e32 v4, 2, v4
	ds_bpermute_b32 v4, v4, v1
	s_waitcnt lgkmcnt(0)
	s_and_b32 s44, s2, 0xffff
	v_and_b32_e32 v5, 0x3c0, v0
	v_sub_u32_e64 v5, s44, v5 clamp
	v_add_u32_e32 v6, 1, v2
	v_add_f32_e32 v4, v1, v4
	v_cmp_lt_u32_e32 vcc, v6, v5
	v_cndmask_b32_e32 v1, v1, v4, vcc
	v_cmp_gt_u32_e32 vcc, 62, v3
	v_cndmask_b32_e64 v4, 0, 1, vcc
	v_lshlrev_b32_e32 v4, 1, v4
	v_add_lshl_u32 v4, v4, v2, 2
	ds_bpermute_b32 v4, v4, v1
	v_add_u32_e32 v6, 2, v2
	v_cmp_lt_u32_e32 vcc, v6, v5
	v_add_u32_e32 v6, 4, v2
	s_waitcnt lgkmcnt(0)
	v_add_f32_e32 v4, v1, v4
	v_cndmask_b32_e32 v1, v1, v4, vcc
	v_cmp_gt_u32_e32 vcc, 60, v3
	v_cndmask_b32_e64 v4, 0, 1, vcc
	v_lshlrev_b32_e32 v4, 2, v4
	v_add_lshl_u32 v4, v4, v2, 2
	ds_bpermute_b32 v4, v4, v1
	v_cmp_lt_u32_e32 vcc, v6, v5
	v_add_u32_e32 v6, 8, v2
	s_waitcnt lgkmcnt(0)
	v_add_f32_e32 v4, v1, v4
	v_cndmask_b32_e32 v1, v1, v4, vcc
	v_cmp_gt_u32_e32 vcc, 56, v3
	v_cndmask_b32_e64 v4, 0, 1, vcc
	v_lshlrev_b32_e32 v4, 3, v4
	v_add_lshl_u32 v4, v4, v2, 2
	ds_bpermute_b32 v4, v4, v1
	;; [unrolled: 10-line block ×3, first 2 shown]
	v_cmp_lt_u32_e32 vcc, v6, v5
	s_waitcnt lgkmcnt(0)
	v_add_f32_e32 v4, v1, v4
	v_cndmask_b32_e32 v1, v1, v4, vcc
	v_cmp_gt_u32_e32 vcc, 32, v3
	v_cndmask_b32_e64 v3, 0, 1, vcc
	v_lshlrev_b32_e32 v3, 5, v3
	v_add_lshl_u32 v3, v3, v2, 2
	ds_bpermute_b32 v3, v3, v1
	v_add_u32_e32 v4, 32, v2
	v_cmp_lt_u32_e32 vcc, v4, v5
	s_waitcnt lgkmcnt(0)
	v_add_f32_e32 v3, v1, v3
	v_cndmask_b32_e32 v1, v1, v3, vcc
	v_cmp_eq_u32_e32 vcc, 0, v2
	s_and_saveexec_b64 s[2:3], vcc
	s_cbranch_execz .LBB83_12
; %bb.11:
	v_lshrrev_b32_e32 v3, 4, v0
	v_and_b32_e32 v3, 60, v3
	ds_write_b32 v3, v1 offset:4096
.LBB83_12:
	s_or_b64 exec, exec, s[2:3]
	v_cmp_gt_u32_e32 vcc, 16, v0
	s_waitcnt lgkmcnt(0)
	s_barrier
	s_and_saveexec_b64 s[24:25], vcc
	s_cbranch_execz .LBB83_14
; %bb.13:
	v_lshlrev_b32_e32 v1, 2, v2
	ds_read_b32 v1, v1 offset:4096
	v_and_b32_e32 v3, 15, v2
	v_cmp_ne_u32_e32 vcc, 15, v3
	v_addc_co_u32_e32 v4, vcc, 0, v2, vcc
	v_lshlrev_b32_e32 v4, 2, v4
	s_waitcnt lgkmcnt(0)
	ds_bpermute_b32 v4, v4, v1
	s_add_i32 s2, s44, 63
	s_lshr_b32 s7, s2, 6
	v_add_u32_e32 v5, 1, v3
	v_cmp_gt_u32_e64 s[2:3], 14, v3
	v_cmp_gt_u32_e32 vcc, s7, v5
	v_cndmask_b32_e64 v5, 0, 1, s[2:3]
	s_waitcnt lgkmcnt(0)
	v_add_f32_e32 v4, v1, v4
	v_lshlrev_b32_e32 v5, 1, v5
	v_cndmask_b32_e32 v4, v1, v4, vcc
	v_add_lshl_u32 v5, v5, v2, 2
	ds_bpermute_b32 v5, v5, v4
	v_add_u32_e32 v6, 2, v3
	v_cmp_gt_u32_e64 s[2:3], s7, v6
	v_add_u32_e32 v6, 4, v3
	s_waitcnt lgkmcnt(0)
	v_add_f32_e32 v5, v4, v5
	v_cndmask_b32_e64 v4, v4, v5, s[2:3]
	v_cmp_gt_u32_e64 s[2:3], 12, v3
	v_cndmask_b32_e64 v5, 0, 1, s[2:3]
	v_lshlrev_b32_e32 v5, 2, v5
	v_add_lshl_u32 v5, v5, v2, 2
	ds_bpermute_b32 v5, v5, v4
	v_cmp_gt_u32_e64 s[2:3], s7, v6
	s_waitcnt lgkmcnt(0)
	v_add_f32_e32 v5, v4, v5
	v_cndmask_b32_e64 v4, v4, v5, s[2:3]
	v_cmp_gt_u32_e64 s[2:3], 8, v3
	v_cndmask_b32_e64 v5, 0, 1, s[2:3]
	v_lshlrev_b32_e32 v5, 3, v5
	v_add_lshl_u32 v2, v5, v2, 2
	ds_bpermute_b32 v2, v2, v4
	v_add_u32_e32 v3, 8, v3
	v_cmp_gt_u32_e64 s[2:3], s7, v3
	s_waitcnt lgkmcnt(0)
	v_add_f32_e32 v2, v4, v2
	v_cndmask_b32_e64 v2, v4, v2, s[2:3]
	v_cndmask_b32_e32 v1, v1, v2, vcc
.LBB83_14:
	s_or_b64 exec, exec, s[24:25]
	v_cmp_eq_u32_e32 vcc, 0, v0
	s_and_saveexec_b64 s[2:3], vcc
	s_cbranch_execz .LBB83_16
; %bb.15:
	v_cvt_f32_i32_e32 v2, s22
	s_mov_b32 s7, 0x800000
	v_div_scale_f32 v3, s[24:25], v2, v2, v1
	v_rcp_f32_e32 v4, v3
	v_div_scale_f32 v5, vcc, v1, v2, v1
	v_fma_f32 v6, -v3, v4, 1.0
	v_fmac_f32_e32 v4, v6, v4
	v_mul_f32_e32 v6, v5, v4
	v_fma_f32 v7, -v3, v6, v5
	v_fmac_f32_e32 v6, v7, v4
	v_fma_f32 v3, -v3, v6, v5
	v_div_fmas_f32 v3, v3, v4, v6
	v_div_fixup_f32 v1, v3, v2, v1
	v_add_f32_e32 v1, s8, v1
	v_mul_f32_e32 v2, 0x4b800000, v1
	v_cmp_gt_f32_e32 vcc, s7, v1
	v_cndmask_b32_e32 v1, v1, v2, vcc
	v_rsq_f32_e32 v1, v1
	v_mul_f32_e32 v2, 0x45800000, v1
	v_cndmask_b32_e32 v1, v1, v2, vcc
	v_mov_b32_e32 v2, 0
	ds_write_b32 v2, v1 offset:4160
.LBB83_16:
	s_or_b64 exec, exec, s[2:3]
	s_ashr_i32 s2, s22, 31
	s_lshr_b32 s2, s2, 26
	s_add_i32 s2, s22, s2
	s_ashr_i32 s24, s2, 6
	s_abs_i32 s3, s24
	v_cvt_f32_u32_e32 v1, s3
	s_sub_i32 s7, 0, s3
	s_ashr_i32 s2, s2, 31
	v_mov_b32_e32 v5, 0
	v_rcp_iflag_f32_e32 v1, v1
	s_waitcnt lgkmcnt(0)
	s_barrier
	v_mul_f32_e32 v1, 0x4f7ffffe, v1
	v_cvt_u32_f32_e32 v1, v1
	ds_read_b32 v37, v5 offset:4160
	v_readfirstlane_b32 s8, v1
	s_mul_i32 s7, s7, s8
	s_mul_hi_u32 s7, s8, s7
	s_add_i32 s8, s8, s7
	s_mul_hi_u32 s7, s44, s8
	s_mul_i32 s8, s7, s3
	s_sub_i32 s8, s44, s8
	s_add_i32 s9, s7, 1
	s_sub_i32 s11, s8, s3
	s_cmp_ge_u32 s8, s3
	s_cselect_b32 s7, s9, s7
	s_cselect_b32 s8, s11, s8
	s_add_i32 s9, s7, 1
	s_cmp_ge_u32 s8, s3
	s_cselect_b32 s3, s9, s7
	s_xor_b32 s3, s3, s2
	s_sub_i32 s26, s3, s2
	s_abs_i32 s2, s26
	v_cvt_f32_u32_e32 v1, s2
	s_sub_i32 s3, 0, s2
	s_ashr_i32 s27, s26, 31
	s_ashr_i32 s11, s10, 31
	v_rcp_iflag_f32_e32 v1, v1
	v_mul_f32_e32 v1, 0x4f7ffffe, v1
	v_cvt_u32_f32_e32 v1, v1
	v_mul_lo_u32 v2, s3, v1
	v_mul_hi_u32 v2, v1, v2
	v_add_u32_e32 v1, v1, v2
	v_mul_hi_u32 v1, v0, v1
	v_mul_lo_u32 v2, v1, s2
	v_sub_u32_e32 v2, v0, v2
	v_add_u32_e32 v3, 1, v1
	v_cmp_le_u32_e32 vcc, s2, v2
	v_cndmask_b32_e32 v1, v1, v3, vcc
	v_subrev_u32_e32 v3, s2, v2
	v_cndmask_b32_e32 v2, v2, v3, vcc
	v_add_u32_e32 v3, 1, v1
	v_cmp_le_u32_e32 vcc, s2, v2
	v_cndmask_b32_e32 v1, v1, v3, vcc
	v_xor_b32_e32 v1, s27, v1
	v_subrev_u32_e32 v2, s27, v1
	v_mul_lo_u32 v1, v2, s26
	v_ashrrev_i32_e32 v3, 31, v2
	v_sub_u32_e32 v4, v0, v1
	v_lshlrev_b64 v[8:9], 4, v[2:3]
	v_add_co_u32_e32 v6, vcc, v8, v4
	v_addc_co_u32_e32 v7, vcc, 0, v9, vcc
	v_add_co_u32_e32 v8, vcc, 16, v8
	v_addc_co_u32_e32 v9, vcc, 0, v9, vcc
	v_mov_b32_e32 v1, s11
	v_cmp_gt_i64_e32 vcc, s[10:11], v[8:9]
	v_cndmask_b32_e32 v9, v1, v9, vcc
	v_mov_b32_e32 v1, s10
	v_cndmask_b32_e32 v8, v1, v8, vcc
	v_ashrrev_i32_e32 v11, 31, v8
	v_mov_b32_e32 v10, v8
	v_cmp_lt_i64_e32 vcc, v[6:7], v[10:11]
	s_and_saveexec_b64 s[28:29], vcc
	s_cbranch_execz .LBB83_26
; %bb.17:
	v_lshlrev_b64 v[30:31], 7, v[2:3]
	s_mul_i32 s11, s26, 24
	v_lshlrev_b64 v[12:13], 3, v[4:5]
	v_mov_b32_e32 v1, s31
	v_add_co_u32_e32 v5, vcc, s30, v30
	s_mul_hi_i32 s7, s26, 24
	s_add_u32 s2, s16, s11
	v_addc_co_u32_e32 v19, vcc, v1, v31, vcc
	s_addc_u32 s3, s17, s7
	v_mov_b32_e32 v1, s3
	v_add_co_u32_e32 v14, vcc, s2, v5
	s_lshl_b64 s[30:31], s[26:27], 5
	s_lshl_b64 s[2:3], s[26:27], 4
	s_add_u32 s8, s16, s2
	v_addc_co_u32_e32 v1, vcc, v1, v19, vcc
	s_addc_u32 s9, s17, s3
	v_mov_b32_e32 v15, s9
	v_add_co_u32_e32 v16, vcc, s8, v5
	s_lshl_b64 s[8:9], s[26:27], 3
	s_add_u32 s25, s16, s8
	v_addc_co_u32_e32 v15, vcc, v15, v19, vcc
	s_addc_u32 s38, s17, s9
	v_mov_b32_e32 v17, s38
	v_add_co_u32_e32 v18, vcc, s25, v5
	v_addc_co_u32_e32 v17, vcc, v17, v19, vcc
	v_mov_b32_e32 v21, s17
	v_add_co_u32_e32 v20, vcc, s16, v5
	s_add_u32 s16, s18, s11
	v_addc_co_u32_e32 v19, vcc, v21, v19, vcc
	s_addc_u32 s17, s19, s7
	v_mov_b32_e32 v5, s17
	v_add_co_u32_e32 v22, vcc, s16, v30
	s_add_u32 s16, s18, s2
	v_addc_co_u32_e32 v21, vcc, v5, v31, vcc
	s_addc_u32 s17, s19, s3
	;; [unrolled: 5-line block ×3, first 2 shown]
	v_mov_b32_e32 v5, s17
	v_add_co_u32_e32 v26, vcc, s16, v30
	v_addc_co_u32_e32 v25, vcc, v5, v31, vcc
	v_mov_b32_e32 v5, s19
	v_add_co_u32_e32 v28, vcc, s18, v30
	v_addc_co_u32_e32 v27, vcc, v5, v31, vcc
	v_mov_b32_e32 v5, s37
	v_add_co_u32_e32 v35, vcc, s36, v30
	s_add_u32 s11, s34, s11
	v_addc_co_u32_e32 v5, vcc, v5, v31, vcc
	s_addc_u32 s7, s35, s7
	v_mov_b32_e32 v29, s7
	v_add_co_u32_e32 v30, vcc, s11, v35
	s_add_u32 s2, s34, s2
	v_addc_co_u32_e32 v29, vcc, v29, v5, vcc
	s_addc_u32 s3, s35, s3
	;; [unrolled: 5-line block ×3, first 2 shown]
	v_mov_b32_e32 v33, s3
	v_add_co_u32_e32 v34, vcc, s2, v35
	v_addc_co_u32_e32 v33, vcc, v33, v5, vcc
	v_mov_b32_e32 v38, s35
	v_add_co_u32_e32 v36, vcc, s34, v35
	v_addc_co_u32_e32 v35, vcc, v38, v5, vcc
	s_mul_hi_i32 s7, s26, 3
	s_mul_i32 s11, s26, 3
	s_lshl_b64 s[34:35], s[26:27], 1
	s_mov_b64 s[16:17], 0
	v_mov_b32_e32 v5, 0
	s_movk_i32 s25, 0x7fff
	v_mov_b32_e32 v42, 0x7fc00000
	v_pk_mov_b32 v[38:39], v[6:7], v[6:7] op_sel:[0,1]
                                        ; implicit-def: $sgpr36_sgpr37
	s_branch .LBB83_21
.LBB83_18:                              ;   in Loop: Header=BB83_21 Depth=1
	s_or_b64 exec, exec, s[42:43]
	s_orn2_b64 s[2:3], s[2:3], exec
.LBB83_19:                              ;   in Loop: Header=BB83_21 Depth=1
	s_or_b64 exec, exec, s[40:41]
	s_andn2_b64 s[8:9], s[36:37], exec
	s_and_b64 s[2:3], s[2:3], exec
	s_or_b64 s[36:37], s[8:9], s[2:3]
.LBB83_20:                              ;   in Loop: Header=BB83_21 Depth=1
	s_or_b64 exec, exec, s[38:39]
	s_and_b64 s[2:3], exec, s[36:37]
	s_or_b64 s[16:17], s[2:3], s[16:17]
	s_andn2_b64 exec, exec, s[16:17]
	s_cbranch_execz .LBB83_25
.LBB83_21:                              ; =>This Inner Loop Header: Depth=1
	v_add_co_u32_e32 v40, vcc, v20, v12
	v_addc_co_u32_e32 v41, vcc, v19, v13, vcc
	global_load_dwordx2 v[44:45], v[40:41], off
	v_add_co_u32_e32 v40, vcc, v28, v12
	v_addc_co_u32_e32 v41, vcc, v27, v13, vcc
	global_load_dwordx2 v[46:47], v[40:41], off
	;; [unrolled: 3-line block ×3, first 2 shown]
	v_mov_b32_e32 v41, s27
	v_add_co_u32_e32 v40, vcc, s26, v38
	v_addc_co_u32_e32 v41, vcc, v39, v41, vcc
	v_cmp_lt_i64_e32 vcc, v[40:41], v[10:11]
	s_or_b64 s[36:37], s[36:37], exec
	s_waitcnt vmcnt(2)
	v_and_b32_e32 v43, 0xffff0000, v44
	v_lshlrev_b32_e32 v51, 16, v44
	v_alignbit_b32 v44, v45, v44, 16
	v_and_b32_e32 v44, 0xffff0000, v44
	v_and_b32_e32 v45, 0xffff0000, v45
	s_waitcnt vmcnt(1)
	v_lshlrev_b32_e32 v54, 16, v46
	v_and_b32_e32 v50, 0xffff0000, v46
	v_alignbit_b32 v46, v47, v46, 16
	v_and_b32_e32 v47, 0xffff0000, v47
	v_and_b32_e32 v46, 0xffff0000, v46
	s_waitcnt vmcnt(0)
	v_and_b32_e32 v52, 0xffff0000, v48
	v_lshlrev_b32_e32 v53, 16, v48
	v_alignbit_b32 v48, v49, v48, 16
	v_add_f32_e32 v51, v51, v53
	v_and_b32_e32 v48, 0xffff0000, v48
	v_and_b32_e32 v49, 0xffff0000, v49
	v_add_f32_e32 v43, v43, v52
	v_add_f32_e32 v44, v44, v48
	s_waitcnt lgkmcnt(0)
	v_mul_f32_e32 v48, v37, v51
	v_add_f32_e32 v45, v45, v49
	v_mul_f32_e32 v43, v37, v43
	v_bfe_u32 v49, v48, 16, 1
	v_mul_f32_e32 v45, v37, v45
	v_bfe_u32 v51, v43, 16, 1
	v_add3_u32 v49, v48, v49, s25
	v_bfe_u32 v52, v45, 16, 1
	v_add3_u32 v51, v43, v51, s25
	v_and_b32_e32 v49, 0xffff0000, v49
	v_cmp_o_f32_e64 s[2:3], v48, v48
	v_mul_f32_e32 v44, v37, v44
	v_add3_u32 v52, v45, v52, s25
	v_and_b32_e32 v51, 0xffff0000, v51
	v_cndmask_b32_e64 v48, v42, v49, s[2:3]
	v_cmp_o_f32_e64 s[2:3], v43, v43
	v_bfe_u32 v53, v44, 16, 1
	v_and_b32_e32 v52, 0xffff0000, v52
	v_cndmask_b32_e64 v43, v42, v51, s[2:3]
	v_cmp_o_f32_e64 s[2:3], v45, v45
	v_add3_u32 v53, v44, v53, s25
	v_cndmask_b32_e64 v45, v42, v52, s[2:3]
	v_mul_f32_e32 v48, v48, v54
	v_and_b32_e32 v49, 0xffff0000, v53
	v_mul_f32_e32 v43, v43, v50
	v_cmp_o_f32_e64 s[2:3], v44, v44
	v_mul_f32_e32 v45, v45, v47
	v_bfe_u32 v47, v48, 16, 1
	v_cndmask_b32_e64 v44, v42, v49, s[2:3]
	v_bfe_u32 v49, v43, 16, 1
	v_add3_u32 v47, v48, v47, s25
	v_mul_f32_e32 v44, v44, v46
	v_bfe_u32 v46, v45, 16, 1
	v_add3_u32 v49, v43, v49, s25
	v_and_b32_e32 v47, 0xffff0000, v47
	v_cmp_o_f32_e64 s[2:3], v48, v48
	v_bfe_u32 v50, v44, 16, 1
	v_add3_u32 v46, v45, v46, s25
	v_and_b32_e32 v49, 0xffff0000, v49
	v_cndmask_b32_e64 v47, v42, |v47|, s[2:3]
	v_cmp_o_f32_e64 s[2:3], v43, v43
	v_add3_u32 v50, v44, v50, s25
	v_and_b32_e32 v46, 0xffff0000, v46
	v_cndmask_b32_e64 v43, v42, |v49|, s[2:3]
	v_cmp_o_f32_e64 s[2:3], v45, v45
	v_and_b32_e32 v48, 0xffff0000, v50
	v_cndmask_b32_e64 v45, v42, |v46|, s[2:3]
	v_cmp_o_f32_e64 s[2:3], v44, v44
	v_max3_f32 v5, v5, v47, v43
	v_cndmask_b32_e64 v43, v42, |v48|, s[2:3]
	v_max3_f32 v5, v5, v43, v45
	s_and_saveexec_b64 s[38:39], vcc
	s_cbranch_execz .LBB83_20
; %bb.22:                               ;   in Loop: Header=BB83_21 Depth=1
	v_add_co_u32_e32 v44, vcc, v18, v12
	v_addc_co_u32_e32 v45, vcc, v17, v13, vcc
	v_add_co_u32_e32 v46, vcc, v26, v12
	v_addc_co_u32_e32 v47, vcc, v25, v13, vcc
	;; [unrolled: 2-line block ×3, first 2 shown]
	global_load_dwordx2 v[44:45], v[44:45], off
	v_mov_b32_e32 v43, s35
	global_load_dwordx2 v[48:49], v[48:49], off
	v_add_co_u32_e32 v50, vcc, s34, v38
	global_load_dwordx2 v[46:47], v[46:47], off
	v_addc_co_u32_e32 v51, vcc, v43, v39, vcc
	v_cmp_lt_i64_e32 vcc, v[50:51], v[10:11]
	s_waitcnt vmcnt(2)
	v_and_b32_e32 v43, 0xffff0000, v44
	v_lshlrev_b32_e32 v51, 16, v44
	v_alignbit_b32 v44, v45, v44, 16
	s_waitcnt vmcnt(1)
	v_and_b32_e32 v52, 0xffff0000, v48
	v_lshlrev_b32_e32 v53, 16, v48
	v_alignbit_b32 v48, v49, v48, 16
	v_and_b32_e32 v44, 0xffff0000, v44
	v_add_f32_e32 v51, v51, v53
	v_and_b32_e32 v48, 0xffff0000, v48
	v_and_b32_e32 v45, 0xffff0000, v45
	;; [unrolled: 1-line block ×3, first 2 shown]
	v_add_f32_e32 v43, v43, v52
	v_add_f32_e32 v44, v44, v48
	v_mul_f32_e32 v48, v37, v51
	v_add_f32_e32 v45, v45, v49
	v_mul_f32_e32 v43, v37, v43
	v_bfe_u32 v49, v48, 16, 1
	v_mul_f32_e32 v45, v37, v45
	v_bfe_u32 v51, v43, 16, 1
	v_add3_u32 v49, v48, v49, s25
	v_bfe_u32 v52, v45, 16, 1
	v_add3_u32 v51, v43, v51, s25
	v_and_b32_e32 v49, 0xffff0000, v49
	v_cmp_o_f32_e64 s[2:3], v48, v48
	v_mul_f32_e32 v44, v37, v44
	v_add3_u32 v52, v45, v52, s25
	v_and_b32_e32 v51, 0xffff0000, v51
	v_cndmask_b32_e64 v48, v42, v49, s[2:3]
	v_cmp_o_f32_e64 s[2:3], v43, v43
	s_waitcnt vmcnt(0)
	v_lshlrev_b32_e32 v54, 16, v46
	v_bfe_u32 v53, v44, 16, 1
	v_and_b32_e32 v52, 0xffff0000, v52
	v_cndmask_b32_e64 v43, v42, v51, s[2:3]
	v_cmp_o_f32_e64 s[2:3], v45, v45
	v_and_b32_e32 v50, 0xffff0000, v46
	v_alignbit_b32 v46, v47, v46, 16
	v_and_b32_e32 v47, 0xffff0000, v47
	v_add3_u32 v53, v44, v53, s25
	v_cndmask_b32_e64 v45, v42, v52, s[2:3]
	v_mul_f32_e32 v48, v48, v54
	v_and_b32_e32 v49, 0xffff0000, v53
	v_mul_f32_e32 v43, v43, v50
	v_cmp_o_f32_e64 s[2:3], v44, v44
	v_mul_f32_e32 v45, v45, v47
	v_bfe_u32 v47, v48, 16, 1
	v_and_b32_e32 v46, 0xffff0000, v46
	v_cndmask_b32_e64 v44, v42, v49, s[2:3]
	v_bfe_u32 v49, v43, 16, 1
	v_add3_u32 v47, v48, v47, s25
	v_mul_f32_e32 v44, v44, v46
	v_bfe_u32 v46, v45, 16, 1
	v_add3_u32 v49, v43, v49, s25
	v_and_b32_e32 v47, 0xffff0000, v47
	v_cmp_o_f32_e64 s[2:3], v48, v48
	v_bfe_u32 v50, v44, 16, 1
	v_add3_u32 v46, v45, v46, s25
	v_and_b32_e32 v49, 0xffff0000, v49
	v_cndmask_b32_e64 v47, v42, |v47|, s[2:3]
	v_cmp_o_f32_e64 s[2:3], v43, v43
	v_add3_u32 v50, v44, v50, s25
	v_and_b32_e32 v46, 0xffff0000, v46
	v_cndmask_b32_e64 v43, v42, |v49|, s[2:3]
	v_cmp_o_f32_e64 s[2:3], v45, v45
	v_and_b32_e32 v48, 0xffff0000, v50
	v_cndmask_b32_e64 v45, v42, |v46|, s[2:3]
	v_cmp_o_f32_e64 s[2:3], v44, v44
	v_max3_f32 v5, v5, v47, v43
	v_cndmask_b32_e64 v43, v42, |v48|, s[2:3]
	v_max3_f32 v5, v5, v43, v45
	s_mov_b64 s[2:3], -1
	s_and_saveexec_b64 s[40:41], vcc
	s_cbranch_execz .LBB83_19
; %bb.23:                               ;   in Loop: Header=BB83_21 Depth=1
	v_add_co_u32_e32 v44, vcc, v16, v12
	v_addc_co_u32_e32 v45, vcc, v15, v13, vcc
	v_add_co_u32_e32 v46, vcc, v24, v12
	v_addc_co_u32_e32 v47, vcc, v23, v13, vcc
	;; [unrolled: 2-line block ×3, first 2 shown]
	global_load_dwordx2 v[44:45], v[44:45], off
	v_mov_b32_e32 v43, s7
	global_load_dwordx2 v[48:49], v[48:49], off
	v_add_co_u32_e32 v38, vcc, s11, v38
	global_load_dwordx2 v[46:47], v[46:47], off
	v_addc_co_u32_e32 v39, vcc, v43, v39, vcc
	v_cmp_lt_i64_e32 vcc, v[38:39], v[10:11]
	s_waitcnt vmcnt(2)
	v_lshlrev_b32_e32 v43, 16, v44
	v_and_b32_e32 v38, 0xffff0000, v44
	s_waitcnt vmcnt(1)
	v_lshlrev_b32_e32 v51, 16, v48
	v_alignbit_b32 v44, v45, v44, 16
	v_and_b32_e32 v50, 0xffff0000, v48
	v_alignbit_b32 v48, v49, v48, 16
	v_add_f32_e32 v43, v43, v51
	v_and_b32_e32 v45, 0xffff0000, v45
	v_and_b32_e32 v49, 0xffff0000, v49
	;; [unrolled: 1-line block ×3, first 2 shown]
	v_add_f32_e32 v38, v38, v50
	v_and_b32_e32 v48, 0xffff0000, v48
	v_mul_f32_e32 v43, v37, v43
	v_add_f32_e32 v45, v45, v49
	v_add_f32_e32 v44, v44, v48
	v_mul_f32_e32 v38, v37, v38
	v_bfe_u32 v48, v43, 16, 1
	v_mul_f32_e32 v45, v37, v45
	v_bfe_u32 v49, v38, 16, 1
	v_add3_u32 v48, v43, v48, s25
	v_bfe_u32 v50, v45, 16, 1
	v_add3_u32 v49, v38, v49, s25
	v_and_b32_e32 v48, 0xffff0000, v48
	v_cmp_o_f32_e64 s[2:3], v43, v43
	v_mul_f32_e32 v44, v37, v44
	v_add3_u32 v50, v45, v50, s25
	v_and_b32_e32 v49, 0xffff0000, v49
	v_cndmask_b32_e64 v43, v42, v48, s[2:3]
	v_cmp_o_f32_e64 s[2:3], v38, v38
	s_waitcnt vmcnt(0)
	v_lshlrev_b32_e32 v52, 16, v46
	v_bfe_u32 v51, v44, 16, 1
	v_and_b32_e32 v50, 0xffff0000, v50
	v_cndmask_b32_e64 v38, v42, v49, s[2:3]
	v_cmp_o_f32_e64 s[2:3], v45, v45
	v_and_b32_e32 v39, 0xffff0000, v46
	v_alignbit_b32 v46, v47, v46, 16
	v_and_b32_e32 v47, 0xffff0000, v47
	v_add3_u32 v51, v44, v51, s25
	v_cndmask_b32_e64 v45, v42, v50, s[2:3]
	v_mul_f32_e32 v43, v43, v52
	v_and_b32_e32 v48, 0xffff0000, v51
	v_mul_f32_e32 v38, v38, v39
	v_cmp_o_f32_e64 s[2:3], v44, v44
	v_mul_f32_e32 v44, v45, v47
	v_bfe_u32 v45, v43, 16, 1
	v_and_b32_e32 v46, 0xffff0000, v46
	v_cndmask_b32_e64 v39, v42, v48, s[2:3]
	v_bfe_u32 v47, v38, 16, 1
	v_add3_u32 v45, v43, v45, s25
	v_mul_f32_e32 v39, v39, v46
	v_bfe_u32 v46, v44, 16, 1
	v_add3_u32 v47, v38, v47, s25
	v_and_b32_e32 v45, 0xffff0000, v45
	v_cmp_o_f32_e64 s[2:3], v43, v43
	v_bfe_u32 v48, v39, 16, 1
	v_add3_u32 v46, v44, v46, s25
	v_and_b32_e32 v47, 0xffff0000, v47
	v_cndmask_b32_e64 v43, v42, |v45|, s[2:3]
	v_cmp_o_f32_e64 s[2:3], v38, v38
	v_add3_u32 v48, v39, v48, s25
	v_and_b32_e32 v46, 0xffff0000, v46
	v_cndmask_b32_e64 v38, v42, |v47|, s[2:3]
	v_cmp_o_f32_e64 s[2:3], v44, v44
	v_and_b32_e32 v45, 0xffff0000, v48
	v_cndmask_b32_e64 v44, v42, |v46|, s[2:3]
	v_cmp_o_f32_e64 s[2:3], v39, v39
	v_max3_f32 v5, v5, v43, v38
	v_cndmask_b32_e64 v38, v42, |v45|, s[2:3]
	v_max3_f32 v5, v5, v38, v44
	s_mov_b64 s[2:3], -1
                                        ; implicit-def: $vgpr38_vgpr39
	s_and_saveexec_b64 s[8:9], vcc
	s_xor_b64 s[42:43], exec, s[8:9]
	s_cbranch_execz .LBB83_18
; %bb.24:                               ;   in Loop: Header=BB83_21 Depth=1
	s_add_u32 s2, s26, s26
	s_addc_u32 s3, s27, s27
	s_add_u32 s2, s2, s26
	s_addc_u32 s3, s3, s27
	v_mov_b32_e32 v39, s3
	v_add_co_u32_e32 v38, vcc, s2, v40
	v_addc_co_u32_e32 v39, vcc, v39, v41, vcc
	v_add_co_u32_e32 v40, vcc, v14, v12
	v_addc_co_u32_e32 v41, vcc, v1, v13, vcc
	global_load_dwordx2 v[40:41], v[40:41], off
	s_waitcnt vmcnt(0)
	v_and_b32_e32 v43, 0xffff0000, v40
	v_lshlrev_b32_e32 v44, 16, v40
	v_alignbit_b32 v45, v41, v40, 16
	v_add_co_u32_e32 v40, vcc, v30, v12
	v_and_b32_e32 v46, 0xffff0000, v41
	v_addc_co_u32_e32 v41, vcc, v29, v13, vcc
	global_load_dwordx2 v[40:41], v[40:41], off
	v_and_b32_e32 v45, 0xffff0000, v45
	s_waitcnt vmcnt(0)
	v_and_b32_e32 v47, 0xffff0000, v40
	v_lshlrev_b32_e32 v48, 16, v40
	v_alignbit_b32 v49, v41, v40, 16
	v_add_co_u32_e32 v40, vcc, v22, v12
	v_and_b32_e32 v50, 0xffff0000, v41
	v_addc_co_u32_e32 v41, vcc, v21, v13, vcc
	global_load_dwordx2 v[40:41], v[40:41], off
	v_add_f32_e32 v44, v44, v48
	v_add_f32_e32 v43, v43, v47
	v_and_b32_e32 v47, 0xffff0000, v49
	v_mul_f32_e32 v44, v37, v44
	v_add_f32_e32 v45, v45, v47
	v_bfe_u32 v47, v44, 16, 1
	v_add3_u32 v47, v44, v47, s25
	v_and_b32_e32 v47, 0xffff0000, v47
	v_cmp_o_f32_e32 vcc, v44, v44
	v_mul_f32_e32 v43, v37, v43
	v_cndmask_b32_e32 v44, v42, v47, vcc
	v_bfe_u32 v47, v43, 16, 1
	v_add_f32_e32 v46, v46, v50
	v_add3_u32 v47, v43, v47, s25
	v_and_b32_e32 v47, 0xffff0000, v47
	v_cmp_o_f32_e32 vcc, v43, v43
	v_mul_f32_e32 v46, v37, v46
	v_cndmask_b32_e32 v43, v42, v47, vcc
	v_bfe_u32 v47, v46, 16, 1
	v_add3_u32 v47, v46, v47, s25
	v_and_b32_e32 v47, 0xffff0000, v47
	v_cmp_o_f32_e32 vcc, v46, v46
	v_cndmask_b32_e32 v46, v42, v47, vcc
	v_mul_f32_e32 v45, v37, v45
	v_cmp_o_f32_e32 vcc, v45, v45
	s_waitcnt vmcnt(0)
	v_and_b32_e32 v51, 0xffff0000, v40
	v_lshlrev_b32_e32 v52, 16, v40
	v_alignbit_b32 v40, v41, v40, 16
	v_and_b32_e32 v41, 0xffff0000, v41
	v_mul_f32_e32 v41, v46, v41
	v_bfe_u32 v46, v45, 16, 1
	v_add3_u32 v46, v45, v46, s25
	v_and_b32_e32 v46, 0xffff0000, v46
	v_mul_f32_e32 v43, v43, v51
	v_and_b32_e32 v40, 0xffff0000, v40
	v_cndmask_b32_e32 v45, v42, v46, vcc
	v_mul_f32_e32 v40, v45, v40
	v_bfe_u32 v45, v43, 16, 1
	v_mul_f32_e32 v44, v44, v52
	v_add3_u32 v45, v43, v45, s25
	v_cmp_o_f32_e32 vcc, v43, v43
	v_bfe_u32 v43, v40, 16, 1
	v_add3_u32 v43, v40, v43, s25
	v_cmp_o_f32_e64 s[2:3], v40, v40
	v_bfe_u32 v40, v44, 16, 1
	v_add3_u32 v40, v44, v40, s25
	v_and_b32_e32 v45, 0xffff0000, v45
	v_and_b32_e32 v40, 0xffff0000, v40
	v_cmp_o_f32_e64 s[8:9], v44, v44
	v_cndmask_b32_e64 v40, v42, |v40|, s[8:9]
	v_cndmask_b32_e64 v44, v42, |v45|, vcc
	v_max3_f32 v5, v5, v40, v44
	v_bfe_u32 v40, v41, 16, 1
	v_add3_u32 v40, v41, v40, s25
	v_and_b32_e32 v43, 0xffff0000, v43
	v_and_b32_e32 v40, 0xffff0000, v40
	v_cmp_o_f32_e32 vcc, v41, v41
	v_cndmask_b32_e64 v40, v42, |v40|, vcc
	v_cndmask_b32_e64 v41, v42, |v43|, s[2:3]
	v_max3_f32 v5, v5, v41, v40
	v_mov_b32_e32 v40, s31
	v_add_co_u32_e32 v14, vcc, s30, v14
	v_addc_co_u32_e32 v1, vcc, v1, v40, vcc
	v_add_co_u32_e32 v16, vcc, s30, v16
	v_addc_co_u32_e32 v15, vcc, v15, v40, vcc
	;; [unrolled: 2-line block ×12, first 2 shown]
	v_cmp_ge_i64_e32 vcc, v[38:39], v[10:11]
	s_orn2_b64 s[2:3], vcc, exec
	s_branch .LBB83_18
.LBB83_25:
	s_or_b64 exec, exec, s[16:17]
.LBB83_26:
	s_or_b64 exec, exec, s[28:29]
	s_lshr_b32 s7, s44, 6
	v_cvt_f32_u32_e32 v10, s7
	v_lshlrev_b32_e32 v1, 2, v0
	ds_write_b32 v1, v5
	s_sub_i32 s8, 0, s7
	v_rcp_iflag_f32_e32 v5, v10
	s_add_i32 s2, s24, s7
	s_add_i32 s2, s2, -1
	s_ashr_i32 s3, s2, 31
	v_mul_f32_e32 v5, 0x4f7ffffe, v5
	v_cvt_u32_f32_e32 v5, v5
	s_abs_i32 s2, s2
	s_ashr_i32 s25, s24, 31
	s_waitcnt lgkmcnt(0)
	v_readfirstlane_b32 s9, v5
	s_mul_i32 s8, s8, s9
	s_mul_hi_u32 s8, s9, s8
	s_add_i32 s9, s9, s8
	s_mul_hi_u32 s8, s2, s9
	s_mul_i32 s9, s8, s7
	s_sub_i32 s2, s2, s9
	s_add_i32 s9, s8, 1
	s_sub_i32 s11, s2, s7
	s_cmp_ge_u32 s2, s7
	s_cselect_b32 s8, s9, s8
	s_cselect_b32 s2, s11, s2
	s_add_i32 s9, s8, 1
	s_cmp_ge_u32 s2, s7
	s_cselect_b32 s2, s9, s8
	s_xor_b32 s2, s2, s3
	s_sub_i32 s2, s2, s3
	s_ashr_i32 s3, s2, 31
	v_cmp_lt_i64_e64 s[8:9], s[2:3], 1
	s_and_b64 vcc, exec, s[8:9]
	s_barrier
	s_cbranch_vccnz .LBB83_48
; %bb.27:
	v_and_b32_e32 v12, 63, v0
	v_add_co_u32_e32 v14, vcc, 32, v12
	v_addc_co_u32_e64 v15, s[8:9], 0, 0, vcc
	v_add_co_u32_e32 v16, vcc, 16, v12
	v_addc_co_u32_e64 v17, s[8:9], 0, 0, vcc
	;; [unrolled: 2-line block ×4, first 2 shown]
	v_add_co_u32_e32 v22, vcc, 2, v12
	v_lshrrev_b32_e32 v10, 6, v0
	v_addc_co_u32_e64 v23, s[8:9], 0, 0, vcc
	v_add_co_u32_e32 v24, vcc, 1, v12
	v_addc_co_u32_e64 v25, s[8:9], 0, 0, vcc
	v_mul_lo_u32 v5, s26, v10
	v_lshlrev_b32_e32 v5, 2, v5
	v_lshlrev_b32_e32 v26, 2, v12
	s_movk_i32 s8, 0x100
	v_mov_b32_e32 v11, 0
	v_add3_u32 v5, v5, v26, s8
	s_mul_i32 s8, s26, s7
	v_mov_b32_e32 v13, v11
	s_lshl_b32 s11, s8, 2
	s_mov_b64 s[8:9], 0
	v_mov_b32_e32 v36, s7
	s_mov_b64 s[16:17], src_shared_base
	s_branch .LBB83_30
.LBB83_28:                              ;   in Loop: Header=BB83_30 Depth=1
	s_or_b64 exec, exec, s[30:31]
	v_mov_b32_e32 v27, s17
	flat_load_dword v26, v[26:27] glc
	s_waitcnt vmcnt(0)
.LBB83_29:                              ;   in Loop: Header=BB83_30 Depth=1
	s_or_b64 exec, exec, s[28:29]
	s_add_u32 s8, s8, 1
	s_addc_u32 s9, s9, 0
	s_cmp_eq_u64 s[8:9], s[2:3]
	v_add_u32_e32 v5, s11, v5
	s_cbranch_scc1 .LBB83_48
.LBB83_30:                              ; =>This Loop Header: Depth=1
                                        ;     Child Loop BB83_33 Depth 2
	v_mad_u64_u32 v[30:31], s[28:29], s8, v36, v[10:11]
	s_mul_i32 s16, s9, s7
	v_add_u32_e32 v31, s16, v31
	v_cmp_gt_i64_e32 vcc, s[24:25], v[30:31]
	s_and_saveexec_b64 s[28:29], vcc
	s_cbranch_execz .LBB83_29
; %bb.31:                               ;   in Loop: Header=BB83_30 Depth=1
	v_pk_mov_b32 v[32:33], s[26:27], s[26:27] op_sel:[0,1]
	v_mul_lo_u32 v29, v31, s26
	v_mul_lo_u32 v38, v30, s27
	v_mad_u64_u32 v[32:33], s[30:31], v30, s26, v[32:33]
	v_add3_u32 v33, v29, v33, v38
	v_mov_b32_e32 v28, s23
	v_cmp_gt_i64_e32 vcc, s[22:23], v[32:33]
	s_waitcnt lgkmcnt(0)
	v_mad_u64_u32 v[26:27], s[30:31], v30, s26, v[12:13]
	v_cndmask_b32_e32 v33, v28, v33, vcc
	v_mov_b32_e32 v28, s22
	v_add3_u32 v27, v29, v27, v38
	v_cndmask_b32_e32 v32, v28, v32, vcc
	v_add_co_u32_e32 v34, vcc, 64, v26
	v_addc_co_u32_e32 v35, vcc, 0, v27, vcc
	v_cmp_lt_i64_e32 vcc, v[34:35], v[32:33]
	v_lshlrev_b32_e32 v28, 2, v26
	s_and_saveexec_b64 s[30:31], vcc
	s_cbranch_execz .LBB83_34
; %bb.32:                               ;   in Loop: Header=BB83_30 Depth=1
	ds_read_b32 v31, v28
	s_mov_b64 s[34:35], 0
	v_mov_b32_e32 v27, v5
.LBB83_33:                              ;   Parent Loop BB83_30 Depth=1
                                        ; =>  This Inner Loop Header: Depth=2
	ds_read_b32 v39, v27
	v_add_co_u32_e32 v34, vcc, 64, v34
	v_addc_co_u32_e32 v35, vcc, 0, v35, vcc
	s_waitcnt lgkmcnt(1)
	v_max_f32_e32 v31, v31, v31
	v_cmp_ge_i64_e32 vcc, v[34:35], v[32:33]
	s_waitcnt lgkmcnt(0)
	v_max_f32_e32 v39, v39, v39
	v_add_u32_e32 v27, 0x100, v27
	s_or_b64 s[34:35], vcc, s[34:35]
	v_max_f32_e32 v31, v31, v39
	ds_write_b32 v28, v31
	s_andn2_b64 exec, exec, s[34:35]
	s_cbranch_execnz .LBB83_33
.LBB83_34:                              ;   in Loop: Header=BB83_30 Depth=1
	s_or_b64 exec, exec, s[30:31]
	v_mad_u64_u32 v[30:31], s[30:31], v30, s26, 0
	v_add3_u32 v27, v31, v38, v29
	v_sub_co_u32_e32 v30, vcc, v32, v30
	v_subb_co_u32_e32 v31, vcc, v33, v27, vcc
	v_cmp_gt_i64_e32 vcc, 64, v[30:31]
	v_cndmask_b32_e32 v31, 0, v31, vcc
	v_cndmask_b32_e32 v30, 64, v30, vcc
	v_cmp_lt_i64_e32 vcc, v[14:15], v[30:31]
	s_and_saveexec_b64 s[30:31], vcc
	s_cbranch_execnz .LBB83_46
; %bb.35:                               ;   in Loop: Header=BB83_30 Depth=1
	s_or_b64 exec, exec, s[30:31]
	v_cmp_lt_i64_e32 vcc, v[16:17], v[30:31]
	s_and_saveexec_b64 s[30:31], vcc
	s_cbranch_execnz .LBB83_47
.LBB83_36:                              ;   in Loop: Header=BB83_30 Depth=1
	s_or_b64 exec, exec, s[30:31]
	v_cmp_lt_i64_e32 vcc, v[18:19], v[30:31]
	s_and_saveexec_b64 s[30:31], vcc
	s_cbranch_execz .LBB83_38
.LBB83_37:                              ;   in Loop: Header=BB83_30 Depth=1
	v_mov_b32_e32 v29, s17
	v_add_u32_e32 v32, 32, v28
	v_mov_b32_e32 v33, s17
	flat_load_dword v27, v[28:29] glc
	s_waitcnt vmcnt(0)
	flat_load_dword v34, v[32:33] glc
	s_waitcnt vmcnt(0) lgkmcnt(0)
	v_max_f32_e32 v27, v27, v27
	v_max_f32_e32 v32, v34, v34
	;; [unrolled: 1-line block ×3, first 2 shown]
	flat_store_dword v[28:29], v27
	s_waitcnt vmcnt(0)
.LBB83_38:                              ;   in Loop: Header=BB83_30 Depth=1
	s_or_b64 exec, exec, s[30:31]
	v_cmp_ge_i64_e32 vcc, v[20:21], v[30:31]
	s_and_saveexec_b64 s[30:31], vcc
	s_xor_b64 s[30:31], exec, s[30:31]
; %bb.39:                               ;   in Loop: Header=BB83_30 Depth=1
                                        ; implicit-def: $vgpr28
; %bb.40:                               ;   in Loop: Header=BB83_30 Depth=1
	s_andn2_saveexec_b64 s[30:31], s[30:31]
	s_cbranch_execz .LBB83_42
; %bb.41:                               ;   in Loop: Header=BB83_30 Depth=1
	v_mov_b32_e32 v29, s17
	v_add_u32_e32 v32, 16, v28
	v_mov_b32_e32 v33, s17
	flat_load_dword v27, v[28:29] glc
	s_waitcnt vmcnt(0)
	flat_load_dword v34, v[32:33] glc
	s_waitcnt vmcnt(0) lgkmcnt(0)
	v_max_f32_e32 v27, v27, v27
	v_max_f32_e32 v32, v34, v34
	;; [unrolled: 1-line block ×3, first 2 shown]
	flat_store_dword v[28:29], v27
	s_waitcnt vmcnt(0)
.LBB83_42:                              ;   in Loop: Header=BB83_30 Depth=1
	s_or_b64 exec, exec, s[30:31]
	v_cmp_lt_i64_e32 vcc, v[22:23], v[30:31]
	v_lshlrev_b32_e32 v26, 2, v26
	s_and_saveexec_b64 s[30:31], vcc
	s_cbranch_execz .LBB83_44
; %bb.43:                               ;   in Loop: Header=BB83_30 Depth=1
	v_mov_b32_e32 v27, s17
	v_add_u32_e32 v28, 8, v26
	v_mov_b32_e32 v29, s17
	flat_load_dword v32, v[26:27] glc
	s_waitcnt vmcnt(0)
	flat_load_dword v33, v[28:29] glc
	s_waitcnt vmcnt(0) lgkmcnt(0)
	v_max_f32_e32 v28, v32, v32
	v_max_f32_e32 v29, v33, v33
	;; [unrolled: 1-line block ×3, first 2 shown]
	flat_store_dword v[26:27], v28
	s_waitcnt vmcnt(0)
.LBB83_44:                              ;   in Loop: Header=BB83_30 Depth=1
	s_or_b64 exec, exec, s[30:31]
	v_cmp_lt_i64_e32 vcc, v[24:25], v[30:31]
	s_and_saveexec_b64 s[30:31], vcc
	s_cbranch_execz .LBB83_28
; %bb.45:                               ;   in Loop: Header=BB83_30 Depth=1
	v_mov_b32_e32 v27, s17
	v_add_u32_e32 v28, 4, v26
	v_mov_b32_e32 v29, s17
	flat_load_dword v30, v[26:27] glc
	s_waitcnt vmcnt(0)
	flat_load_dword v31, v[28:29] glc
	s_waitcnt vmcnt(0) lgkmcnt(0)
	v_max_f32_e32 v28, v30, v30
	v_max_f32_e32 v29, v31, v31
	;; [unrolled: 1-line block ×3, first 2 shown]
	flat_store_dword v[26:27], v28
	s_waitcnt vmcnt(0)
	s_branch .LBB83_28
.LBB83_46:                              ;   in Loop: Header=BB83_30 Depth=1
	v_mov_b32_e32 v29, s17
	v_add_u32_e32 v32, 0x80, v28
	v_mov_b32_e32 v33, s17
	flat_load_dword v27, v[28:29] glc
	s_waitcnt vmcnt(0)
	flat_load_dword v34, v[32:33] glc
	s_waitcnt vmcnt(0) lgkmcnt(0)
	v_max_f32_e32 v27, v27, v27
	v_max_f32_e32 v32, v34, v34
	;; [unrolled: 1-line block ×3, first 2 shown]
	flat_store_dword v[28:29], v27
	s_waitcnt vmcnt(0)
	s_or_b64 exec, exec, s[30:31]
	v_cmp_lt_i64_e32 vcc, v[16:17], v[30:31]
	s_and_saveexec_b64 s[30:31], vcc
	s_cbranch_execz .LBB83_36
.LBB83_47:                              ;   in Loop: Header=BB83_30 Depth=1
	v_mov_b32_e32 v29, s17
	v_add_u32_e32 v32, 64, v28
	v_mov_b32_e32 v33, s17
	flat_load_dword v27, v[28:29] glc
	s_waitcnt vmcnt(0)
	flat_load_dword v34, v[32:33] glc
	s_waitcnt vmcnt(0) lgkmcnt(0)
	v_max_f32_e32 v27, v27, v27
	v_max_f32_e32 v32, v34, v34
	;; [unrolled: 1-line block ×3, first 2 shown]
	flat_store_dword v[28:29], v27
	s_waitcnt vmcnt(0)
	s_or_b64 exec, exec, s[30:31]
	v_cmp_lt_i64_e32 vcc, v[18:19], v[30:31]
	s_and_saveexec_b64 s[30:31], vcc
	s_cbranch_execnz .LBB83_37
	s_branch .LBB83_38
.LBB83_48:
	v_cmp_eq_u32_e32 vcc, 0, v4
	v_cmp_lt_i64_e64 s[2:3], v[6:7], v[8:9]
	s_and_b64 s[16:17], vcc, s[2:3]
	s_mul_i32 s8, s25, s6
	s_mul_hi_u32 s9, s24, s6
	s_mul_i32 s2, s24, s6
	s_waitcnt lgkmcnt(0)
	s_barrier
	s_and_saveexec_b64 s[6:7], s[16:17]
	s_cbranch_execz .LBB83_52
; %bb.49:
	s_load_dwordx2 s[4:5], s[4:5], 0x20
	ds_read_b32 v1, v1
	s_waitcnt lgkmcnt(0)
	s_cmp_eq_u64 s[4:5], 0
	s_cbranch_scc1 .LBB83_51
; %bb.50:
	s_load_dword s3, s[4:5], 0x0
	v_max_f32_e32 v1, v1, v1
	s_waitcnt lgkmcnt(0)
	v_max_f32_e64 v4, s3, s3
	v_min_f32_e32 v1, v1, v4
.LBB83_51:
	s_mov_b32 s3, 0x42fe0000
	v_div_scale_f32 v4, s[4:5], s3, s3, v1
	v_rcp_f32_e32 v5, v4
	v_div_scale_f32 v6, vcc, v1, s3, v1
	v_lshlrev_b64 v[2:3], 2, v[2:3]
	v_fma_f32 v7, -v4, v5, 1.0
	v_fmac_f32_e32 v5, v7, v5
	v_mul_f32_e32 v7, v6, v5
	v_fma_f32 v8, -v4, v7, v6
	v_fmac_f32_e32 v7, v8, v5
	v_fma_f32 v4, -v4, v7, v6
	v_div_fmas_f32 v4, v4, v5, v7
	v_div_fixup_f32 v1, v4, s3, v1
	s_add_i32 s3, s9, s8
	s_lshl_b64 s[4:5], s[2:3], 2
	s_add_u32 s3, s14, s4
	s_addc_u32 s4, s15, s5
	v_mov_b32_e32 v4, s4
	v_add_co_u32_e32 v2, vcc, s3, v2
	v_max_f32_e32 v1, 0x34000000, v1
	v_addc_co_u32_e32 v3, vcc, v4, v3, vcc
	global_store_dword v[2:3], v1, off
.LBB83_52:
	s_or_b64 exec, exec, s[6:7]
	s_barrier
	s_and_saveexec_b64 s[4:5], s[0:1]
	s_cbranch_execz .LBB83_61
; %bb.53:
	s_add_u32 s11, s12, s20
	s_addc_u32 s16, s13, s21
	s_add_i32 s3, s9, s8
	s_lshl_b64 s[0:1], s[2:3], 2
	s_add_u32 s2, s14, s0
	s_addc_u32 s3, s15, s1
	s_mul_i32 s17, s44, 3
	s_lshl_b32 s20, s44, 1
	s_mov_b64 s[4:5], 0
	v_mov_b32_e32 v8, s46
	v_mov_b32_e32 v9, s19
	;; [unrolled: 1-line block ×3, first 2 shown]
	s_movk_i32 s21, 0x7fff
	v_mov_b32_e32 v11, 0x7fc00000
	v_mov_b32_e32 v12, 0x7fc0
	s_mov_b32 s22, 0x42fe0000
	v_mov_b32_e32 v13, 0x42fe0000
	s_mov_b32 s23, 0xc3000000
	v_mov_b32_e32 v14, 0xc3000000
	v_mov_b32_e32 v15, s16
	v_mov_b32_e32 v1, 0
	v_mov_b32_e32 v16, 8
                                        ; implicit-def: $sgpr6_sgpr7
	s_branch .LBB83_57
.LBB83_54:                              ;   in Loop: Header=BB83_57 Depth=1
	s_or_b64 exec, exec, s[14:15]
	s_orn2_b64 s[0:1], s[0:1], exec
.LBB83_55:                              ;   in Loop: Header=BB83_57 Depth=1
	s_or_b64 exec, exec, s[12:13]
	s_andn2_b64 s[6:7], s[6:7], exec
	s_and_b64 s[0:1], s[0:1], exec
	s_or_b64 s[6:7], s[6:7], s[0:1]
.LBB83_56:                              ;   in Loop: Header=BB83_57 Depth=1
	s_or_b64 exec, exec, s[8:9]
	s_and_b64 s[0:1], exec, s[6:7]
	s_or_b64 s[4:5], s[0:1], s[4:5]
	s_andn2_b64 exec, exec, s[4:5]
	s_cbranch_execz .LBB83_61
.LBB83_57:                              ; =>This Inner Loop Header: Depth=1
	v_lshlrev_b64 v[2:3], 3, v[0:1]
	v_add_co_u32_e32 v4, vcc, s33, v2
	v_addc_co_u32_e32 v5, vcc, v8, v3, vcc
	global_load_dwordx2 v[6:7], v[4:5], off
	v_add_co_u32_e32 v4, vcc, s47, v2
	v_addc_co_u32_e32 v5, vcc, v10, v3, vcc
	global_load_dwordx2 v[18:19], v[4:5], off
	v_lshrrev_b32_e32 v17, 2, v0
	v_and_b32_e32 v17, 0xffffffc, v17
	global_load_dword v17, v17, s[2:3]
	v_add_co_u32_e32 v2, vcc, s18, v2
	v_addc_co_u32_e32 v3, vcc, v9, v3, vcc
	global_load_dwordx2 v[2:3], v[2:3], off
	s_or_b64 s[6:7], s[6:7], exec
	s_waitcnt vmcnt(3)
	v_and_b32_e32 v20, 0xffff0000, v6
	v_lshlrev_b32_e32 v21, 16, v6
	v_alignbit_b32 v6, v7, v6, 16
	v_and_b32_e32 v7, 0xffff0000, v7
	v_and_b32_e32 v6, 0xffff0000, v6
	s_waitcnt vmcnt(2)
	v_and_b32_e32 v22, 0xffff0000, v18
	v_lshlrev_b32_e32 v23, 16, v18
	v_alignbit_b32 v18, v19, v18, 16
	v_and_b32_e32 v19, 0xffff0000, v19
	v_add_f32_e32 v19, v7, v19
	s_waitcnt vmcnt(1)
	v_div_scale_f32 v24, s[0:1], v17, v17, 1.0
	v_add_f32_e32 v21, v21, v23
	v_add_f32_e32 v20, v20, v22
	v_and_b32_e32 v18, 0xffff0000, v18
	v_bfe_u32 v23, v19, 16, 1
	v_rcp_f32_e32 v22, v24
	v_add_f32_e32 v6, v6, v18
	v_bfe_u32 v18, v20, 16, 1
	v_add3_u32 v23, v19, v23, s21
	v_bfe_u32 v7, v21, 16, 1
	v_add3_u32 v18, v20, v18, s21
	v_and_b32_e32 v23, 0xffff0000, v23
	v_cmp_o_f32_e64 s[0:1], v19, v19
	v_mul_f32_e32 v27, v37, v21
	v_add3_u32 v7, v21, v7, s21
	v_bfe_u32 v29, v6, 16, 1
	v_and_b32_e32 v18, 0xffff0000, v18
	v_cndmask_b32_e64 v23, v11, v23, s[0:1]
	v_cmp_o_f32_e64 s[0:1], v20, v20
	v_bfe_u32 v30, v27, 16, 1
	v_lshrrev_b32_e32 v7, 16, v7
	v_add3_u32 v29, v6, v29, s21
	v_cndmask_b32_e64 v18, v11, v18, s[0:1]
	v_cmp_o_f32_e64 s[0:1], v21, v21
	v_mul_f32_e32 v28, v37, v20
	v_add3_u32 v30, v27, v30, s21
	v_lshrrev_b32_e32 v29, 16, v29
	v_cndmask_b32_e64 v7, v12, v7, s[0:1]
	v_fma_f32 v20, -v24, v22, 1.0
	v_cmp_o_f32_e64 s[0:1], v6, v6
	v_div_scale_f32 v25, vcc, 1.0, v17, 1.0
	v_mul_f32_e32 v32, v37, v6
	v_and_b32_e32 v21, 0xffff0000, v30
	v_cndmask_b32_e64 v6, v12, v29, s[0:1]
	v_or_b32_e32 v18, v7, v18
	v_fmac_f32_e32 v22, v20, v22
	v_cmp_o_f32_e64 s[0:1], v27, v27
	s_waitcnt vmcnt(0)
	v_lshlrev_b32_e32 v26, 16, v2
	v_cndmask_b32_e64 v20, v11, v21, s[0:1]
	v_or3_b32 v7, 0, v6, v23
	v_or3_b32 v6, v18, 0, 0
	v_mul_f32_e32 v18, v25, v22
	v_mul_f32_e32 v20, v20, v26
	global_store_dwordx2 v[4:5], v[6:7], off
	v_fma_f32 v4, -v24, v18, v25
	v_bfe_u32 v5, v20, 16, 1
	v_fmac_f32_e32 v18, v4, v22
	v_add3_u32 v4, v20, v5, s21
	v_fma_f32 v5, -v24, v18, v25
	v_and_b32_e32 v4, 0xffff0000, v4
	v_div_fmas_f32 v5, v5, v22, v18
	v_cmp_o_f32_e32 vcc, v20, v20
	v_cndmask_b32_e32 v6, v11, v4, vcc
	v_div_fixup_f32 v4, v5, v17, 1.0
	v_mul_f32_e32 v5, v4, v6
	v_bfe_u32 v31, v28, 16, 1
	v_rndne_f32_e32 v5, v5
	v_add3_u32 v31, v28, v31, s21
	v_bfe_u32 v33, v32, 16, 1
	v_cmp_nlt_f32_e32 vcc, s22, v5
	v_and_b32_e32 v30, 0xffff0000, v31
	v_add3_u32 v31, v32, v33, s21
	v_cndmask_b32_e32 v6, v13, v5, vcc
	v_cmp_ngt_f32_e32 vcc, s23, v5
	v_and_b32_e32 v21, 0xffff0000, v31
	v_cndmask_b32_e32 v5, v14, v6, vcc
	v_cmp_o_f32_e32 vcc, v32, v32
	v_alignbit_b32 v7, v3, v2, 16
	v_cndmask_b32_e32 v6, v11, v21, vcc
	v_and_b32_e32 v7, 0xffff0000, v7
	v_mul_f32_e32 v6, v6, v7
	v_bfe_u32 v7, v6, 16, 1
	v_add3_u32 v7, v6, v7, s21
	v_and_b32_e32 v7, 0xffff0000, v7
	v_cmp_o_f32_e32 vcc, v6, v6
	v_cndmask_b32_e32 v6, v11, v7, vcc
	v_mul_f32_e32 v6, v4, v6
	v_rndne_f32_e32 v6, v6
	v_cmp_nlt_f32_e32 vcc, s22, v6
	v_cndmask_b32_e32 v7, v13, v6, vcc
	v_cmp_ngt_f32_e32 vcc, s23, v6
	v_cndmask_b32_e32 v6, v14, v7, vcc
	v_mul_f32_e32 v18, v37, v19
	v_cvt_i32_f32_e32 v17, v6
	v_bfe_u32 v6, v18, 16, 1
	v_add3_u32 v6, v18, v6, s21
	v_and_b32_e32 v20, 0xffff0000, v6
	v_lshlrev_b64 v[6:7], 2, v[0:1]
	v_add_co_u32_e32 v6, vcc, s11, v6
	v_addc_co_u32_e32 v7, vcc, v15, v7, vcc
	v_cmp_o_f32_e32 vcc, v28, v28
	v_cndmask_b32_e32 v19, v11, v30, vcc
	v_cmp_o_f32_e32 vcc, v18, v18
	v_cndmask_b32_e32 v18, v11, v20, vcc
	v_and_b32_e32 v21, 0xffff0000, v2
	v_and_b32_e32 v20, 0xffff0000, v3
	v_pk_mul_f32 v[2:3], v[18:19], v[20:21]
	v_bfe_u32 v19, v3, 16, 1
	v_cvt_i32_f32_e32 v5, v5
	v_bfe_u32 v18, v2, 16, 1
	v_add3_u32 v19, v3, v19, s21
	v_add3_u32 v18, v2, v18, s21
	v_and_b32_e32 v19, 0xffff0000, v19
	v_cmp_o_f32_e32 vcc, v3, v3
	v_and_b32_e32 v18, 0xffff0000, v18
	v_cndmask_b32_e32 v3, v11, v19, vcc
	v_cmp_o_f32_e32 vcc, v2, v2
	v_cndmask_b32_e32 v2, v11, v18, vcc
	v_pk_mul_f32 v[2:3], v[4:5], v[2:3] op_sel_hi:[0,1]
	v_rndne_f32_e32 v2, v2
	v_rndne_f32_e32 v3, v3
	v_cmp_nlt_f32_e32 vcc, s22, v2
	v_cndmask_b32_e32 v4, v13, v2, vcc
	v_cmp_nlt_f32_e32 vcc, s22, v3
	v_cndmask_b32_e32 v18, v13, v3, vcc
	v_cmp_ngt_f32_e32 vcc, s23, v3
	v_cndmask_b32_e32 v3, v14, v18, vcc
	v_cmp_ngt_f32_e32 vcc, s23, v2
	v_cndmask_b32_e32 v2, v14, v4, vcc
	v_cvt_i32_f32_e32 v3, v3
	v_cvt_i32_f32_e32 v2, v2
	v_and_b32_e32 v4, 0xff, v17
	v_lshlrev_b32_e32 v4, 16, v4
	v_lshlrev_b32_sdwa v3, v16, v3 dst_sel:DWORD dst_unused:UNUSED_PAD src0_sel:DWORD src1_sel:BYTE_0
	v_lshl_or_b32 v2, v2, 24, v4
	v_and_b32_e32 v4, 0xff, v5
	v_or3_b32 v2, v2, v3, v4
	global_store_dword v[6:7], v2, off
	v_add_u32_e32 v2, s44, v0
	v_cmp_gt_u32_e32 vcc, s10, v2
	s_and_saveexec_b64 s[8:9], vcc
	s_cbranch_execz .LBB83_56
; %bb.58:                               ;   in Loop: Header=BB83_57 Depth=1
	v_mov_b32_e32 v3, v1
	v_lshrrev_b32_e32 v6, 2, v2
	v_lshlrev_b64 v[4:5], 3, v[2:3]
	v_and_b32_e32 v6, 0xffffffc, v6
	global_load_dword v17, v6, s[2:3]
	v_add_co_u32_e32 v6, vcc, s33, v4
	v_addc_co_u32_e32 v7, vcc, v8, v5, vcc
	v_add_co_u32_e32 v18, vcc, s47, v4
	v_addc_co_u32_e32 v19, vcc, v10, v5, vcc
	global_load_dwordx2 v[6:7], v[6:7], off
	v_add_co_u32_e32 v4, vcc, s18, v4
	global_load_dwordx2 v[20:21], v[18:19], off
	v_addc_co_u32_e32 v5, vcc, v9, v5, vcc
	global_load_dwordx2 v[4:5], v[4:5], off
	s_waitcnt vmcnt(3)
	v_div_scale_f32 v22, s[0:1], v17, v17, 1.0
	v_rcp_f32_e32 v28, v22
	v_div_scale_f32 v23, vcc, 1.0, v17, 1.0
	v_fma_f32 v35, -v22, v28, 1.0
	v_fmac_f32_e32 v28, v35, v28
	s_waitcnt vmcnt(2)
	v_and_b32_e32 v24, 0xffff0000, v6
	v_lshlrev_b32_e32 v25, 16, v6
	v_alignbit_b32 v6, v7, v6, 16
	v_and_b32_e32 v7, 0xffff0000, v7
	s_waitcnt vmcnt(1)
	v_and_b32_e32 v26, 0xffff0000, v20
	v_lshlrev_b32_e32 v27, 16, v20
	v_alignbit_b32 v20, v21, v20, 16
	v_and_b32_e32 v21, 0xffff0000, v21
	v_add_f32_e32 v21, v7, v21
	v_and_b32_e32 v6, 0xffff0000, v6
	v_add_f32_e32 v24, v24, v26
	v_and_b32_e32 v20, 0xffff0000, v20
	v_bfe_u32 v26, v21, 16, 1
	v_add_f32_e32 v25, v25, v27
	v_add_f32_e32 v6, v6, v20
	v_bfe_u32 v20, v24, 16, 1
	v_add3_u32 v26, v21, v26, s21
	v_bfe_u32 v7, v25, 16, 1
	v_add3_u32 v20, v24, v20, s21
	v_and_b32_e32 v26, 0xffff0000, v26
	v_cmp_o_f32_e64 s[0:1], v21, v21
	v_mul_f32_e32 v27, v37, v25
	v_add3_u32 v7, v25, v7, s21
	v_bfe_u32 v31, v6, 16, 1
	v_and_b32_e32 v20, 0xffff0000, v20
	v_cndmask_b32_e64 v26, v11, v26, s[0:1]
	v_cmp_o_f32_e64 s[0:1], v24, v24
	v_bfe_u32 v32, v27, 16, 1
	v_lshrrev_b32_e32 v7, 16, v7
	v_add3_u32 v31, v6, v31, s21
	v_cndmask_b32_e64 v20, v11, v20, s[0:1]
	v_cmp_o_f32_e64 s[0:1], v25, v25
	v_add3_u32 v32, v27, v32, s21
	v_lshrrev_b32_e32 v31, 16, v31
	v_cndmask_b32_e64 v7, v12, v7, s[0:1]
	v_cmp_o_f32_e64 s[0:1], v6, v6
	v_mul_f32_e32 v30, v37, v24
	v_mul_f32_e32 v34, v37, v6
	v_and_b32_e32 v24, 0xffff0000, v32
	v_cndmask_b32_e64 v6, v12, v31, s[0:1]
	v_cmp_o_f32_e64 s[0:1], v27, v27
	s_waitcnt vmcnt(0)
	v_lshlrev_b32_e32 v29, 16, v4
	v_or_b32_e32 v20, v7, v20
	v_mul_f32_e32 v31, v23, v28
	v_cndmask_b32_e64 v24, v11, v24, s[0:1]
	v_or3_b32 v7, 0, v6, v26
	v_or3_b32 v6, v20, 0, 0
	v_fma_f32 v20, -v22, v31, v23
	v_mul_f32_e32 v24, v24, v29
	global_store_dwordx2 v[18:19], v[6:7], off
	v_fmac_f32_e32 v31, v20, v28
	v_bfe_u32 v6, v24, 16, 1
	v_fma_f32 v7, -v22, v31, v23
	v_add3_u32 v6, v24, v6, s21
	v_div_fmas_f32 v7, v7, v28, v31
	v_and_b32_e32 v18, 0xffff0000, v6
	v_cmp_o_f32_e32 vcc, v24, v24
	v_div_fixup_f32 v6, v7, v17, 1.0
	v_cndmask_b32_e32 v7, v11, v18, vcc
	v_mul_f32_e32 v7, v6, v7
	v_rndne_f32_e32 v7, v7
	v_bfe_u32 v36, v34, 16, 1
	v_cmp_nlt_f32_e32 vcc, s22, v7
	v_add3_u32 v32, v34, v36, s21
	v_cndmask_b32_e32 v17, v13, v7, vcc
	v_cmp_ngt_f32_e32 vcc, s23, v7
	v_and_b32_e32 v27, 0xffff0000, v32
	v_cndmask_b32_e32 v7, v14, v17, vcc
	v_cmp_o_f32_e32 vcc, v34, v34
	v_alignbit_b32 v18, v5, v4, 16
	v_cndmask_b32_e32 v17, v11, v27, vcc
	v_and_b32_e32 v18, 0xffff0000, v18
	v_mul_f32_e32 v17, v17, v18
	v_bfe_u32 v18, v17, 16, 1
	v_add3_u32 v18, v17, v18, s21
	v_and_b32_e32 v18, 0xffff0000, v18
	v_cmp_o_f32_e32 vcc, v17, v17
	v_cndmask_b32_e32 v17, v11, v18, vcc
	v_mul_f32_e32 v17, v6, v17
	v_rndne_f32_e32 v17, v17
	v_cmp_nlt_f32_e32 vcc, s22, v17
	v_cndmask_b32_e32 v18, v13, v17, vcc
	v_cmp_ngt_f32_e32 vcc, s23, v17
	v_mul_f32_e32 v20, v37, v21
	v_cndmask_b32_e32 v17, v14, v18, vcc
	v_bfe_u32 v18, v20, 16, 1
	v_add3_u32 v18, v20, v18, s21
	v_and_b32_e32 v22, 0xffff0000, v18
	v_lshlrev_b64 v[18:19], 2, v[2:3]
	v_bfe_u32 v33, v30, 16, 1
	v_add_co_u32_e32 v18, vcc, s11, v18
	v_add3_u32 v33, v30, v33, s21
	v_addc_co_u32_e32 v19, vcc, v15, v19, vcc
	v_and_b32_e32 v25, 0xffff0000, v33
	v_cmp_o_f32_e32 vcc, v30, v30
	v_cndmask_b32_e32 v21, v11, v25, vcc
	v_cmp_o_f32_e32 vcc, v20, v20
	v_cndmask_b32_e32 v20, v11, v22, vcc
	v_and_b32_e32 v23, 0xffff0000, v4
	v_and_b32_e32 v22, 0xffff0000, v5
	v_pk_mul_f32 v[4:5], v[20:21], v[22:23]
	v_bfe_u32 v20, v5, 16, 1
	v_cvt_i32_f32_e32 v7, v7
	v_bfe_u32 v3, v4, 16, 1
	v_add3_u32 v20, v5, v20, s21
	v_add3_u32 v3, v4, v3, s21
	v_and_b32_e32 v20, 0xffff0000, v20
	v_cmp_o_f32_e32 vcc, v5, v5
	v_and_b32_e32 v3, 0xffff0000, v3
	v_cndmask_b32_e32 v5, v11, v20, vcc
	v_cmp_o_f32_e32 vcc, v4, v4
	v_cndmask_b32_e32 v4, v11, v3, vcc
	v_pk_mul_f32 v[4:5], v[6:7], v[4:5] op_sel_hi:[0,1]
	v_rndne_f32_e32 v4, v4
	v_rndne_f32_e32 v3, v5
	v_cmp_nlt_f32_e32 vcc, s22, v4
	v_cndmask_b32_e32 v5, v13, v4, vcc
	v_cmp_nlt_f32_e32 vcc, s22, v3
	v_cndmask_b32_e32 v6, v13, v3, vcc
	v_cmp_ngt_f32_e32 vcc, s23, v3
	v_cvt_i32_f32_e32 v17, v17
	v_cndmask_b32_e32 v3, v14, v6, vcc
	v_cmp_ngt_f32_e32 vcc, s23, v4
	v_cndmask_b32_e32 v4, v14, v5, vcc
	v_cvt_i32_f32_e32 v3, v3
	v_cvt_i32_f32_e32 v4, v4
	v_and_b32_e32 v5, 0xff, v17
	v_lshlrev_b32_e32 v5, 16, v5
	v_lshlrev_b32_sdwa v3, v16, v3 dst_sel:DWORD dst_unused:UNUSED_PAD src0_sel:DWORD src1_sel:BYTE_0
	v_lshl_or_b32 v4, v4, 24, v5
	v_and_b32_e32 v5, 0xff, v7
	v_or3_b32 v3, v4, v3, v5
	v_add_u32_e32 v4, s20, v0
	v_cmp_gt_u32_e32 vcc, s10, v4
	s_mov_b64 s[0:1], -1
	global_store_dword v[18:19], v3, off
	s_and_saveexec_b64 s[12:13], vcc
	s_cbranch_execz .LBB83_55
; %bb.59:                               ;   in Loop: Header=BB83_57 Depth=1
	v_mov_b32_e32 v5, v1
	v_lshlrev_b64 v[6:7], 3, v[4:5]
	v_mov_b32_e32 v3, s46
	v_add_co_u32_e32 v18, vcc, s33, v6
	v_addc_co_u32_e32 v19, vcc, v3, v7, vcc
	v_mov_b32_e32 v21, s48
	v_add_co_u32_e32 v20, vcc, s47, v6
	v_addc_co_u32_e32 v21, vcc, v21, v7, vcc
	global_load_dwordx2 v[18:19], v[18:19], off
	v_lshrrev_b32_e32 v3, 2, v4
	global_load_dwordx2 v[22:23], v[20:21], off
	v_and_b32_e32 v3, 0xffffffc, v3
	global_load_dword v3, v3, s[2:3]
	v_mov_b32_e32 v17, s19
	v_add_co_u32_e32 v6, vcc, s18, v6
	v_addc_co_u32_e32 v7, vcc, v17, v7, vcc
	global_load_dwordx2 v[6:7], v[6:7], off
	v_lshlrev_b64 v[4:5], 2, v[4:5]
	v_add_u32_e32 v0, s17, v0
	s_waitcnt vmcnt(3)
	v_and_b32_e32 v25, 0xffff0000, v18
	v_lshlrev_b32_e32 v26, 16, v18
	v_alignbit_b32 v18, v19, v18, 16
	v_and_b32_e32 v19, 0xffff0000, v19
	s_waitcnt vmcnt(2)
	v_and_b32_e32 v27, 0xffff0000, v22
	v_lshlrev_b32_e32 v28, 16, v22
	v_alignbit_b32 v22, v23, v22, 16
	v_and_b32_e32 v23, 0xffff0000, v23
	v_add_f32_e32 v23, v19, v23
	s_waitcnt vmcnt(1)
	v_div_scale_f32 v17, s[0:1], v3, v3, 1.0
	v_and_b32_e32 v18, 0xffff0000, v18
	v_add_f32_e32 v25, v25, v27
	v_and_b32_e32 v22, 0xffff0000, v22
	v_bfe_u32 v27, v23, 16, 1
	v_rcp_f32_e32 v29, v17
	v_add_f32_e32 v26, v26, v28
	v_add_f32_e32 v18, v18, v22
	v_bfe_u32 v22, v25, 16, 1
	v_add3_u32 v27, v23, v27, s21
	v_bfe_u32 v19, v26, 16, 1
	v_add3_u32 v22, v25, v22, s21
	v_and_b32_e32 v27, 0xffff0000, v27
	v_cmp_o_f32_e64 s[0:1], v23, v23
	v_mul_f32_e32 v28, v37, v26
	v_add3_u32 v19, v26, v19, s21
	v_bfe_u32 v32, v18, 16, 1
	v_and_b32_e32 v22, 0xffff0000, v22
	v_cndmask_b32_e64 v27, v11, v27, s[0:1]
	v_cmp_o_f32_e64 s[0:1], v25, v25
	v_bfe_u32 v33, v28, 16, 1
	v_lshrrev_b32_e32 v19, 16, v19
	v_add3_u32 v32, v18, v32, s21
	v_cndmask_b32_e64 v22, v11, v22, s[0:1]
	v_cmp_o_f32_e64 s[0:1], v26, v26
	v_fma_f32 v36, -v17, v29, 1.0
	v_add3_u32 v33, v28, v33, s21
	v_lshrrev_b32_e32 v32, 16, v32
	v_cndmask_b32_e64 v19, v12, v19, s[0:1]
	v_cmp_o_f32_e64 s[0:1], v18, v18
	v_div_scale_f32 v24, vcc, 1.0, v3, 1.0
	v_mul_f32_e32 v31, v37, v25
	v_mul_f32_e32 v35, v37, v18
	v_fmac_f32_e32 v29, v36, v29
	v_and_b32_e32 v25, 0xffff0000, v33
	v_cndmask_b32_e64 v18, v12, v32, s[0:1]
	v_cmp_o_f32_e64 s[0:1], v28, v28
	s_waitcnt vmcnt(0)
	v_lshlrev_b32_e32 v30, 16, v6
	v_or_b32_e32 v22, v19, v22
	v_mul_f32_e32 v32, v24, v29
	v_cndmask_b32_e64 v25, v11, v25, s[0:1]
	v_or3_b32 v19, 0, v18, v27
	v_or3_b32 v18, v22, 0, 0
	v_fma_f32 v22, -v17, v32, v24
	v_mul_f32_e32 v25, v25, v30
	global_store_dwordx2 v[20:21], v[18:19], off
	v_fmac_f32_e32 v32, v22, v29
	v_bfe_u32 v18, v25, 16, 1
	v_fma_f32 v17, -v17, v32, v24
	v_add3_u32 v18, v25, v18, s21
	v_div_fmas_f32 v17, v17, v29, v32
	v_and_b32_e32 v19, 0xffff0000, v18
	v_cmp_o_f32_e32 vcc, v25, v25
	v_div_fixup_f32 v18, v17, v3, 1.0
	v_cndmask_b32_e32 v3, v11, v19, vcc
	v_mul_f32_e32 v3, v18, v3
	v_rndne_f32_e32 v3, v3
	v_cmp_nlt_f32_e32 vcc, s22, v3
	v_cndmask_b32_e32 v17, v13, v3, vcc
	v_cmp_ngt_f32_e32 vcc, s23, v3
	v_cndmask_b32_e32 v3, v14, v17, vcc
	v_bfe_u32 v17, v35, 16, 1
	v_add3_u32 v17, v35, v17, s21
	v_and_b32_e32 v17, 0xffff0000, v17
	v_cmp_o_f32_e32 vcc, v35, v35
	v_alignbit_b32 v19, v7, v6, 16
	v_cndmask_b32_e32 v17, v11, v17, vcc
	v_and_b32_e32 v19, 0xffff0000, v19
	v_mul_f32_e32 v17, v17, v19
	v_bfe_u32 v19, v17, 16, 1
	v_add3_u32 v19, v17, v19, s21
	v_and_b32_e32 v19, 0xffff0000, v19
	v_cmp_o_f32_e32 vcc, v17, v17
	v_cndmask_b32_e32 v17, v11, v19, vcc
	v_mul_f32_e32 v17, v18, v17
	v_rndne_f32_e32 v17, v17
	v_cmp_nlt_f32_e32 vcc, s22, v17
	v_cndmask_b32_e32 v19, v13, v17, vcc
	v_cmp_ngt_f32_e32 vcc, s23, v17
	v_bfe_u32 v34, v31, 16, 1
	v_cndmask_b32_e32 v17, v14, v19, vcc
	v_mul_f32_e32 v19, v37, v23
	v_mov_b32_e32 v21, s16
	v_add_co_u32_e32 v4, vcc, s11, v4
	v_add3_u32 v34, v31, v34, s21
	v_bfe_u32 v20, v19, 16, 1
	v_addc_co_u32_e32 v5, vcc, v21, v5, vcc
	v_and_b32_e32 v26, 0xffff0000, v34
	v_add3_u32 v20, v19, v20, s21
	v_cmp_o_f32_e32 vcc, v31, v31
	v_and_b32_e32 v20, 0xffff0000, v20
	v_cndmask_b32_e32 v21, v11, v26, vcc
	v_cmp_o_f32_e32 vcc, v19, v19
	v_cndmask_b32_e32 v20, v11, v20, vcc
	v_and_b32_e32 v23, 0xffff0000, v6
	v_and_b32_e32 v22, 0xffff0000, v7
	v_pk_mul_f32 v[6:7], v[20:21], v[22:23]
	v_bfe_u32 v20, v7, 16, 1
	v_bfe_u32 v19, v6, 16, 1
	v_add3_u32 v20, v7, v20, s21
	v_add3_u32 v19, v6, v19, s21
	v_and_b32_e32 v20, 0xffff0000, v20
	v_cmp_o_f32_e32 vcc, v7, v7
	v_and_b32_e32 v19, 0xffff0000, v19
	v_cndmask_b32_e32 v7, v11, v20, vcc
	v_cmp_o_f32_e32 vcc, v6, v6
	v_cndmask_b32_e32 v6, v11, v19, vcc
	v_pk_mul_f32 v[6:7], v[18:19], v[6:7] op_sel_hi:[0,1]
	v_rndne_f32_e32 v6, v6
	v_rndne_f32_e32 v7, v7
	v_cmp_nlt_f32_e32 vcc, s22, v6
	v_cndmask_b32_e32 v18, v13, v6, vcc
	v_cmp_nlt_f32_e32 vcc, s22, v7
	v_cndmask_b32_e32 v19, v13, v7, vcc
	v_cmp_ngt_f32_e32 vcc, s23, v7
	v_cvt_i32_f32_e32 v17, v17
	v_cndmask_b32_e32 v7, v14, v19, vcc
	v_cmp_ngt_f32_e32 vcc, s23, v6
	v_cndmask_b32_e32 v6, v14, v18, vcc
	v_cvt_i32_f32_e32 v3, v3
	v_cvt_i32_f32_e32 v7, v7
	v_cvt_i32_f32_e32 v6, v6
	v_and_b32_e32 v17, 0xff, v17
	v_lshlrev_b32_e32 v17, 16, v17
	v_lshlrev_b32_sdwa v7, v16, v7 dst_sel:DWORD dst_unused:UNUSED_PAD src0_sel:DWORD src1_sel:BYTE_0
	v_lshl_or_b32 v6, v6, 24, v17
	v_and_b32_e32 v3, 0xff, v3
	v_or3_b32 v3, v6, v7, v3
	v_cmp_gt_u32_e32 vcc, s10, v0
	s_mov_b64 s[0:1], -1
	global_store_dword v[4:5], v3, off
	s_and_saveexec_b64 s[14:15], vcc
	s_cbranch_execz .LBB83_54
; %bb.60:                               ;   in Loop: Header=BB83_57 Depth=1
	v_lshlrev_b64 v[4:5], 3, v[0:1]
	v_mov_b32_e32 v3, s46
	v_add_co_u32_e32 v6, vcc, s33, v4
	v_addc_co_u32_e32 v7, vcc, v3, v5, vcc
	global_load_dwordx2 v[18:19], v[6:7], off
	v_mov_b32_e32 v7, s48
	v_add_co_u32_e32 v6, vcc, s47, v4
	v_addc_co_u32_e32 v7, vcc, v7, v5, vcc
	global_load_dwordx2 v[20:21], v[6:7], off
	v_lshrrev_b32_e32 v17, 2, v0
	v_and_b32_e32 v17, 0xffffffc, v17
	global_load_dword v17, v17, s[2:3]
	v_mov_b32_e32 v3, s19
	v_add_co_u32_e32 v4, vcc, s18, v4
	v_addc_co_u32_e32 v5, vcc, v3, v5, vcc
	global_load_dwordx2 v[4:5], v[4:5], off
	s_waitcnt vmcnt(3)
	v_and_b32_e32 v3, 0xffff0000, v18
	v_lshlrev_b32_e32 v22, 16, v18
	v_alignbit_b32 v18, v19, v18, 16
	v_and_b32_e32 v19, 0xffff0000, v19
	v_and_b32_e32 v18, 0xffff0000, v18
	s_waitcnt vmcnt(2)
	v_and_b32_e32 v23, 0xffff0000, v20
	v_lshlrev_b32_e32 v24, 16, v20
	v_alignbit_b32 v20, v21, v20, 16
	v_and_b32_e32 v21, 0xffff0000, v21
	v_add_f32_e32 v21, v19, v21
	s_waitcnt vmcnt(1)
	v_div_scale_f32 v25, s[0:1], v17, v17, 1.0
	v_add_f32_e32 v22, v22, v24
	v_add_f32_e32 v3, v3, v23
	v_and_b32_e32 v20, 0xffff0000, v20
	v_bfe_u32 v24, v21, 16, 1
	v_rcp_f32_e32 v23, v25
	v_add_f32_e32 v18, v18, v20
	v_bfe_u32 v20, v3, 16, 1
	v_add3_u32 v24, v21, v24, s21
	v_bfe_u32 v19, v22, 16, 1
	v_add3_u32 v20, v3, v20, s21
	v_and_b32_e32 v24, 0xffff0000, v24
	v_cmp_o_f32_e64 s[0:1], v21, v21
	v_mul_f32_e32 v28, v37, v22
	v_add3_u32 v19, v22, v19, s21
	v_bfe_u32 v30, v18, 16, 1
	v_and_b32_e32 v20, 0xffff0000, v20
	v_cndmask_b32_e64 v24, v11, v24, s[0:1]
	v_cmp_o_f32_e64 s[0:1], v3, v3
	v_mul_f32_e32 v29, v37, v3
	v_bfe_u32 v31, v28, 16, 1
	v_lshrrev_b32_e32 v19, 16, v19
	v_add3_u32 v30, v18, v30, s21
	v_cndmask_b32_e64 v3, v11, v20, s[0:1]
	v_cmp_o_f32_e64 s[0:1], v22, v22
	v_add3_u32 v31, v28, v31, s21
	v_lshrrev_b32_e32 v30, 16, v30
	v_cndmask_b32_e64 v19, v12, v19, s[0:1]
	v_fma_f32 v20, -v25, v23, 1.0
	v_cmp_o_f32_e64 s[0:1], v18, v18
	v_div_scale_f32 v26, vcc, 1.0, v17, 1.0
	v_mul_f32_e32 v33, v37, v18
	v_and_b32_e32 v22, 0xffff0000, v31
	v_cndmask_b32_e64 v18, v12, v30, s[0:1]
	v_or_b32_e32 v3, v19, v3
	v_fmac_f32_e32 v23, v20, v23
	v_cmp_o_f32_e64 s[0:1], v28, v28
	s_waitcnt vmcnt(0)
	v_lshlrev_b32_e32 v27, 16, v4
	v_cndmask_b32_e64 v20, v11, v22, s[0:1]
	v_or3_b32 v19, 0, v18, v24
	v_or3_b32 v18, v3, 0, 0
	v_mul_f32_e32 v3, v26, v23
	v_mul_f32_e32 v20, v20, v27
	global_store_dwordx2 v[6:7], v[18:19], off
	v_fma_f32 v6, -v25, v3, v26
	v_bfe_u32 v7, v20, 16, 1
	v_fmac_f32_e32 v3, v6, v23
	v_add3_u32 v6, v20, v7, s21
	v_fma_f32 v7, -v25, v3, v26
	v_and_b32_e32 v6, 0xffff0000, v6
	v_div_fmas_f32 v3, v7, v23, v3
	v_cmp_o_f32_e32 vcc, v20, v20
	v_cndmask_b32_e32 v7, v11, v6, vcc
	v_div_fixup_f32 v6, v3, v17, 1.0
	v_mul_f32_e32 v3, v6, v7
	v_rndne_f32_e32 v3, v3
	v_cmp_nlt_f32_e32 vcc, s22, v3
	v_bfe_u32 v34, v33, 16, 1
	v_cndmask_b32_e32 v7, v13, v3, vcc
	v_cmp_ngt_f32_e32 vcc, s23, v3
	v_cndmask_b32_e32 v3, v14, v7, vcc
	v_add3_u32 v7, v33, v34, s21
	v_and_b32_e32 v7, 0xffff0000, v7
	v_cmp_o_f32_e32 vcc, v33, v33
	v_alignbit_b32 v17, v5, v4, 16
	v_cndmask_b32_e32 v7, v11, v7, vcc
	v_and_b32_e32 v17, 0xffff0000, v17
	v_mul_f32_e32 v7, v7, v17
	v_bfe_u32 v17, v7, 16, 1
	v_add3_u32 v17, v7, v17, s21
	v_and_b32_e32 v17, 0xffff0000, v17
	v_cmp_o_f32_e32 vcc, v7, v7
	v_cndmask_b32_e32 v7, v11, v17, vcc
	v_mul_f32_e32 v7, v6, v7
	v_rndne_f32_e32 v7, v7
	v_cmp_nlt_f32_e32 vcc, s22, v7
	v_cndmask_b32_e32 v17, v13, v7, vcc
	v_cmp_ngt_f32_e32 vcc, s23, v7
	v_cndmask_b32_e32 v7, v14, v17, vcc
	v_mul_f32_e32 v17, v37, v21
	v_bfe_u32 v18, v17, 16, 1
	v_add3_u32 v18, v17, v18, s21
	v_and_b32_e32 v20, 0xffff0000, v18
	v_lshlrev_b64 v[18:19], 2, v[0:1]
	v_bfe_u32 v32, v29, 16, 1
	v_mov_b32_e32 v0, s16
	v_add_co_u32_e32 v18, vcc, s11, v18
	v_add3_u32 v32, v29, v32, s21
	v_addc_co_u32_e32 v19, vcc, v0, v19, vcc
	v_and_b32_e32 v31, 0xffff0000, v32
	v_cmp_o_f32_e32 vcc, v29, v29
	v_cndmask_b32_e32 v21, v11, v31, vcc
	v_cmp_o_f32_e32 vcc, v17, v17
	v_cndmask_b32_e32 v20, v11, v20, vcc
	v_and_b32_e32 v23, 0xffff0000, v4
	v_and_b32_e32 v22, 0xffff0000, v5
	v_pk_mul_f32 v[4:5], v[20:21], v[22:23]
	v_bfe_u32 v17, v5, 16, 1
	v_cvt_i32_f32_e32 v7, v7
	v_bfe_u32 v0, v4, 16, 1
	v_add3_u32 v17, v5, v17, s21
	v_add3_u32 v0, v4, v0, s21
	v_and_b32_e32 v17, 0xffff0000, v17
	v_cmp_o_f32_e32 vcc, v5, v5
	v_and_b32_e32 v0, 0xffff0000, v0
	v_cndmask_b32_e32 v5, v11, v17, vcc
	v_cmp_o_f32_e32 vcc, v4, v4
	v_cndmask_b32_e32 v4, v11, v0, vcc
	v_pk_mul_f32 v[4:5], v[6:7], v[4:5] op_sel_hi:[0,1]
	v_rndne_f32_e32 v4, v4
	v_rndne_f32_e32 v0, v5
	v_cmp_nlt_f32_e32 vcc, s22, v4
	v_cndmask_b32_e32 v5, v13, v4, vcc
	v_cmp_nlt_f32_e32 vcc, s22, v0
	v_cndmask_b32_e32 v6, v13, v0, vcc
	v_cmp_ngt_f32_e32 vcc, s23, v0
	v_cndmask_b32_e32 v0, v14, v6, vcc
	v_cmp_ngt_f32_e32 vcc, s23, v4
	v_cndmask_b32_e32 v4, v14, v5, vcc
	v_cvt_i32_f32_e32 v3, v3
	v_cvt_i32_f32_e32 v0, v0
	;; [unrolled: 1-line block ×3, first 2 shown]
	v_and_b32_e32 v5, 0xff, v7
	v_lshlrev_b32_e32 v5, 16, v5
	v_lshlrev_b32_sdwa v0, v16, v0 dst_sel:DWORD dst_unused:UNUSED_PAD src0_sel:DWORD src1_sel:BYTE_0
	v_lshl_or_b32 v4, v4, 24, v5
	v_and_b32_e32 v3, 0xff, v3
	s_add_i32 s0, s44, s44
	v_or3_b32 v0, v4, v0, v3
	s_add_i32 s0, s0, s44
	global_store_dword v[18:19], v0, off
	v_add_u32_e32 v0, s0, v2
	v_cmp_le_u32_e32 vcc, s10, v0
	s_orn2_b64 s[0:1], vcc, exec
	s_branch .LBB83_54
.LBB83_61:
	s_endpgm
	.section	.rodata,"a",@progbits
	.p2align	6, 0x0
	.amdhsa_kernel _ZN4vllm31rms_norm_per_block_quant_kernelIN3c108BFloat16EaLb1ELb0ELi64EEEvPT0_PfPKT_S8_PKffiiPS6_l
		.amdhsa_group_segment_fixed_size 4164
		.amdhsa_private_segment_fixed_size 0
		.amdhsa_kernarg_size 328
		.amdhsa_user_sgpr_count 6
		.amdhsa_user_sgpr_private_segment_buffer 1
		.amdhsa_user_sgpr_dispatch_ptr 0
		.amdhsa_user_sgpr_queue_ptr 0
		.amdhsa_user_sgpr_kernarg_segment_ptr 1
		.amdhsa_user_sgpr_dispatch_id 0
		.amdhsa_user_sgpr_flat_scratch_init 0
		.amdhsa_user_sgpr_kernarg_preload_length 0
		.amdhsa_user_sgpr_kernarg_preload_offset 0
		.amdhsa_user_sgpr_private_segment_size 0
		.amdhsa_uses_dynamic_stack 0
		.amdhsa_system_sgpr_private_segment_wavefront_offset 0
		.amdhsa_system_sgpr_workgroup_id_x 1
		.amdhsa_system_sgpr_workgroup_id_y 0
		.amdhsa_system_sgpr_workgroup_id_z 0
		.amdhsa_system_sgpr_workgroup_info 0
		.amdhsa_system_vgpr_workitem_id 0
		.amdhsa_next_free_vgpr 55
		.amdhsa_next_free_sgpr 49
		.amdhsa_accum_offset 56
		.amdhsa_reserve_vcc 1
		.amdhsa_reserve_flat_scratch 0
		.amdhsa_float_round_mode_32 0
		.amdhsa_float_round_mode_16_64 0
		.amdhsa_float_denorm_mode_32 3
		.amdhsa_float_denorm_mode_16_64 3
		.amdhsa_dx10_clamp 1
		.amdhsa_ieee_mode 1
		.amdhsa_fp16_overflow 0
		.amdhsa_tg_split 0
		.amdhsa_exception_fp_ieee_invalid_op 0
		.amdhsa_exception_fp_denorm_src 0
		.amdhsa_exception_fp_ieee_div_zero 0
		.amdhsa_exception_fp_ieee_overflow 0
		.amdhsa_exception_fp_ieee_underflow 0
		.amdhsa_exception_fp_ieee_inexact 0
		.amdhsa_exception_int_div_zero 0
	.end_amdhsa_kernel
	.section	.text._ZN4vllm31rms_norm_per_block_quant_kernelIN3c108BFloat16EaLb1ELb0ELi64EEEvPT0_PfPKT_S8_PKffiiPS6_l,"axG",@progbits,_ZN4vllm31rms_norm_per_block_quant_kernelIN3c108BFloat16EaLb1ELb0ELi64EEEvPT0_PfPKT_S8_PKffiiPS6_l,comdat
.Lfunc_end83:
	.size	_ZN4vllm31rms_norm_per_block_quant_kernelIN3c108BFloat16EaLb1ELb0ELi64EEEvPT0_PfPKT_S8_PKffiiPS6_l, .Lfunc_end83-_ZN4vllm31rms_norm_per_block_quant_kernelIN3c108BFloat16EaLb1ELb0ELi64EEEvPT0_PfPKT_S8_PKffiiPS6_l
                                        ; -- End function
	.section	.AMDGPU.csdata,"",@progbits
; Kernel info:
; codeLenInByte = 10316
; NumSgprs: 53
; NumVgprs: 55
; NumAgprs: 0
; TotalNumVgprs: 55
; ScratchSize: 0
; MemoryBound: 0
; FloatMode: 240
; IeeeMode: 1
; LDSByteSize: 4164 bytes/workgroup (compile time only)
; SGPRBlocks: 6
; VGPRBlocks: 6
; NumSGPRsForWavesPerEU: 53
; NumVGPRsForWavesPerEU: 55
; AccumOffset: 56
; Occupancy: 8
; WaveLimiterHint : 0
; COMPUTE_PGM_RSRC2:SCRATCH_EN: 0
; COMPUTE_PGM_RSRC2:USER_SGPR: 6
; COMPUTE_PGM_RSRC2:TRAP_HANDLER: 0
; COMPUTE_PGM_RSRC2:TGID_X_EN: 1
; COMPUTE_PGM_RSRC2:TGID_Y_EN: 0
; COMPUTE_PGM_RSRC2:TGID_Z_EN: 0
; COMPUTE_PGM_RSRC2:TIDIG_COMP_CNT: 0
; COMPUTE_PGM_RSRC3_GFX90A:ACCUM_OFFSET: 13
; COMPUTE_PGM_RSRC3_GFX90A:TG_SPLIT: 0
	.section	.text._ZN4vllm31rms_norm_per_block_quant_kernelIN3c108BFloat16ENS1_13Float8_e4m3fnELb0ELb1ELi64EEEvPT0_PfPKT_S9_PKffiiPS7_l,"axG",@progbits,_ZN4vllm31rms_norm_per_block_quant_kernelIN3c108BFloat16ENS1_13Float8_e4m3fnELb0ELb1ELi64EEEvPT0_PfPKT_S9_PKffiiPS7_l,comdat
	.protected	_ZN4vllm31rms_norm_per_block_quant_kernelIN3c108BFloat16ENS1_13Float8_e4m3fnELb0ELb1ELi64EEEvPT0_PfPKT_S9_PKffiiPS7_l ; -- Begin function _ZN4vllm31rms_norm_per_block_quant_kernelIN3c108BFloat16ENS1_13Float8_e4m3fnELb0ELb1ELi64EEEvPT0_PfPKT_S9_PKffiiPS7_l
	.globl	_ZN4vllm31rms_norm_per_block_quant_kernelIN3c108BFloat16ENS1_13Float8_e4m3fnELb0ELb1ELi64EEEvPT0_PfPKT_S9_PKffiiPS7_l
	.p2align	8
	.type	_ZN4vllm31rms_norm_per_block_quant_kernelIN3c108BFloat16ENS1_13Float8_e4m3fnELb0ELb1ELi64EEEvPT0_PfPKT_S9_PKffiiPS7_l,@function
_ZN4vllm31rms_norm_per_block_quant_kernelIN3c108BFloat16ENS1_13Float8_e4m3fnELb0ELb1ELi64EEEvPT0_PfPKT_S9_PKffiiPS7_l: ; @_ZN4vllm31rms_norm_per_block_quant_kernelIN3c108BFloat16ENS1_13Float8_e4m3fnELb0ELb1ELi64EEEvPT0_PfPKT_S9_PKffiiPS7_l
; %bb.0:
	s_load_dwordx4 s[16:19], s[4:5], 0x28
	s_load_dwordx8 s[8:15], s[4:5], 0x0
	s_load_dword s43, s[4:5], 0x48
	s_mov_b32 s7, 0
	v_mov_b32_e32 v1, 0
	s_waitcnt lgkmcnt(0)
	s_ashr_i32 s0, s18, 31
	s_mul_hi_u32 s1, s18, s6
	s_mul_i32 s0, s0, s6
	s_add_i32 s1, s1, s0
	s_mul_i32 s0, s18, s6
	s_lshl_b64 s[28:29], s[0:1], 1
	s_add_u32 s33, s12, s28
	s_addc_u32 s42, s13, s29
	s_ashr_i32 s18, s17, 2
	s_add_u32 s24, s4, 0x48
	s_mov_b32 s20, s17
	v_cmp_gt_u32_e64 s[0:1], s18, v0
	s_addc_u32 s25, s5, 0
	s_and_saveexec_b64 s[2:3], s[0:1]
	s_cbranch_execz .LBB84_10
; %bb.1:
	s_cmp_lt_u32 s6, s43
	s_cselect_b32 s19, 12, 18
	s_add_u32 s22, s24, s19
	s_addc_u32 s23, s25, 0
	v_mov_b32_e32 v3, 0
	global_load_ushort v8, v3, s[22:23]
	s_mov_b64 s[22:23], 0
	v_mov_b32_e32 v9, s42
	v_mov_b32_e32 v2, v0
                                        ; implicit-def: $sgpr26_sgpr27
	s_waitcnt vmcnt(0)
	v_add_u32_e32 v1, v8, v8
	v_mul_lo_u32 v10, v8, 3
	v_lshlrev_b32_e32 v11, 1, v8
	v_add_u32_e32 v12, v1, v8
	v_mov_b32_e32 v1, v3
	s_branch .LBB84_5
.LBB84_2:                               ;   in Loop: Header=BB84_5 Depth=1
	s_or_b64 exec, exec, s[36:37]
	s_orn2_b64 s[36:37], s[38:39], exec
.LBB84_3:                               ;   in Loop: Header=BB84_5 Depth=1
	s_or_b64 exec, exec, s[34:35]
	s_andn2_b64 s[26:27], s[26:27], exec
	s_and_b64 s[34:35], s[36:37], exec
	s_or_b64 s[26:27], s[26:27], s[34:35]
.LBB84_4:                               ;   in Loop: Header=BB84_5 Depth=1
	s_or_b64 exec, exec, s[30:31]
	s_and_b64 s[30:31], exec, s[26:27]
	s_or_b64 s[22:23], s[30:31], s[22:23]
	s_andn2_b64 exec, exec, s[22:23]
	s_cbranch_execz .LBB84_9
.LBB84_5:                               ; =>This Inner Loop Header: Depth=1
	v_lshlrev_b64 v[4:5], 3, v[2:3]
	v_add_co_u32_e32 v4, vcc, s33, v4
	v_addc_co_u32_e32 v5, vcc, v9, v5, vcc
	global_load_dwordx2 v[6:7], v[4:5], off
	v_add_u32_e32 v4, v2, v8
	v_cmp_gt_u32_e32 vcc, s18, v4
	s_or_b64 s[26:27], s[26:27], exec
	s_waitcnt vmcnt(0)
	v_lshlrev_b32_e32 v13, 16, v6
	v_and_b32_e32 v5, 0xffff0000, v6
	v_alignbit_b32 v6, v7, v6, 16
	v_fmac_f32_e32 v1, v13, v13
	v_and_b32_e32 v6, 0xffff0000, v6
	v_fmac_f32_e32 v1, v5, v5
	v_and_b32_e32 v7, 0xffff0000, v7
	v_fmac_f32_e32 v1, v6, v6
	v_fmac_f32_e32 v1, v7, v7
	s_and_saveexec_b64 s[30:31], vcc
	s_cbranch_execz .LBB84_4
; %bb.6:                                ;   in Loop: Header=BB84_5 Depth=1
	v_mov_b32_e32 v5, v3
	v_lshlrev_b64 v[6:7], 3, v[4:5]
	v_add_co_u32_e32 v6, vcc, s33, v6
	v_addc_co_u32_e32 v7, vcc, v9, v7, vcc
	global_load_dwordx2 v[14:15], v[6:7], off
	v_add_u32_e32 v6, v11, v2
	v_cmp_gt_u32_e32 vcc, s18, v6
	s_mov_b64 s[36:37], -1
	s_waitcnt vmcnt(0)
	v_lshlrev_b32_e32 v7, 16, v14
	v_and_b32_e32 v5, 0xffff0000, v14
	v_alignbit_b32 v13, v15, v14, 16
	v_fmac_f32_e32 v1, v7, v7
	v_and_b32_e32 v13, 0xffff0000, v13
	v_fmac_f32_e32 v1, v5, v5
	v_and_b32_e32 v14, 0xffff0000, v15
	v_fmac_f32_e32 v1, v13, v13
	v_fmac_f32_e32 v1, v14, v14
	s_and_saveexec_b64 s[34:35], vcc
	s_cbranch_execz .LBB84_3
; %bb.7:                                ;   in Loop: Header=BB84_5 Depth=1
	v_mov_b32_e32 v7, v3
	v_lshlrev_b64 v[6:7], 3, v[6:7]
	v_add_co_u32_e32 v6, vcc, s33, v6
	v_addc_co_u32_e32 v7, vcc, v9, v7, vcc
	global_load_dwordx2 v[6:7], v[6:7], off
	v_add_u32_e32 v2, v10, v2
	v_cmp_gt_u32_e32 vcc, s18, v2
	s_mov_b64 s[38:39], -1
	s_waitcnt vmcnt(0)
	v_lshlrev_b32_e32 v13, 16, v6
	v_and_b32_e32 v5, 0xffff0000, v6
	v_alignbit_b32 v6, v7, v6, 16
	v_fmac_f32_e32 v1, v13, v13
	v_and_b32_e32 v6, 0xffff0000, v6
	v_fmac_f32_e32 v1, v5, v5
	v_and_b32_e32 v7, 0xffff0000, v7
	v_fmac_f32_e32 v1, v6, v6
	v_fmac_f32_e32 v1, v7, v7
	s_and_saveexec_b64 s[36:37], vcc
	s_xor_b64 s[36:37], exec, s[36:37]
	s_cbranch_execz .LBB84_2
; %bb.8:                                ;   in Loop: Header=BB84_5 Depth=1
	v_lshlrev_b64 v[6:7], 3, v[2:3]
	v_add_co_u32_e32 v6, vcc, s33, v6
	v_addc_co_u32_e32 v7, vcc, v9, v7, vcc
	global_load_dwordx2 v[6:7], v[6:7], off
	v_add_u32_e32 v2, v12, v4
	v_cmp_le_u32_e32 vcc, s18, v2
	s_orn2_b64 s[38:39], vcc, exec
	s_waitcnt vmcnt(0)
	v_lshlrev_b32_e32 v5, 16, v6
	v_and_b32_e32 v4, 0xffff0000, v6
	v_alignbit_b32 v6, v7, v6, 16
	v_fmac_f32_e32 v1, v5, v5
	v_and_b32_e32 v6, 0xffff0000, v6
	v_fmac_f32_e32 v1, v4, v4
	v_and_b32_e32 v7, 0xffff0000, v7
	v_fmac_f32_e32 v1, v6, v6
	v_fmac_f32_e32 v1, v7, v7
	s_branch .LBB84_2
.LBB84_9:
	s_or_b64 exec, exec, s[22:23]
.LBB84_10:
	s_or_b64 exec, exec, s[2:3]
	v_mbcnt_lo_u32_b32 v2, -1, 0
	v_mbcnt_hi_u32_b32 v2, -1, v2
	v_and_b32_e32 v3, 63, v2
	v_cmp_ne_u32_e32 vcc, 63, v3
	s_load_dword s2, s[24:25], 0xc
	v_addc_co_u32_e32 v4, vcc, 0, v2, vcc
	v_lshlrev_b32_e32 v4, 2, v4
	ds_bpermute_b32 v4, v4, v1
	s_waitcnt lgkmcnt(0)
	s_and_b32 s19, s2, 0xffff
	v_and_b32_e32 v5, 0x3c0, v0
	v_sub_u32_e64 v5, s19, v5 clamp
	v_add_u32_e32 v6, 1, v2
	v_add_f32_e32 v4, v1, v4
	v_cmp_lt_u32_e32 vcc, v6, v5
	v_cndmask_b32_e32 v1, v1, v4, vcc
	v_cmp_gt_u32_e32 vcc, 62, v3
	v_cndmask_b32_e64 v4, 0, 1, vcc
	v_lshlrev_b32_e32 v4, 1, v4
	v_add_lshl_u32 v4, v4, v2, 2
	ds_bpermute_b32 v4, v4, v1
	v_add_u32_e32 v6, 2, v2
	v_cmp_lt_u32_e32 vcc, v6, v5
	v_add_u32_e32 v6, 4, v2
	s_waitcnt lgkmcnt(0)
	v_add_f32_e32 v4, v1, v4
	v_cndmask_b32_e32 v1, v1, v4, vcc
	v_cmp_gt_u32_e32 vcc, 60, v3
	v_cndmask_b32_e64 v4, 0, 1, vcc
	v_lshlrev_b32_e32 v4, 2, v4
	v_add_lshl_u32 v4, v4, v2, 2
	ds_bpermute_b32 v4, v4, v1
	v_cmp_lt_u32_e32 vcc, v6, v5
	v_add_u32_e32 v6, 8, v2
	s_waitcnt lgkmcnt(0)
	v_add_f32_e32 v4, v1, v4
	v_cndmask_b32_e32 v1, v1, v4, vcc
	v_cmp_gt_u32_e32 vcc, 56, v3
	v_cndmask_b32_e64 v4, 0, 1, vcc
	v_lshlrev_b32_e32 v4, 3, v4
	v_add_lshl_u32 v4, v4, v2, 2
	ds_bpermute_b32 v4, v4, v1
	;; [unrolled: 10-line block ×3, first 2 shown]
	v_cmp_lt_u32_e32 vcc, v6, v5
	s_waitcnt lgkmcnt(0)
	v_add_f32_e32 v4, v1, v4
	v_cndmask_b32_e32 v1, v1, v4, vcc
	v_cmp_gt_u32_e32 vcc, 32, v3
	v_cndmask_b32_e64 v3, 0, 1, vcc
	v_lshlrev_b32_e32 v3, 5, v3
	v_add_lshl_u32 v3, v3, v2, 2
	ds_bpermute_b32 v3, v3, v1
	v_add_u32_e32 v4, 32, v2
	v_cmp_lt_u32_e32 vcc, v4, v5
	s_waitcnt lgkmcnt(0)
	v_add_f32_e32 v3, v1, v3
	v_cndmask_b32_e32 v1, v1, v3, vcc
	v_cmp_eq_u32_e32 vcc, 0, v2
	s_and_saveexec_b64 s[2:3], vcc
	s_cbranch_execz .LBB84_12
; %bb.11:
	v_lshrrev_b32_e32 v3, 4, v0
	v_and_b32_e32 v3, 60, v3
	ds_write_b32 v3, v1 offset:4096
.LBB84_12:
	s_or_b64 exec, exec, s[2:3]
	v_cmp_gt_u32_e32 vcc, 16, v0
	s_waitcnt lgkmcnt(0)
	s_barrier
	s_and_saveexec_b64 s[22:23], vcc
	s_cbranch_execz .LBB84_14
; %bb.13:
	v_lshlrev_b32_e32 v1, 2, v2
	ds_read_b32 v1, v1 offset:4096
	v_and_b32_e32 v3, 15, v2
	v_cmp_ne_u32_e32 vcc, 15, v3
	v_addc_co_u32_e32 v4, vcc, 0, v2, vcc
	v_lshlrev_b32_e32 v4, 2, v4
	s_waitcnt lgkmcnt(0)
	ds_bpermute_b32 v4, v4, v1
	s_add_i32 s19, s19, 63
	s_lshr_b32 s19, s19, 6
	v_add_u32_e32 v5, 1, v3
	v_cmp_gt_u32_e64 s[2:3], 14, v3
	v_cmp_gt_u32_e32 vcc, s19, v5
	v_cndmask_b32_e64 v5, 0, 1, s[2:3]
	s_waitcnt lgkmcnt(0)
	v_add_f32_e32 v4, v1, v4
	v_lshlrev_b32_e32 v5, 1, v5
	v_cndmask_b32_e32 v4, v1, v4, vcc
	v_add_lshl_u32 v5, v5, v2, 2
	ds_bpermute_b32 v5, v5, v4
	v_add_u32_e32 v6, 2, v3
	v_cmp_gt_u32_e64 s[2:3], s19, v6
	v_add_u32_e32 v6, 4, v3
	s_waitcnt lgkmcnt(0)
	v_add_f32_e32 v5, v4, v5
	v_cndmask_b32_e64 v4, v4, v5, s[2:3]
	v_cmp_gt_u32_e64 s[2:3], 12, v3
	v_cndmask_b32_e64 v5, 0, 1, s[2:3]
	v_lshlrev_b32_e32 v5, 2, v5
	v_add_lshl_u32 v5, v5, v2, 2
	ds_bpermute_b32 v5, v5, v4
	v_cmp_gt_u32_e64 s[2:3], s19, v6
	s_waitcnt lgkmcnt(0)
	v_add_f32_e32 v5, v4, v5
	v_cndmask_b32_e64 v4, v4, v5, s[2:3]
	v_cmp_gt_u32_e64 s[2:3], 8, v3
	v_cndmask_b32_e64 v5, 0, 1, s[2:3]
	v_lshlrev_b32_e32 v5, 3, v5
	v_add_lshl_u32 v2, v5, v2, 2
	ds_bpermute_b32 v2, v2, v4
	v_add_u32_e32 v3, 8, v3
	v_cmp_gt_u32_e64 s[2:3], s19, v3
	s_waitcnt lgkmcnt(0)
	v_add_f32_e32 v2, v4, v2
	v_cndmask_b32_e64 v2, v4, v2, s[2:3]
	v_cndmask_b32_e32 v1, v1, v2, vcc
.LBB84_14:
	s_or_b64 exec, exec, s[22:23]
	v_cmp_eq_u32_e32 vcc, 0, v0
	s_and_saveexec_b64 s[2:3], vcc
	s_cbranch_execz .LBB84_16
; %bb.15:
	v_cvt_f32_i32_e32 v2, s17
	s_mov_b32 s19, 0x800000
	v_div_scale_f32 v3, s[22:23], v2, v2, v1
	v_rcp_f32_e32 v4, v3
	v_div_scale_f32 v5, vcc, v1, v2, v1
	v_fma_f32 v6, -v3, v4, 1.0
	v_fmac_f32_e32 v4, v6, v4
	v_mul_f32_e32 v6, v5, v4
	v_fma_f32 v7, -v3, v6, v5
	v_fmac_f32_e32 v6, v7, v4
	v_fma_f32 v3, -v3, v6, v5
	v_div_fmas_f32 v3, v3, v4, v6
	v_div_fixup_f32 v1, v3, v2, v1
	v_add_f32_e32 v1, s16, v1
	v_mul_f32_e32 v2, 0x4b800000, v1
	v_cmp_gt_f32_e32 vcc, s19, v1
	v_cndmask_b32_e32 v1, v1, v2, vcc
	v_rsq_f32_e32 v1, v1
	v_mul_f32_e32 v2, 0x45800000, v1
	v_cndmask_b32_e32 v1, v1, v2, vcc
	v_mov_b32_e32 v2, 0
	ds_write_b32 v2, v1 offset:4160
.LBB84_16:
	s_or_b64 exec, exec, s[2:3]
	s_ashr_i32 s21, s17, 31
	s_lshr_b32 s2, s21, 26
	s_add_i32 s16, s17, s2
	s_ashr_i32 s22, s16, 6
	s_cmp_lt_u32 s6, s43
	s_cselect_b32 s2, 12, 18
	s_add_u32 s2, s24, s2
	v_mov_b32_e32 v5, 0
	s_addc_u32 s3, s25, 0
	s_waitcnt lgkmcnt(0)
	s_barrier
	global_load_ushort v1, v5, s[2:3]
	ds_read_b32 v36, v5 offset:4160
	s_abs_i32 s2, s22
	v_cvt_f32_u32_e32 v2, s2
	s_ashr_i32 s3, s16, 31
	s_sub_i32 s16, 0, s2
	v_mov_b32_e32 v10, s18
	v_rcp_iflag_f32_e32 v2, v2
	v_mul_f32_e32 v2, 0x4f7ffffe, v2
	v_cvt_u32_f32_e32 v2, v2
	v_readfirstlane_b32 s19, v2
	s_mul_i32 s16, s16, s19
	s_mul_hi_u32 s16, s19, s16
	s_add_i32 s19, s19, s16
	s_waitcnt vmcnt(0)
	v_readfirstlane_b32 s16, v1
	s_mul_hi_u32 s19, s16, s19
	s_mul_i32 s23, s19, s2
	s_sub_i32 s23, s16, s23
	s_add_i32 s24, s19, 1
	s_sub_i32 s25, s23, s2
	s_cmp_ge_u32 s23, s2
	s_cselect_b32 s19, s24, s19
	s_cselect_b32 s23, s25, s23
	s_add_i32 s24, s19, 1
	s_cmp_ge_u32 s23, s2
	s_cselect_b32 s2, s24, s19
	s_xor_b32 s2, s2, s3
	s_sub_i32 s24, s2, s3
	s_abs_i32 s2, s24
	v_cvt_f32_u32_e32 v1, s2
	s_sub_i32 s3, 0, s2
	s_ashr_i32 s25, s24, 31
	s_ashr_i32 s19, s18, 31
	v_rcp_iflag_f32_e32 v1, v1
	v_mov_b32_e32 v11, s19
	v_mul_f32_e32 v1, 0x4f7ffffe, v1
	v_cvt_u32_f32_e32 v1, v1
	v_mul_lo_u32 v2, s3, v1
	v_mul_hi_u32 v2, v1, v2
	v_add_u32_e32 v1, v1, v2
	v_mul_hi_u32 v1, v0, v1
	v_mul_lo_u32 v2, v1, s2
	v_sub_u32_e32 v2, v0, v2
	v_add_u32_e32 v3, 1, v1
	v_cmp_le_u32_e32 vcc, s2, v2
	v_cndmask_b32_e32 v1, v1, v3, vcc
	v_subrev_u32_e32 v3, s2, v2
	v_cndmask_b32_e32 v2, v2, v3, vcc
	v_add_u32_e32 v3, 1, v1
	v_cmp_le_u32_e32 vcc, s2, v2
	v_cndmask_b32_e32 v1, v1, v3, vcc
	v_xor_b32_e32 v1, s25, v1
	v_subrev_u32_e32 v2, s25, v1
	v_mul_lo_u32 v1, v2, s24
	v_ashrrev_i32_e32 v3, 31, v2
	v_sub_u32_e32 v4, v0, v1
	v_lshlrev_b64 v[8:9], 4, v[2:3]
	v_add_co_u32_e32 v6, vcc, v8, v4
	v_addc_co_u32_e32 v7, vcc, 0, v9, vcc
	v_add_co_u32_e32 v8, vcc, 16, v8
	v_addc_co_u32_e32 v9, vcc, 0, v9, vcc
	v_cmp_gt_i64_e32 vcc, s[18:19], v[8:9]
	v_cndmask_b32_e32 v8, v10, v8, vcc
	v_cndmask_b32_e32 v9, v11, v9, vcc
	v_ashrrev_i32_e32 v11, 31, v8
	v_mov_b32_e32 v10, v8
	v_cmp_lt_i64_e32 vcc, v[6:7], v[10:11]
	s_and_saveexec_b64 s[26:27], vcc
	s_cbranch_execz .LBB84_26
; %bb.17:
	v_lshlrev_b64 v[28:29], 7, v[2:3]
	s_mul_i32 s23, s24, 24
	v_lshlrev_b64 v[12:13], 3, v[4:5]
	v_mov_b32_e32 v1, s29
	v_add_co_u32_e32 v5, vcc, s28, v28
	s_mul_hi_i32 s19, s24, 24
	s_add_u32 s2, s12, s23
	v_addc_co_u32_e32 v19, vcc, v1, v29, vcc
	s_addc_u32 s3, s13, s19
	v_mov_b32_e32 v1, s3
	v_add_co_u32_e32 v14, vcc, s2, v5
	s_lshl_b64 s[28:29], s[24:25], 5
	s_lshl_b64 s[2:3], s[24:25], 4
	s_add_u32 s30, s12, s2
	v_addc_co_u32_e32 v1, vcc, v1, v19, vcc
	s_addc_u32 s31, s13, s3
	v_mov_b32_e32 v15, s31
	v_add_co_u32_e32 v16, vcc, s30, v5
	s_lshl_b64 s[30:31], s[24:25], 3
	s_add_u32 s34, s12, s30
	v_addc_co_u32_e32 v15, vcc, v15, v19, vcc
	s_addc_u32 s35, s13, s31
	v_mov_b32_e32 v17, s35
	v_add_co_u32_e32 v18, vcc, s34, v5
	v_addc_co_u32_e32 v17, vcc, v17, v19, vcc
	v_mov_b32_e32 v21, s13
	v_add_co_u32_e32 v20, vcc, s12, v5
	s_add_u32 s12, s14, s23
	v_addc_co_u32_e32 v19, vcc, v21, v19, vcc
	s_addc_u32 s13, s15, s19
	v_mov_b32_e32 v5, s13
	v_add_co_u32_e32 v22, vcc, s12, v28
	s_add_u32 s2, s14, s2
	v_addc_co_u32_e32 v21, vcc, v5, v29, vcc
	s_addc_u32 s3, s15, s3
	v_mov_b32_e32 v5, s3
	v_add_co_u32_e32 v24, vcc, s2, v28
	s_add_u32 s2, s14, s30
	v_addc_co_u32_e32 v23, vcc, v5, v29, vcc
	s_addc_u32 s3, s15, s31
	v_mov_b32_e32 v5, s3
	v_add_co_u32_e32 v26, vcc, s2, v28
	v_addc_co_u32_e32 v25, vcc, v5, v29, vcc
	v_mov_b32_e32 v5, s15
	v_add_co_u32_e32 v28, vcc, s14, v28
	v_addc_co_u32_e32 v27, vcc, v5, v29, vcc
	s_mul_hi_i32 s19, s24, 3
	s_mul_i32 s23, s24, 3
	s_lshl_b64 s[30:31], s[24:25], 1
	s_mov_b64 s[12:13], 0
	v_mov_b32_e32 v5, 0
	s_movk_i32 s44, 0x7fff
	v_mov_b32_e32 v29, 0x7fc00000
	v_mov_b32_e32 v34, s25
	v_pk_mov_b32 v[30:31], v[6:7], v[6:7] op_sel:[0,1]
                                        ; implicit-def: $sgpr34_sgpr35
	s_branch .LBB84_21
.LBB84_18:                              ;   in Loop: Header=BB84_21 Depth=1
	s_or_b64 exec, exec, s[2:3]
	s_orn2_b64 s[2:3], s[40:41], exec
.LBB84_19:                              ;   in Loop: Header=BB84_21 Depth=1
	s_or_b64 exec, exec, s[38:39]
	s_andn2_b64 s[34:35], s[34:35], exec
	s_and_b64 s[2:3], s[2:3], exec
	s_or_b64 s[34:35], s[34:35], s[2:3]
.LBB84_20:                              ;   in Loop: Header=BB84_21 Depth=1
	s_or_b64 exec, exec, s[36:37]
	s_and_b64 s[2:3], exec, s[34:35]
	s_or_b64 s[12:13], s[2:3], s[12:13]
	s_andn2_b64 exec, exec, s[12:13]
	s_cbranch_execz .LBB84_25
.LBB84_21:                              ; =>This Inner Loop Header: Depth=1
	v_add_co_u32_e32 v32, vcc, v20, v12
	v_addc_co_u32_e32 v33, vcc, v19, v13, vcc
	global_load_dwordx2 v[38:39], v[32:33], off
	v_add_co_u32_e32 v32, vcc, v28, v12
	v_addc_co_u32_e32 v33, vcc, v27, v13, vcc
	global_load_dwordx2 v[40:41], v[32:33], off
	v_add_co_u32_e32 v32, vcc, s24, v30
	v_addc_co_u32_e32 v33, vcc, v31, v34, vcc
	v_cmp_lt_i64_e32 vcc, v[32:33], v[10:11]
	s_or_b64 s[34:35], s[34:35], exec
	s_waitcnt vmcnt(1)
	v_lshlrev_b32_e32 v42, 16, v38
	v_and_b32_e32 v35, 0xffff0000, v38
	s_waitcnt lgkmcnt(0)
	v_mul_f32_e32 v42, v36, v42
	v_alignbit_b32 v38, v39, v38, 16
	v_and_b32_e32 v39, 0xffff0000, v39
	v_mul_f32_e32 v35, v36, v35
	v_bfe_u32 v44, v42, 16, 1
	v_mul_f32_e32 v39, v36, v39
	v_bfe_u32 v45, v35, 16, 1
	v_add3_u32 v44, v42, v44, s44
	v_and_b32_e32 v38, 0xffff0000, v38
	v_bfe_u32 v46, v39, 16, 1
	v_add3_u32 v45, v35, v45, s44
	v_and_b32_e32 v44, 0xffff0000, v44
	v_cmp_o_f32_e64 s[2:3], v42, v42
	v_mul_f32_e32 v38, v36, v38
	v_add3_u32 v46, v39, v46, s44
	v_and_b32_e32 v45, 0xffff0000, v45
	v_cndmask_b32_e64 v42, v29, v44, s[2:3]
	v_cmp_o_f32_e64 s[2:3], v35, v35
	s_waitcnt vmcnt(0)
	v_lshlrev_b32_e32 v43, 16, v40
	v_bfe_u32 v47, v38, 16, 1
	v_and_b32_e32 v46, 0xffff0000, v46
	v_cndmask_b32_e64 v35, v29, v45, s[2:3]
	v_cmp_o_f32_e64 s[2:3], v39, v39
	v_and_b32_e32 v37, 0xffff0000, v40
	v_alignbit_b32 v40, v41, v40, 16
	v_and_b32_e32 v41, 0xffff0000, v41
	v_add3_u32 v47, v38, v47, s44
	v_cndmask_b32_e64 v39, v29, v46, s[2:3]
	v_mul_f32_e32 v42, v42, v43
	v_and_b32_e32 v44, 0xffff0000, v47
	v_mul_f32_e32 v35, v35, v37
	v_cmp_o_f32_e64 s[2:3], v38, v38
	v_mul_f32_e32 v38, v39, v41
	v_bfe_u32 v39, v42, 16, 1
	v_and_b32_e32 v40, 0xffff0000, v40
	v_cndmask_b32_e64 v37, v29, v44, s[2:3]
	v_bfe_u32 v41, v35, 16, 1
	v_add3_u32 v39, v42, v39, s44
	v_mul_f32_e32 v37, v37, v40
	v_bfe_u32 v40, v38, 16, 1
	v_add3_u32 v41, v35, v41, s44
	v_and_b32_e32 v39, 0xffff0000, v39
	v_cmp_o_f32_e64 s[2:3], v42, v42
	v_bfe_u32 v43, v37, 16, 1
	v_add3_u32 v40, v38, v40, s44
	v_and_b32_e32 v41, 0xffff0000, v41
	v_cndmask_b32_e64 v39, v29, |v39|, s[2:3]
	v_cmp_o_f32_e64 s[2:3], v35, v35
	v_add3_u32 v43, v37, v43, s44
	v_and_b32_e32 v40, 0xffff0000, v40
	v_cndmask_b32_e64 v35, v29, |v41|, s[2:3]
	v_cmp_o_f32_e64 s[2:3], v38, v38
	v_and_b32_e32 v41, 0xffff0000, v43
	v_cndmask_b32_e64 v38, v29, |v40|, s[2:3]
	v_cmp_o_f32_e64 s[2:3], v37, v37
	v_max3_f32 v5, v5, v39, v35
	v_cndmask_b32_e64 v35, v29, |v41|, s[2:3]
	v_max3_f32 v5, v5, v35, v38
	s_and_saveexec_b64 s[36:37], vcc
	s_cbranch_execz .LBB84_20
; %bb.22:                               ;   in Loop: Header=BB84_21 Depth=1
	v_add_co_u32_e32 v38, vcc, v18, v12
	v_addc_co_u32_e32 v39, vcc, v17, v13, vcc
	global_load_dwordx2 v[38:39], v[38:39], off
	v_add_co_u32_e32 v40, vcc, v26, v12
	v_addc_co_u32_e32 v41, vcc, v25, v13, vcc
	global_load_dwordx2 v[40:41], v[40:41], off
	v_mov_b32_e32 v35, s31
	v_add_co_u32_e32 v42, vcc, s30, v30
	v_addc_co_u32_e32 v43, vcc, v35, v31, vcc
	v_cmp_lt_i64_e32 vcc, v[42:43], v[10:11]
	s_waitcnt vmcnt(1)
	v_lshlrev_b32_e32 v42, 16, v38
	v_and_b32_e32 v35, 0xffff0000, v38
	v_mul_f32_e32 v42, v36, v42
	v_alignbit_b32 v38, v39, v38, 16
	v_and_b32_e32 v39, 0xffff0000, v39
	v_mul_f32_e32 v35, v36, v35
	v_bfe_u32 v44, v42, 16, 1
	v_mul_f32_e32 v39, v36, v39
	v_bfe_u32 v45, v35, 16, 1
	v_add3_u32 v44, v42, v44, s44
	v_and_b32_e32 v38, 0xffff0000, v38
	v_bfe_u32 v46, v39, 16, 1
	v_add3_u32 v45, v35, v45, s44
	v_and_b32_e32 v44, 0xffff0000, v44
	v_cmp_o_f32_e64 s[2:3], v42, v42
	v_mul_f32_e32 v38, v36, v38
	v_add3_u32 v46, v39, v46, s44
	v_and_b32_e32 v45, 0xffff0000, v45
	v_cndmask_b32_e64 v42, v29, v44, s[2:3]
	v_cmp_o_f32_e64 s[2:3], v35, v35
	s_waitcnt vmcnt(0)
	v_lshlrev_b32_e32 v43, 16, v40
	v_bfe_u32 v47, v38, 16, 1
	v_and_b32_e32 v46, 0xffff0000, v46
	v_cndmask_b32_e64 v35, v29, v45, s[2:3]
	v_cmp_o_f32_e64 s[2:3], v39, v39
	v_and_b32_e32 v37, 0xffff0000, v40
	v_alignbit_b32 v40, v41, v40, 16
	v_and_b32_e32 v41, 0xffff0000, v41
	v_add3_u32 v47, v38, v47, s44
	v_cndmask_b32_e64 v39, v29, v46, s[2:3]
	v_mul_f32_e32 v42, v42, v43
	v_and_b32_e32 v44, 0xffff0000, v47
	v_mul_f32_e32 v35, v35, v37
	v_cmp_o_f32_e64 s[2:3], v38, v38
	v_mul_f32_e32 v38, v39, v41
	v_bfe_u32 v39, v42, 16, 1
	v_and_b32_e32 v40, 0xffff0000, v40
	v_cndmask_b32_e64 v37, v29, v44, s[2:3]
	v_bfe_u32 v41, v35, 16, 1
	v_add3_u32 v39, v42, v39, s44
	v_mul_f32_e32 v37, v37, v40
	v_bfe_u32 v40, v38, 16, 1
	v_add3_u32 v41, v35, v41, s44
	v_and_b32_e32 v39, 0xffff0000, v39
	v_cmp_o_f32_e64 s[2:3], v42, v42
	v_bfe_u32 v43, v37, 16, 1
	v_add3_u32 v40, v38, v40, s44
	v_and_b32_e32 v41, 0xffff0000, v41
	v_cndmask_b32_e64 v39, v29, |v39|, s[2:3]
	v_cmp_o_f32_e64 s[2:3], v35, v35
	v_add3_u32 v43, v37, v43, s44
	v_and_b32_e32 v40, 0xffff0000, v40
	v_cndmask_b32_e64 v35, v29, |v41|, s[2:3]
	v_cmp_o_f32_e64 s[2:3], v38, v38
	v_and_b32_e32 v41, 0xffff0000, v43
	v_cndmask_b32_e64 v38, v29, |v40|, s[2:3]
	v_cmp_o_f32_e64 s[2:3], v37, v37
	v_max3_f32 v5, v5, v39, v35
	v_cndmask_b32_e64 v35, v29, |v41|, s[2:3]
	v_max3_f32 v5, v5, v35, v38
	s_mov_b64 s[2:3], -1
	s_and_saveexec_b64 s[38:39], vcc
	s_cbranch_execz .LBB84_19
; %bb.23:                               ;   in Loop: Header=BB84_21 Depth=1
	v_add_co_u32_e32 v38, vcc, v16, v12
	v_addc_co_u32_e32 v39, vcc, v15, v13, vcc
	global_load_dwordx2 v[38:39], v[38:39], off
	v_add_co_u32_e32 v40, vcc, v24, v12
	v_addc_co_u32_e32 v41, vcc, v23, v13, vcc
	global_load_dwordx2 v[40:41], v[40:41], off
	v_mov_b32_e32 v35, s19
	v_add_co_u32_e32 v30, vcc, s23, v30
	v_addc_co_u32_e32 v31, vcc, v35, v31, vcc
	v_cmp_lt_i64_e32 vcc, v[30:31], v[10:11]
	s_mov_b64 s[40:41], -1
	s_waitcnt vmcnt(1)
	v_lshlrev_b32_e32 v35, 16, v38
	v_and_b32_e32 v30, 0xffff0000, v38
	v_mul_f32_e32 v35, v36, v35
	v_alignbit_b32 v37, v39, v38, 16
	v_and_b32_e32 v38, 0xffff0000, v39
	v_mul_f32_e32 v30, v36, v30
	v_bfe_u32 v42, v35, 16, 1
	v_mul_f32_e32 v38, v36, v38
	v_bfe_u32 v43, v30, 16, 1
	v_add3_u32 v42, v35, v42, s44
	v_and_b32_e32 v37, 0xffff0000, v37
	v_bfe_u32 v44, v38, 16, 1
	v_add3_u32 v43, v30, v43, s44
	v_and_b32_e32 v42, 0xffff0000, v42
	v_cmp_o_f32_e64 s[2:3], v35, v35
	v_mul_f32_e32 v37, v36, v37
	v_add3_u32 v44, v38, v44, s44
	v_and_b32_e32 v43, 0xffff0000, v43
	v_cndmask_b32_e64 v35, v29, v42, s[2:3]
	v_cmp_o_f32_e64 s[2:3], v30, v30
	s_waitcnt vmcnt(0)
	v_lshlrev_b32_e32 v39, 16, v40
	v_bfe_u32 v45, v37, 16, 1
	v_and_b32_e32 v44, 0xffff0000, v44
	v_cndmask_b32_e64 v30, v29, v43, s[2:3]
	v_cmp_o_f32_e64 s[2:3], v38, v38
	v_and_b32_e32 v31, 0xffff0000, v40
	v_alignbit_b32 v40, v41, v40, 16
	v_and_b32_e32 v41, 0xffff0000, v41
	v_add3_u32 v45, v37, v45, s44
	v_cndmask_b32_e64 v38, v29, v44, s[2:3]
	v_mul_f32_e32 v35, v35, v39
	v_and_b32_e32 v42, 0xffff0000, v45
	v_mul_f32_e32 v30, v30, v31
	v_cmp_o_f32_e64 s[2:3], v37, v37
	v_mul_f32_e32 v37, v38, v41
	v_bfe_u32 v38, v35, 16, 1
	v_and_b32_e32 v40, 0xffff0000, v40
	v_cndmask_b32_e64 v31, v29, v42, s[2:3]
	v_bfe_u32 v39, v30, 16, 1
	v_add3_u32 v38, v35, v38, s44
	v_mul_f32_e32 v31, v31, v40
	v_bfe_u32 v40, v37, 16, 1
	v_add3_u32 v39, v30, v39, s44
	v_and_b32_e32 v38, 0xffff0000, v38
	v_cmp_o_f32_e64 s[2:3], v35, v35
	v_bfe_u32 v41, v31, 16, 1
	v_add3_u32 v40, v37, v40, s44
	v_and_b32_e32 v39, 0xffff0000, v39
	v_cndmask_b32_e64 v35, v29, |v38|, s[2:3]
	v_cmp_o_f32_e64 s[2:3], v30, v30
	v_add3_u32 v41, v31, v41, s44
	v_and_b32_e32 v40, 0xffff0000, v40
	v_cndmask_b32_e64 v30, v29, |v39|, s[2:3]
	v_cmp_o_f32_e64 s[2:3], v37, v37
	v_and_b32_e32 v38, 0xffff0000, v41
	v_cndmask_b32_e64 v37, v29, |v40|, s[2:3]
	v_cmp_o_f32_e64 s[2:3], v31, v31
	v_max3_f32 v5, v5, v35, v30
	v_cndmask_b32_e64 v30, v29, |v38|, s[2:3]
	v_max3_f32 v5, v5, v30, v37
                                        ; implicit-def: $vgpr30_vgpr31
	s_and_saveexec_b64 s[2:3], vcc
	s_xor_b64 s[2:3], exec, s[2:3]
	s_cbranch_execz .LBB84_18
; %bb.24:                               ;   in Loop: Header=BB84_21 Depth=1
	v_add_co_u32_e32 v30, vcc, v14, v12
	v_addc_co_u32_e32 v31, vcc, v1, v13, vcc
	global_load_dwordx2 v[38:39], v[30:31], off
	v_add_co_u32_e32 v30, vcc, v22, v12
	v_addc_co_u32_e32 v31, vcc, v21, v13, vcc
	global_load_dwordx2 v[40:41], v[30:31], off
	v_mov_b32_e32 v35, s29
	v_add_co_u32_e32 v14, vcc, s28, v14
	v_addc_co_u32_e32 v1, vcc, v1, v35, vcc
	v_add_co_u32_e32 v16, vcc, s28, v16
	s_add_u32 s40, s24, s24
	v_addc_co_u32_e32 v15, vcc, v15, v35, vcc
	s_addc_u32 s41, s25, s25
	v_add_co_u32_e32 v18, vcc, s28, v18
	v_addc_co_u32_e32 v17, vcc, v17, v35, vcc
	s_add_u32 s40, s40, s24
	s_addc_u32 s41, s41, s25
	v_add_co_u32_e32 v30, vcc, s40, v32
	v_mov_b32_e32 v31, s41
	v_addc_co_u32_e32 v31, vcc, v31, v33, vcc
	s_waitcnt vmcnt(1)
	v_lshlrev_b32_e32 v37, 16, v38
	v_and_b32_e32 v32, 0xffff0000, v38
	v_mul_f32_e32 v37, v36, v37
	v_alignbit_b32 v38, v39, v38, 16
	v_and_b32_e32 v39, 0xffff0000, v39
	v_mul_f32_e32 v32, v36, v32
	v_bfe_u32 v43, v37, 16, 1
	v_mul_f32_e32 v39, v36, v39
	v_bfe_u32 v44, v32, 16, 1
	v_add3_u32 v43, v37, v43, s44
	v_and_b32_e32 v38, 0xffff0000, v38
	v_bfe_u32 v45, v39, 16, 1
	v_add3_u32 v44, v32, v44, s44
	v_and_b32_e32 v43, 0xffff0000, v43
	v_cmp_o_f32_e32 vcc, v37, v37
	v_mul_f32_e32 v38, v36, v38
	v_add3_u32 v45, v39, v45, s44
	v_and_b32_e32 v44, 0xffff0000, v44
	v_cndmask_b32_e32 v37, v29, v43, vcc
	v_cmp_o_f32_e32 vcc, v32, v32
	s_waitcnt vmcnt(0)
	v_lshlrev_b32_e32 v42, 16, v40
	v_bfe_u32 v46, v38, 16, 1
	v_and_b32_e32 v45, 0xffff0000, v45
	v_cndmask_b32_e32 v32, v29, v44, vcc
	v_cmp_o_f32_e32 vcc, v39, v39
	v_and_b32_e32 v33, 0xffff0000, v40
	v_alignbit_b32 v40, v41, v40, 16
	v_and_b32_e32 v41, 0xffff0000, v41
	v_add3_u32 v46, v38, v46, s44
	v_cndmask_b32_e32 v39, v29, v45, vcc
	v_mul_f32_e32 v37, v37, v42
	v_and_b32_e32 v43, 0xffff0000, v46
	v_mul_f32_e32 v32, v32, v33
	v_cmp_o_f32_e32 vcc, v38, v38
	v_mul_f32_e32 v38, v39, v41
	v_bfe_u32 v39, v37, 16, 1
	v_and_b32_e32 v40, 0xffff0000, v40
	v_cndmask_b32_e32 v33, v29, v43, vcc
	v_bfe_u32 v41, v32, 16, 1
	v_add3_u32 v39, v37, v39, s44
	v_mul_f32_e32 v33, v33, v40
	v_bfe_u32 v40, v38, 16, 1
	v_add3_u32 v41, v32, v41, s44
	v_and_b32_e32 v39, 0xffff0000, v39
	v_cmp_o_f32_e32 vcc, v37, v37
	v_bfe_u32 v42, v33, 16, 1
	v_add3_u32 v40, v38, v40, s44
	v_and_b32_e32 v41, 0xffff0000, v41
	v_cndmask_b32_e64 v37, v29, |v39|, vcc
	v_cmp_o_f32_e32 vcc, v32, v32
	v_add3_u32 v42, v33, v42, s44
	v_and_b32_e32 v40, 0xffff0000, v40
	v_cndmask_b32_e64 v32, v29, |v41|, vcc
	v_cmp_o_f32_e32 vcc, v38, v38
	v_and_b32_e32 v39, 0xffff0000, v42
	v_cndmask_b32_e64 v38, v29, |v40|, vcc
	v_cmp_o_f32_e32 vcc, v33, v33
	v_max3_f32 v5, v5, v37, v32
	v_cndmask_b32_e64 v32, v29, |v39|, vcc
	v_add_co_u32_e32 v20, vcc, s28, v20
	v_addc_co_u32_e32 v19, vcc, v19, v35, vcc
	v_add_co_u32_e32 v22, vcc, s28, v22
	v_addc_co_u32_e32 v21, vcc, v21, v35, vcc
	v_add_co_u32_e32 v24, vcc, s28, v24
	v_addc_co_u32_e32 v23, vcc, v23, v35, vcc
	v_add_co_u32_e32 v26, vcc, s28, v26
	v_addc_co_u32_e32 v25, vcc, v25, v35, vcc
	v_add_co_u32_e32 v28, vcc, s28, v28
	v_addc_co_u32_e32 v27, vcc, v27, v35, vcc
	v_cmp_ge_i64_e32 vcc, v[30:31], v[10:11]
	v_max3_f32 v5, v5, v32, v38
	s_orn2_b64 s[40:41], vcc, exec
	s_branch .LBB84_18
.LBB84_25:
	s_or_b64 exec, exec, s[12:13]
.LBB84_26:
	s_or_b64 exec, exec, s[26:27]
	s_lshr_b32 s19, s16, 6
	v_cvt_f32_u32_e32 v10, s19
	v_lshlrev_b32_e32 v1, 2, v0
	ds_write_b32 v1, v5
	s_sub_i32 s12, 0, s19
	v_rcp_iflag_f32_e32 v5, v10
	s_add_i32 s2, s22, s19
	s_add_i32 s2, s2, -1
	s_ashr_i32 s3, s2, 31
	v_mul_f32_e32 v5, 0x4f7ffffe, v5
	v_cvt_u32_f32_e32 v5, v5
	s_abs_i32 s2, s2
	s_waitcnt lgkmcnt(0)
	s_barrier
	v_readfirstlane_b32 s13, v5
	s_mul_i32 s12, s12, s13
	s_mul_hi_u32 s12, s13, s12
	s_add_i32 s13, s13, s12
	s_mul_hi_u32 s12, s2, s13
	s_mul_i32 s13, s12, s19
	s_sub_i32 s2, s2, s13
	s_add_i32 s13, s12, 1
	s_sub_i32 s23, s2, s19
	s_cmp_ge_u32 s2, s19
	s_cselect_b32 s12, s13, s12
	s_cselect_b32 s2, s23, s2
	s_add_i32 s13, s12, 1
	s_cmp_ge_u32 s2, s19
	s_cselect_b32 s2, s13, s12
	s_xor_b32 s2, s2, s3
	s_sub_i32 s2, s2, s3
	s_ashr_i32 s3, s2, 31
	v_cmp_lt_i64_e64 s[12:13], s[2:3], 1
	s_and_b64 vcc, exec, s[12:13]
	s_cbranch_vccnz .LBB84_48
; %bb.27:
	v_and_b32_e32 v12, 63, v0
	v_add_co_u32_e32 v14, vcc, 32, v12
	v_addc_co_u32_e64 v15, s[12:13], 0, 0, vcc
	v_add_co_u32_e32 v16, vcc, 16, v12
	v_addc_co_u32_e64 v17, s[12:13], 0, 0, vcc
	;; [unrolled: 2-line block ×4, first 2 shown]
	v_add_co_u32_e32 v22, vcc, 2, v12
	v_lshrrev_b32_e32 v10, 6, v0
	v_addc_co_u32_e64 v23, s[12:13], 0, 0, vcc
	v_add_co_u32_e32 v24, vcc, 1, v12
	v_addc_co_u32_e64 v25, s[12:13], 0, 0, vcc
	v_mul_lo_u32 v5, s24, v10
	v_lshlrev_b32_e32 v5, 2, v5
	v_lshlrev_b32_e32 v26, 2, v12
	s_movk_i32 s12, 0x100
	v_mov_b32_e32 v11, 0
	v_add3_u32 v5, v5, v26, s12
	s_mul_i32 s12, s24, s19
	s_ashr_i32 s23, s22, 31
	v_mov_b32_e32 v13, v11
	s_lshl_b32 s36, s12, 2
	s_mov_b64 s[12:13], 0
	v_mov_b32_e32 v37, s19
	s_mov_b64 s[26:27], src_shared_base
	s_branch .LBB84_30
.LBB84_28:                              ;   in Loop: Header=BB84_30 Depth=1
	s_or_b64 exec, exec, s[30:31]
	v_mov_b32_e32 v27, s27
	flat_load_dword v26, v[26:27] glc
	s_waitcnt vmcnt(0)
.LBB84_29:                              ;   in Loop: Header=BB84_30 Depth=1
	s_or_b64 exec, exec, s[28:29]
	s_add_u32 s12, s12, 1
	s_addc_u32 s13, s13, 0
	s_cmp_eq_u64 s[12:13], s[2:3]
	v_add_u32_e32 v5, s36, v5
	s_cbranch_scc1 .LBB84_48
.LBB84_30:                              ; =>This Loop Header: Depth=1
                                        ;     Child Loop BB84_33 Depth 2
	v_mad_u64_u32 v[30:31], s[28:29], s12, v37, v[10:11]
	s_mul_i32 s26, s13, s19
	v_add_u32_e32 v31, s26, v31
	v_cmp_gt_i64_e32 vcc, s[22:23], v[30:31]
	s_and_saveexec_b64 s[28:29], vcc
	s_cbranch_execz .LBB84_29
; %bb.31:                               ;   in Loop: Header=BB84_30 Depth=1
	v_pk_mov_b32 v[32:33], s[24:25], s[24:25] op_sel:[0,1]
	v_mul_lo_u32 v29, v31, s24
	v_mul_lo_u32 v38, v30, s25
	v_mad_u64_u32 v[32:33], s[30:31], v30, s24, v[32:33]
	v_add3_u32 v33, v29, v33, v38
	v_mov_b32_e32 v28, s21
	v_cmp_gt_i64_e32 vcc, s[20:21], v[32:33]
	s_waitcnt lgkmcnt(0)
	v_mad_u64_u32 v[26:27], s[30:31], v30, s24, v[12:13]
	v_cndmask_b32_e32 v33, v28, v33, vcc
	v_mov_b32_e32 v28, s17
	v_add3_u32 v27, v29, v27, v38
	v_cndmask_b32_e32 v32, v28, v32, vcc
	v_add_co_u32_e32 v34, vcc, 64, v26
	v_addc_co_u32_e32 v35, vcc, 0, v27, vcc
	v_cmp_lt_i64_e32 vcc, v[34:35], v[32:33]
	v_lshlrev_b32_e32 v28, 2, v26
	s_and_saveexec_b64 s[30:31], vcc
	s_cbranch_execz .LBB84_34
; %bb.32:                               ;   in Loop: Header=BB84_30 Depth=1
	ds_read_b32 v31, v28
	s_mov_b64 s[34:35], 0
	v_mov_b32_e32 v27, v5
.LBB84_33:                              ;   Parent Loop BB84_30 Depth=1
                                        ; =>  This Inner Loop Header: Depth=2
	ds_read_b32 v39, v27
	v_add_co_u32_e32 v34, vcc, 64, v34
	v_addc_co_u32_e32 v35, vcc, 0, v35, vcc
	s_waitcnt lgkmcnt(1)
	v_max_f32_e32 v31, v31, v31
	v_cmp_ge_i64_e32 vcc, v[34:35], v[32:33]
	s_waitcnt lgkmcnt(0)
	v_max_f32_e32 v39, v39, v39
	v_add_u32_e32 v27, 0x100, v27
	s_or_b64 s[34:35], vcc, s[34:35]
	v_max_f32_e32 v31, v31, v39
	ds_write_b32 v28, v31
	s_andn2_b64 exec, exec, s[34:35]
	s_cbranch_execnz .LBB84_33
.LBB84_34:                              ;   in Loop: Header=BB84_30 Depth=1
	s_or_b64 exec, exec, s[30:31]
	v_mad_u64_u32 v[30:31], s[30:31], v30, s24, 0
	v_add3_u32 v27, v31, v38, v29
	v_sub_co_u32_e32 v30, vcc, v32, v30
	v_subb_co_u32_e32 v31, vcc, v33, v27, vcc
	v_cmp_gt_i64_e32 vcc, 64, v[30:31]
	v_cndmask_b32_e32 v31, 0, v31, vcc
	v_cndmask_b32_e32 v30, 64, v30, vcc
	v_cmp_lt_i64_e32 vcc, v[14:15], v[30:31]
	s_and_saveexec_b64 s[30:31], vcc
	s_cbranch_execnz .LBB84_46
; %bb.35:                               ;   in Loop: Header=BB84_30 Depth=1
	s_or_b64 exec, exec, s[30:31]
	v_cmp_lt_i64_e32 vcc, v[16:17], v[30:31]
	s_and_saveexec_b64 s[30:31], vcc
	s_cbranch_execnz .LBB84_47
.LBB84_36:                              ;   in Loop: Header=BB84_30 Depth=1
	s_or_b64 exec, exec, s[30:31]
	v_cmp_lt_i64_e32 vcc, v[18:19], v[30:31]
	s_and_saveexec_b64 s[30:31], vcc
	s_cbranch_execz .LBB84_38
.LBB84_37:                              ;   in Loop: Header=BB84_30 Depth=1
	v_mov_b32_e32 v29, s27
	v_add_u32_e32 v32, 32, v28
	v_mov_b32_e32 v33, s27
	flat_load_dword v27, v[28:29] glc
	s_waitcnt vmcnt(0)
	flat_load_dword v34, v[32:33] glc
	s_waitcnt vmcnt(0) lgkmcnt(0)
	v_max_f32_e32 v27, v27, v27
	v_max_f32_e32 v32, v34, v34
	v_max_f32_e32 v27, v27, v32
	flat_store_dword v[28:29], v27
	s_waitcnt vmcnt(0)
.LBB84_38:                              ;   in Loop: Header=BB84_30 Depth=1
	s_or_b64 exec, exec, s[30:31]
	v_cmp_ge_i64_e32 vcc, v[20:21], v[30:31]
	s_and_saveexec_b64 s[30:31], vcc
	s_xor_b64 s[30:31], exec, s[30:31]
; %bb.39:                               ;   in Loop: Header=BB84_30 Depth=1
                                        ; implicit-def: $vgpr28
; %bb.40:                               ;   in Loop: Header=BB84_30 Depth=1
	s_andn2_saveexec_b64 s[30:31], s[30:31]
	s_cbranch_execz .LBB84_42
; %bb.41:                               ;   in Loop: Header=BB84_30 Depth=1
	v_mov_b32_e32 v29, s27
	v_add_u32_e32 v32, 16, v28
	v_mov_b32_e32 v33, s27
	flat_load_dword v27, v[28:29] glc
	s_waitcnt vmcnt(0)
	flat_load_dword v34, v[32:33] glc
	s_waitcnt vmcnt(0) lgkmcnt(0)
	v_max_f32_e32 v27, v27, v27
	v_max_f32_e32 v32, v34, v34
	;; [unrolled: 1-line block ×3, first 2 shown]
	flat_store_dword v[28:29], v27
	s_waitcnt vmcnt(0)
.LBB84_42:                              ;   in Loop: Header=BB84_30 Depth=1
	s_or_b64 exec, exec, s[30:31]
	v_cmp_lt_i64_e32 vcc, v[22:23], v[30:31]
	v_lshlrev_b32_e32 v26, 2, v26
	s_and_saveexec_b64 s[30:31], vcc
	s_cbranch_execz .LBB84_44
; %bb.43:                               ;   in Loop: Header=BB84_30 Depth=1
	v_mov_b32_e32 v27, s27
	v_add_u32_e32 v28, 8, v26
	v_mov_b32_e32 v29, s27
	flat_load_dword v32, v[26:27] glc
	s_waitcnt vmcnt(0)
	flat_load_dword v33, v[28:29] glc
	s_waitcnt vmcnt(0) lgkmcnt(0)
	v_max_f32_e32 v28, v32, v32
	v_max_f32_e32 v29, v33, v33
	v_max_f32_e32 v28, v28, v29
	flat_store_dword v[26:27], v28
	s_waitcnt vmcnt(0)
.LBB84_44:                              ;   in Loop: Header=BB84_30 Depth=1
	s_or_b64 exec, exec, s[30:31]
	v_cmp_lt_i64_e32 vcc, v[24:25], v[30:31]
	s_and_saveexec_b64 s[30:31], vcc
	s_cbranch_execz .LBB84_28
; %bb.45:                               ;   in Loop: Header=BB84_30 Depth=1
	v_mov_b32_e32 v27, s27
	v_add_u32_e32 v28, 4, v26
	v_mov_b32_e32 v29, s27
	flat_load_dword v30, v[26:27] glc
	s_waitcnt vmcnt(0)
	flat_load_dword v31, v[28:29] glc
	s_waitcnt vmcnt(0) lgkmcnt(0)
	v_max_f32_e32 v28, v30, v30
	v_max_f32_e32 v29, v31, v31
	;; [unrolled: 1-line block ×3, first 2 shown]
	flat_store_dword v[26:27], v28
	s_waitcnt vmcnt(0)
	s_branch .LBB84_28
.LBB84_46:                              ;   in Loop: Header=BB84_30 Depth=1
	v_mov_b32_e32 v29, s27
	v_add_u32_e32 v32, 0x80, v28
	v_mov_b32_e32 v33, s27
	flat_load_dword v27, v[28:29] glc
	s_waitcnt vmcnt(0)
	flat_load_dword v34, v[32:33] glc
	s_waitcnt vmcnt(0) lgkmcnt(0)
	v_max_f32_e32 v27, v27, v27
	v_max_f32_e32 v32, v34, v34
	;; [unrolled: 1-line block ×3, first 2 shown]
	flat_store_dword v[28:29], v27
	s_waitcnt vmcnt(0)
	s_or_b64 exec, exec, s[30:31]
	v_cmp_lt_i64_e32 vcc, v[16:17], v[30:31]
	s_and_saveexec_b64 s[30:31], vcc
	s_cbranch_execz .LBB84_36
.LBB84_47:                              ;   in Loop: Header=BB84_30 Depth=1
	v_mov_b32_e32 v29, s27
	v_add_u32_e32 v32, 64, v28
	v_mov_b32_e32 v33, s27
	flat_load_dword v27, v[28:29] glc
	s_waitcnt vmcnt(0)
	flat_load_dword v34, v[32:33] glc
	s_waitcnt vmcnt(0) lgkmcnt(0)
	v_max_f32_e32 v27, v27, v27
	v_max_f32_e32 v32, v34, v34
	;; [unrolled: 1-line block ×3, first 2 shown]
	flat_store_dword v[28:29], v27
	s_waitcnt vmcnt(0)
	s_or_b64 exec, exec, s[30:31]
	v_cmp_lt_i64_e32 vcc, v[18:19], v[30:31]
	s_and_saveexec_b64 s[30:31], vcc
	s_cbranch_execnz .LBB84_37
	s_branch .LBB84_38
.LBB84_48:
	s_load_dwordx2 s[12:13], s[4:5], 0x40
	v_cmp_eq_u32_e32 vcc, 0, v4
	v_cmp_lt_i64_e64 s[2:3], v[6:7], v[8:9]
	s_and_b64 s[2:3], vcc, s[2:3]
	s_waitcnt lgkmcnt(0)
	s_barrier
	s_and_saveexec_b64 s[22:23], s[2:3]
	s_cbranch_execz .LBB84_55
; %bb.49:
	s_load_dwordx2 s[2:3], s[4:5], 0x20
	ds_read_b32 v1, v1
	s_waitcnt lgkmcnt(0)
	s_cmp_eq_u64 s[2:3], 0
	s_cbranch_scc1 .LBB84_51
; %bb.50:
	s_load_dword s2, s[2:3], 0x0
	v_max_f32_e32 v1, v1, v1
	s_waitcnt lgkmcnt(0)
	v_max_f32_e64 v4, s2, s2
	v_min_f32_e32 v1, v1, v4
.LBB84_51:
	s_add_u32 s3, s12, s43
	s_addc_u32 s4, s13, 0
	s_add_u32 s24, s3, -1
	s_addc_u32 s25, s4, -1
	s_or_b64 s[4:5], s[24:25], s[12:13]
	s_mov_b32 s2, 0
	s_mov_b32 s3, s5
	s_cmp_lg_u64 s[2:3], 0
	s_mov_b64 s[26:27], -1
	s_cbranch_scc0 .LBB84_164
; %bb.52:
	s_ashr_i32 s2, s13, 31
	s_add_u32 s4, s12, s2
	s_mov_b32 s3, s2
	s_addc_u32 s5, s13, s2
	s_xor_b64 s[28:29], s[4:5], s[2:3]
	v_cvt_f32_u32_e32 v4, s28
	v_cvt_f32_u32_e32 v5, s29
	s_sub_u32 s2, 0, s28
	s_subb_u32 s3, 0, s29
	v_madmk_f32 v4, v5, 0x4f800000, v4
	v_rcp_f32_e32 v4, v4
	v_mul_f32_e32 v4, 0x5f7ffffc, v4
	v_mul_f32_e32 v5, 0x2f800000, v4
	v_trunc_f32_e32 v5, v5
	v_madmk_f32 v4, v5, 0xcf800000, v4
	v_cvt_u32_f32_e32 v5, v5
	v_cvt_u32_f32_e32 v4, v4
	v_readfirstlane_b32 s4, v5
	v_readfirstlane_b32 s5, v4
	s_mul_i32 s19, s2, s4
	s_mul_hi_u32 s30, s2, s5
	s_mul_i32 s20, s3, s5
	s_add_i32 s19, s30, s19
	s_add_i32 s19, s19, s20
	s_mul_i32 s31, s2, s5
	s_mul_hi_u32 s20, s5, s19
	s_mul_i32 s30, s5, s19
	s_mul_hi_u32 s5, s5, s31
	s_add_u32 s5, s5, s30
	s_addc_u32 s20, 0, s20
	s_mul_hi_u32 s34, s4, s31
	s_mul_i32 s31, s4, s31
	s_add_u32 s5, s5, s31
	s_mul_hi_u32 s30, s4, s19
	s_addc_u32 s5, s20, s34
	s_addc_u32 s20, s30, 0
	s_mul_i32 s19, s4, s19
	s_add_u32 s5, s5, s19
	s_addc_u32 s19, 0, s20
	v_add_co_u32_e32 v4, vcc, s5, v4
	s_cmp_lg_u64 vcc, 0
	s_addc_u32 s4, s4, s19
	v_readfirstlane_b32 s19, v4
	s_mul_i32 s5, s2, s4
	s_mul_hi_u32 s20, s2, s19
	s_add_i32 s5, s20, s5
	s_mul_i32 s3, s3, s19
	s_add_i32 s5, s5, s3
	s_mul_i32 s2, s2, s19
	s_mul_hi_u32 s20, s4, s2
	s_mul_i32 s30, s4, s2
	s_mul_i32 s34, s19, s5
	s_mul_hi_u32 s2, s19, s2
	s_mul_hi_u32 s31, s19, s5
	s_add_u32 s2, s2, s34
	s_addc_u32 s19, 0, s31
	s_add_u32 s2, s2, s30
	s_mul_hi_u32 s3, s4, s5
	s_addc_u32 s2, s19, s20
	s_addc_u32 s3, s3, 0
	s_mul_i32 s5, s4, s5
	s_add_u32 s2, s2, s5
	s_addc_u32 s3, 0, s3
	v_add_co_u32_e32 v4, vcc, s2, v4
	s_cmp_lg_u64 vcc, 0
	s_addc_u32 s4, s4, s3
	s_ashr_i32 s30, s25, 31
	s_add_u32 s2, s24, s30
	s_mov_b32 s31, s30
	s_addc_u32 s3, s25, s30
	s_xor_b64 s[34:35], s[2:3], s[30:31]
	v_readfirstlane_b32 s5, v4
	s_mul_i32 s3, s34, s4
	s_mul_hi_u32 s19, s34, s5
	s_mul_hi_u32 s2, s34, s4
	s_add_u32 s3, s19, s3
	s_addc_u32 s2, 0, s2
	s_mul_hi_u32 s20, s35, s5
	s_mul_i32 s5, s35, s5
	s_add_u32 s3, s3, s5
	s_mul_hi_u32 s19, s35, s4
	s_addc_u32 s2, s2, s20
	s_addc_u32 s3, s19, 0
	s_mul_i32 s4, s35, s4
	s_add_u32 s2, s2, s4
	s_addc_u32 s3, 0, s3
	s_mul_i32 s3, s28, s3
	s_mul_hi_u32 s4, s28, s2
	s_add_i32 s3, s4, s3
	s_mul_i32 s4, s29, s2
	s_mul_i32 s2, s28, s2
	s_add_i32 s19, s3, s4
	v_mov_b32_e32 v4, s2
	s_sub_i32 s3, s35, s19
	v_sub_co_u32_e32 v4, vcc, s34, v4
	s_cmp_lg_u64 vcc, 0
	s_subb_u32 s20, s3, s29
	v_subrev_co_u32_e64 v5, s[2:3], s28, v4
	s_cmp_lg_u64 s[2:3], 0
	s_subb_u32 s31, s20, 0
	s_cmp_ge_u32 s31, s29
	s_cselect_b32 s34, -1, 0
	v_cmp_le_u32_e64 s[4:5], s28, v5
	s_cmp_eq_u32 s31, s29
	v_cndmask_b32_e64 v6, 0, -1, s[4:5]
	v_mov_b32_e32 v7, s34
	s_cselect_b64 s[4:5], -1, 0
	s_cmp_lg_u64 s[2:3], 0
	v_cndmask_b32_e64 v6, v7, v6, s[4:5]
	s_subb_u32 s4, s20, s29
	v_subrev_co_u32_e64 v7, s[2:3], s28, v5
	s_cmp_lg_u64 s[2:3], 0
	s_subb_u32 s4, s4, 0
	v_cmp_ne_u32_e64 s[2:3], 0, v6
	v_cndmask_b32_e64 v5, v5, v7, s[2:3]
	v_mov_b32_e32 v6, s31
	v_mov_b32_e32 v7, s4
	s_cmp_lg_u64 vcc, 0
	v_cndmask_b32_e64 v6, v6, v7, s[2:3]
	s_subb_u32 s2, s35, s19
	s_cmp_ge_u32 s2, s29
	s_cselect_b32 s3, -1, 0
	v_cmp_le_u32_e32 vcc, s28, v4
	s_cmp_eq_u32 s2, s29
	v_cndmask_b32_e64 v7, 0, -1, vcc
	v_mov_b32_e32 v8, s3
	s_cselect_b64 vcc, -1, 0
	v_cndmask_b32_e32 v7, v8, v7, vcc
	v_cmp_ne_u32_e32 vcc, 0, v7
	v_mov_b32_e32 v8, s2
	v_cndmask_b32_e32 v4, v4, v5, vcc
	v_cndmask_b32_e32 v6, v8, v6, vcc
	v_xor_b32_e32 v4, s30, v4
	v_xor_b32_e32 v5, s30, v6
	v_mov_b32_e32 v6, s30
	v_subrev_co_u32_e32 v4, vcc, s30, v4
	v_subb_co_u32_e32 v5, vcc, v5, v6, vcc
	s_cbranch_execnz .LBB84_54
.LBB84_53:
	v_cvt_f32_u32_e32 v4, s12
	s_sub_i32 s2, 0, s12
	v_rcp_iflag_f32_e32 v4, v4
	v_mul_f32_e32 v4, 0x4f7ffffe, v4
	v_cvt_u32_f32_e32 v4, v4
	v_mul_lo_u32 v5, s2, v4
	v_mul_hi_u32 v5, v4, v5
	v_add_u32_e32 v4, v4, v5
	v_mul_hi_u32 v4, s24, v4
	v_mul_lo_u32 v4, v4, s12
	v_sub_u32_e32 v4, s24, v4
	v_subrev_u32_e32 v5, s12, v4
	v_cmp_le_u32_e32 vcc, s12, v4
	v_cndmask_b32_e32 v4, v4, v5, vcc
	v_subrev_u32_e32 v5, s12, v4
	v_cmp_le_u32_e32 vcc, s12, v4
	v_cndmask_b32_e32 v4, v4, v5, vcc
	v_mov_b32_e32 v5, 0
.LBB84_54:
	s_mov_b32 s4, 0x43e00000
	v_div_scale_f32 v6, s[2:3], s4, s4, v1
	v_rcp_f32_e32 v7, v6
	v_div_scale_f32 v8, vcc, v1, s4, v1
	v_fma_f32 v9, -v6, v7, 1.0
	v_fmac_f32_e32 v7, v9, v7
	v_mul_f32_e32 v9, v8, v7
	v_fma_f32 v10, -v6, v9, v8
	v_fmac_f32_e32 v9, v10, v7
	v_fma_f32 v6, -v6, v9, v8
	v_div_fmas_f32 v6, v6, v7, v9
	v_div_fixup_f32 v1, v6, s4, v1
	v_mov_b32_e32 v6, s25
	v_sub_co_u32_e32 v4, vcc, s24, v4
	v_subb_co_u32_e32 v5, vcc, v6, v5, vcc
	v_mul_lo_u32 v5, v5, v2
	v_mul_lo_u32 v6, v4, v3
	v_mad_u64_u32 v[2:3], s[2:3], v4, v2, 0
	s_lshl_b64 s[2:3], s[6:7], 2
	v_add3_u32 v3, v3, v6, v5
	s_add_u32 s2, s2, s10
	v_lshlrev_b64 v[2:3], 2, v[2:3]
	s_addc_u32 s3, s3, s11
	v_mov_b32_e32 v4, s3
	v_add_co_u32_e32 v2, vcc, s2, v2
	v_max_f32_e32 v1, 0x36924925, v1
	v_addc_co_u32_e32 v3, vcc, v4, v3, vcc
	global_store_dword v[2:3], v1, off
.LBB84_55:
	s_or_b64 exec, exec, s[22:23]
	s_barrier
	s_and_saveexec_b64 s[2:3], s[0:1]
	s_cbranch_execz .LBB84_163
; %bb.56:
	s_add_u32 s1, s12, s43
	s_addc_u32 s2, s13, 0
	s_add_u32 s4, s1, -1
	s_addc_u32 s5, s2, -1
	s_or_b64 s[2:3], s[4:5], s[12:13]
	s_mov_b32 s0, 0
	s_mov_b32 s1, s3
	s_cmp_lg_u64 s[0:1], 0
	s_mov_b64 s[22:23], -1
	s_cbranch_scc0 .LBB84_165
; %bb.57:
	s_ashr_i32 s0, s13, 31
	s_add_u32 s2, s12, s0
	s_mov_b32 s1, s0
	s_addc_u32 s3, s13, s0
	s_xor_b64 s[24:25], s[2:3], s[0:1]
	v_cvt_f32_u32_e32 v1, s24
	v_cvt_f32_u32_e32 v2, s25
	s_sub_u32 s0, 0, s24
	s_subb_u32 s1, 0, s25
	v_madmk_f32 v1, v2, 0x4f800000, v1
	v_rcp_f32_e32 v1, v1
	v_mul_f32_e32 v1, 0x5f7ffffc, v1
	v_mul_f32_e32 v2, 0x2f800000, v1
	v_trunc_f32_e32 v2, v2
	v_madmk_f32 v1, v2, 0xcf800000, v1
	v_cvt_u32_f32_e32 v2, v2
	v_cvt_u32_f32_e32 v1, v1
	v_readfirstlane_b32 s2, v2
	v_readfirstlane_b32 s3, v1
	s_mul_i32 s13, s0, s2
	s_mul_hi_u32 s20, s0, s3
	s_mul_i32 s19, s1, s3
	s_add_i32 s13, s20, s13
	s_add_i32 s13, s13, s19
	s_mul_i32 s26, s0, s3
	s_mul_hi_u32 s19, s3, s13
	s_mul_i32 s20, s3, s13
	s_mul_hi_u32 s3, s3, s26
	s_add_u32 s3, s3, s20
	s_addc_u32 s19, 0, s19
	s_mul_hi_u32 s27, s2, s26
	s_mul_i32 s26, s2, s26
	s_add_u32 s3, s3, s26
	s_mul_hi_u32 s20, s2, s13
	s_addc_u32 s3, s19, s27
	s_addc_u32 s19, s20, 0
	s_mul_i32 s13, s2, s13
	s_add_u32 s3, s3, s13
	s_addc_u32 s13, 0, s19
	v_add_co_u32_e32 v1, vcc, s3, v1
	s_cmp_lg_u64 vcc, 0
	s_addc_u32 s2, s2, s13
	v_readfirstlane_b32 s13, v1
	s_mul_i32 s3, s0, s2
	s_mul_hi_u32 s19, s0, s13
	s_add_i32 s3, s19, s3
	s_mul_i32 s1, s1, s13
	s_add_i32 s3, s3, s1
	s_mul_i32 s0, s0, s13
	s_mul_hi_u32 s19, s2, s0
	s_mul_i32 s20, s2, s0
	s_mul_i32 s27, s13, s3
	s_mul_hi_u32 s0, s13, s0
	s_mul_hi_u32 s26, s13, s3
	s_add_u32 s0, s0, s27
	s_addc_u32 s13, 0, s26
	s_add_u32 s0, s0, s20
	s_mul_hi_u32 s1, s2, s3
	s_addc_u32 s0, s13, s19
	s_addc_u32 s1, s1, 0
	s_mul_i32 s3, s2, s3
	s_add_u32 s0, s0, s3
	s_addc_u32 s1, 0, s1
	v_add_co_u32_e32 v1, vcc, s0, v1
	s_cmp_lg_u64 vcc, 0
	s_addc_u32 s2, s2, s1
	s_ashr_i32 s26, s5, 31
	s_add_u32 s0, s4, s26
	s_mov_b32 s27, s26
	s_addc_u32 s1, s5, s26
	s_xor_b64 s[28:29], s[0:1], s[26:27]
	v_readfirstlane_b32 s3, v1
	s_mul_i32 s1, s28, s2
	s_mul_hi_u32 s13, s28, s3
	s_mul_hi_u32 s0, s28, s2
	s_add_u32 s1, s13, s1
	s_addc_u32 s0, 0, s0
	s_mul_hi_u32 s19, s29, s3
	s_mul_i32 s3, s29, s3
	s_add_u32 s1, s1, s3
	s_mul_hi_u32 s13, s29, s2
	s_addc_u32 s0, s0, s19
	s_addc_u32 s1, s13, 0
	s_mul_i32 s2, s29, s2
	s_add_u32 s0, s0, s2
	s_addc_u32 s1, 0, s1
	s_mul_i32 s1, s24, s1
	s_mul_hi_u32 s2, s24, s0
	s_add_i32 s1, s2, s1
	s_mul_i32 s2, s25, s0
	s_mul_i32 s0, s24, s0
	s_add_i32 s13, s1, s2
	v_mov_b32_e32 v1, s0
	s_sub_i32 s1, s29, s13
	v_sub_co_u32_e32 v1, vcc, s28, v1
	s_cmp_lg_u64 vcc, 0
	s_subb_u32 s19, s1, s25
	v_subrev_co_u32_e64 v2, s[0:1], s24, v1
	s_cmp_lg_u64 s[0:1], 0
	s_subb_u32 s20, s19, 0
	s_cmp_ge_u32 s20, s25
	s_cselect_b32 s27, -1, 0
	v_cmp_le_u32_e64 s[2:3], s24, v2
	s_cmp_eq_u32 s20, s25
	v_cndmask_b32_e64 v3, 0, -1, s[2:3]
	v_mov_b32_e32 v4, s27
	s_cselect_b64 s[2:3], -1, 0
	s_cmp_lg_u64 s[0:1], 0
	v_cndmask_b32_e64 v3, v4, v3, s[2:3]
	s_subb_u32 s2, s19, s25
	v_subrev_co_u32_e64 v4, s[0:1], s24, v2
	s_cmp_lg_u64 s[0:1], 0
	s_subb_u32 s2, s2, 0
	v_cmp_ne_u32_e64 s[0:1], 0, v3
	v_cndmask_b32_e64 v2, v2, v4, s[0:1]
	v_mov_b32_e32 v3, s20
	v_mov_b32_e32 v4, s2
	s_cmp_lg_u64 vcc, 0
	v_cndmask_b32_e64 v3, v3, v4, s[0:1]
	s_subb_u32 s0, s29, s13
	s_cmp_ge_u32 s0, s25
	s_cselect_b32 s1, -1, 0
	v_cmp_le_u32_e32 vcc, s24, v1
	s_cmp_eq_u32 s0, s25
	v_cndmask_b32_e64 v4, 0, -1, vcc
	v_mov_b32_e32 v5, s1
	s_cselect_b64 vcc, -1, 0
	v_cndmask_b32_e32 v4, v5, v4, vcc
	v_cmp_ne_u32_e32 vcc, 0, v4
	v_mov_b32_e32 v5, s0
	v_cndmask_b32_e32 v1, v1, v2, vcc
	v_cndmask_b32_e32 v3, v5, v3, vcc
	v_xor_b32_e32 v1, s26, v1
	v_xor_b32_e32 v3, s26, v3
	v_mov_b32_e32 v4, s26
	v_subrev_co_u32_e32 v2, vcc, s26, v1
	v_subb_co_u32_e32 v3, vcc, v3, v4, vcc
	s_cbranch_execnz .LBB84_59
.LBB84_58:
	v_cvt_f32_u32_e32 v1, s12
	s_sub_i32 s0, 0, s12
	v_mov_b32_e32 v3, 0
	v_rcp_iflag_f32_e32 v1, v1
	v_mul_f32_e32 v1, 0x4f7ffffe, v1
	v_cvt_u32_f32_e32 v1, v1
	v_mul_lo_u32 v2, s0, v1
	v_mul_hi_u32 v2, v1, v2
	v_add_u32_e32 v1, v1, v2
	v_mul_hi_u32 v1, s4, v1
	v_mul_lo_u32 v1, v1, s12
	v_sub_u32_e32 v1, s4, v1
	v_subrev_u32_e32 v2, s12, v1
	v_cmp_le_u32_e32 vcc, s12, v1
	v_cndmask_b32_e32 v1, v1, v2, vcc
	v_subrev_u32_e32 v2, s12, v1
	v_cmp_le_u32_e32 vcc, s12, v1
	v_cndmask_b32_e32 v2, v1, v2, vcc
.LBB84_59:
	s_mul_i32 s0, s21, s6
	s_mul_hi_u32 s1, s17, s6
	s_add_i32 s1, s1, s0
	s_mul_i32 s0, s17, s6
	s_add_u32 s12, s8, s0
	s_addc_u32 s13, s9, s1
	s_lshl_b64 s[0:1], s[6:7], 2
	s_add_u32 s17, s10, s0
	s_addc_u32 s19, s11, s1
	v_mov_b32_e32 v1, s5
	v_sub_co_u32_e32 v10, vcc, s4, v2
	v_subb_co_u32_e32 v11, vcc, v1, v3, vcc
	s_mul_i32 s20, s16, 3
	s_lshl_b32 s21, s16, 1
	s_mov_b64 s[0:1], 0
	v_mov_b32_e32 v1, 0
	v_mov_b32_e32 v12, s42
	;; [unrolled: 1-line block ×4, first 2 shown]
	s_movk_i32 s22, 0x7fff
	v_mov_b32_e32 v15, 0x7fc00000
	s_mov_b32 s23, 0x43f00000
	s_mov_b32 s24, 0x3c7fffff
	;; [unrolled: 1-line block ×4, first 2 shown]
	s_movk_i32 s27, 0x80
	s_movk_i32 s28, 0xff
	s_branch .LBB84_65
.LBB84_60:                              ;   in Loop: Header=BB84_65 Depth=1
	s_or_b64 exec, exec, s[10:11]
.LBB84_61:                              ;   in Loop: Header=BB84_65 Depth=1
	s_or_b64 exec, exec, s[8:9]
	v_and_b32_sdwa v7, v18, s27 dst_sel:DWORD dst_unused:UNUSED_PAD src0_sel:BYTE_3 src1_sel:DWORD
	v_and_b32_sdwa v8, v17, s27 dst_sel:DWORD dst_unused:UNUSED_PAD src0_sel:BYTE_3 src1_sel:DWORD
	v_lshrrev_b32_e32 v18, 24, v16
	v_lshlrev_b64 v[16:17], 2, v[0:1]
	v_mov_b32_e32 v0, s13
	v_add_co_u32_e32 v16, vcc, s12, v16
	v_and_or_b32 v4, v4, s28, v7
	v_addc_co_u32_e32 v17, vcc, v0, v17, vcc
	v_lshlrev_b32_e32 v0, 24, v6
	v_and_b32_e32 v5, 0x80000000, v5
	v_lshlrev_b32_e32 v4, 16, v4
	v_or3_b32 v0, v5, v0, v4
	v_and_or_b32 v3, v3, s28, v8
	v_and_b32_e32 v4, 0xff, v9
	v_lshlrev_b32_e32 v3, 8, v3
	v_and_or_b32 v4, v18, s27, v4
	s_add_i32 s8, s16, s16
	v_or3_b32 v0, v0, v3, v4
	s_add_i32 s8, s8, s16
	global_store_dword v[16:17], v0, off
	v_add_u32_e32 v0, s8, v2
	v_cmp_le_u32_e32 vcc, s18, v0
	s_orn2_b64 s[8:9], vcc, exec
.LBB84_62:                              ;   in Loop: Header=BB84_65 Depth=1
	s_or_b64 exec, exec, s[6:7]
	s_orn2_b64 s[6:7], s[8:9], exec
.LBB84_63:                              ;   in Loop: Header=BB84_65 Depth=1
	s_or_b64 exec, exec, s[4:5]
	s_orn2_b64 s[4:5], s[6:7], exec
.LBB84_64:                              ;   in Loop: Header=BB84_65 Depth=1
	s_or_b64 exec, exec, s[2:3]
	s_and_b64 s[2:3], exec, s[4:5]
	s_or_b64 s[0:1], s[2:3], s[0:1]
	s_andn2_b64 exec, exec, s[0:1]
	s_cbranch_execz .LBB84_163
.LBB84_65:                              ; =>This Inner Loop Header: Depth=1
	v_lshlrev_b64 v[2:3], 3, v[0:1]
	v_add_co_u32_e32 v4, vcc, s33, v2
	v_addc_co_u32_e32 v5, vcc, v12, v3, vcc
	global_load_dwordx2 v[4:5], v[4:5], off
	v_add_co_u32_e32 v2, vcc, s14, v2
	v_bfe_u32 v9, v0, 4, 26
	v_addc_co_u32_e32 v3, vcc, v13, v3, vcc
	v_mad_u64_u32 v[6:7], s[2:3], v10, v9, 0
	global_load_dwordx2 v[2:3], v[2:3], off
	v_mov_b32_e32 v8, v7
	v_mad_u64_u32 v[8:9], s[2:3], v11, v9, v[8:9]
	v_mov_b32_e32 v7, v8
	v_lshlrev_b64 v[6:7], 2, v[6:7]
	v_add_co_u32_e32 v6, vcc, s17, v6
	v_addc_co_u32_e32 v7, vcc, v14, v7, vcc
	global_load_dword v7, v[6:7], off
	s_waitcnt vmcnt(2)
	v_lshlrev_b32_e32 v6, 16, v4
	v_mul_f32_e32 v6, v36, v6
	v_bfe_u32 v9, v6, 16, 1
	v_add3_u32 v9, v6, v9, s22
	v_and_b32_e32 v9, 0xffff0000, v9
	v_cmp_o_f32_e32 vcc, v6, v6
	v_cndmask_b32_e32 v6, v15, v9, vcc
	s_waitcnt vmcnt(1)
	v_lshlrev_b32_e32 v8, 16, v2
	v_mul_f32_e32 v6, v6, v8
	v_bfe_u32 v8, v6, 16, 1
	v_add3_u32 v8, v6, v8, s22
	v_and_b32_e32 v8, 0xffff0000, v8
	v_cmp_o_f32_e32 vcc, v6, v6
	v_cndmask_b32_e32 v8, v15, v8, vcc
	v_mov_b32_e32 v6, 0x7f
	s_waitcnt vmcnt(0)
	v_div_scale_f32 v9, s[2:3], v7, v7, v8
	v_rcp_f32_e32 v16, v9
	v_div_scale_f32 v17, vcc, v8, v7, v8
	v_fma_f32 v18, -v9, v16, 1.0
	v_fmac_f32_e32 v16, v18, v16
	v_mul_f32_e32 v18, v17, v16
	v_fma_f32 v19, -v9, v18, v17
	v_fmac_f32_e32 v18, v19, v16
	v_fma_f32 v9, -v9, v18, v17
	v_div_fmas_f32 v9, v9, v16, v18
	v_div_fixup_f32 v8, v9, v7, v8
	v_min_f32_e32 v8, 0x43e00000, v8
	v_max_f32_e32 v9, 0xc3e00000, v8
	v_and_b32_e32 v16, 0x7fffffff, v9
	v_cmp_gt_u32_e32 vcc, s23, v16
	v_mov_b32_e32 v8, 0x7f
	s_and_saveexec_b64 s[2:3], vcc
	s_cbranch_execz .LBB84_71
; %bb.66:                               ;   in Loop: Header=BB84_65 Depth=1
	v_cmp_lt_u32_e32 vcc, s24, v16
                                        ; implicit-def: $vgpr8
	s_and_saveexec_b64 s[4:5], vcc
	s_xor_b64 s[4:5], exec, s[4:5]
; %bb.67:                               ;   in Loop: Header=BB84_65 Depth=1
	v_bfe_u32 v8, v9, 20, 1
	v_add3_u32 v8, v9, v8, s25
	v_lshrrev_b32_e32 v8, 20, v8
; %bb.68:                               ;   in Loop: Header=BB84_65 Depth=1
	s_andn2_saveexec_b64 s[4:5], s[4:5]
; %bb.69:                               ;   in Loop: Header=BB84_65 Depth=1
	v_add_f32_e64 v8, |v9|, s26
; %bb.70:                               ;   in Loop: Header=BB84_65 Depth=1
	s_or_b64 exec, exec, s[4:5]
.LBB84_71:                              ;   in Loop: Header=BB84_65 Depth=1
	s_or_b64 exec, exec, s[2:3]
	v_and_b32_e32 v16, 0xffff0000, v4
	v_mul_f32_e32 v16, v36, v16
	v_bfe_u32 v18, v16, 16, 1
	v_add3_u32 v18, v16, v18, s22
	v_and_b32_e32 v18, 0xffff0000, v18
	v_cmp_o_f32_e32 vcc, v16, v16
	v_and_b32_e32 v17, 0xffff0000, v2
	v_cndmask_b32_e32 v16, v15, v18, vcc
	v_mul_f32_e32 v16, v16, v17
	v_bfe_u32 v17, v16, 16, 1
	v_add3_u32 v17, v16, v17, s22
	v_and_b32_e32 v17, 0xffff0000, v17
	v_cmp_o_f32_e32 vcc, v16, v16
	v_cndmask_b32_e32 v16, v15, v17, vcc
	v_div_scale_f32 v17, s[2:3], v7, v7, v16
	v_rcp_f32_e32 v18, v17
	v_fma_f32 v19, -v17, v18, 1.0
	v_fmac_f32_e32 v18, v19, v18
	v_div_scale_f32 v19, vcc, v16, v7, v16
	v_mul_f32_e32 v20, v19, v18
	v_fma_f32 v21, -v17, v20, v19
	v_fmac_f32_e32 v20, v21, v18
	v_fma_f32 v17, -v17, v20, v19
	v_div_fmas_f32 v17, v17, v18, v20
	v_div_fixup_f32 v16, v17, v7, v16
	v_min_f32_e32 v16, 0x43e00000, v16
	v_max_f32_e32 v16, 0xc3e00000, v16
	v_and_b32_e32 v17, 0x7fffffff, v16
	v_cmp_gt_u32_e32 vcc, s23, v17
	s_and_saveexec_b64 s[2:3], vcc
	s_cbranch_execz .LBB84_77
; %bb.72:                               ;   in Loop: Header=BB84_65 Depth=1
	v_cmp_lt_u32_e32 vcc, s24, v17
                                        ; implicit-def: $vgpr6
	s_and_saveexec_b64 s[4:5], vcc
	s_xor_b64 s[4:5], exec, s[4:5]
; %bb.73:                               ;   in Loop: Header=BB84_65 Depth=1
	v_bfe_u32 v6, v16, 20, 1
	v_add3_u32 v6, v16, v6, s25
	v_lshrrev_b32_e32 v6, 20, v6
; %bb.74:                               ;   in Loop: Header=BB84_65 Depth=1
	s_andn2_saveexec_b64 s[4:5], s[4:5]
; %bb.75:                               ;   in Loop: Header=BB84_65 Depth=1
	v_add_f32_e64 v6, |v16|, s26
; %bb.76:                               ;   in Loop: Header=BB84_65 Depth=1
	s_or_b64 exec, exec, s[4:5]
.LBB84_77:                              ;   in Loop: Header=BB84_65 Depth=1
	s_or_b64 exec, exec, s[2:3]
	v_alignbit_b32 v4, v5, v4, 16
	v_and_b32_e32 v4, 0xffff0000, v4
	v_mul_f32_e32 v4, v36, v4
	v_bfe_u32 v17, v4, 16, 1
	v_add3_u32 v17, v4, v17, s22
	v_and_b32_e32 v17, 0xffff0000, v17
	v_cmp_o_f32_e32 vcc, v4, v4
	v_alignbit_b32 v2, v3, v2, 16
	v_cndmask_b32_e32 v4, v15, v17, vcc
	v_and_b32_e32 v2, 0xffff0000, v2
	v_mul_f32_e32 v2, v4, v2
	v_bfe_u32 v4, v2, 16, 1
	v_add3_u32 v4, v2, v4, s22
	v_and_b32_e32 v4, 0xffff0000, v4
	v_cmp_o_f32_e32 vcc, v2, v2
	v_cndmask_b32_e32 v2, v15, v4, vcc
	v_div_scale_f32 v4, s[2:3], v7, v7, v2
	v_rcp_f32_e32 v17, v4
	v_fma_f32 v18, -v4, v17, 1.0
	v_fmac_f32_e32 v17, v18, v17
	v_div_scale_f32 v18, vcc, v2, v7, v2
	v_mul_f32_e32 v19, v18, v17
	v_fma_f32 v20, -v4, v19, v18
	v_fmac_f32_e32 v19, v20, v17
	v_fma_f32 v4, -v4, v19, v18
	v_div_fmas_f32 v4, v4, v17, v19
	v_div_fixup_f32 v2, v4, v7, v2
	v_min_f32_e32 v2, 0x43e00000, v2
	v_max_f32_e32 v17, 0xc3e00000, v2
	v_and_b32_e32 v18, 0x7fffffff, v17
	v_cmp_gt_u32_e32 vcc, s23, v18
	v_mov_b32_e32 v4, 0x7f
	v_mov_b32_e32 v2, 0x7f
	s_and_saveexec_b64 s[2:3], vcc
	s_cbranch_execz .LBB84_83
; %bb.78:                               ;   in Loop: Header=BB84_65 Depth=1
	v_cmp_lt_u32_e32 vcc, s24, v18
                                        ; implicit-def: $vgpr2
	s_and_saveexec_b64 s[4:5], vcc
	s_xor_b64 s[4:5], exec, s[4:5]
; %bb.79:                               ;   in Loop: Header=BB84_65 Depth=1
	v_bfe_u32 v2, v17, 20, 1
	v_add3_u32 v2, v17, v2, s25
	v_lshrrev_b32_e32 v2, 20, v2
; %bb.80:                               ;   in Loop: Header=BB84_65 Depth=1
	s_andn2_saveexec_b64 s[4:5], s[4:5]
; %bb.81:                               ;   in Loop: Header=BB84_65 Depth=1
	v_add_f32_e64 v2, |v17|, s26
; %bb.82:                               ;   in Loop: Header=BB84_65 Depth=1
	s_or_b64 exec, exec, s[4:5]
.LBB84_83:                              ;   in Loop: Header=BB84_65 Depth=1
	s_or_b64 exec, exec, s[2:3]
	v_and_b32_e32 v5, 0xffff0000, v5
	v_mul_f32_e32 v5, v36, v5
	v_bfe_u32 v18, v5, 16, 1
	v_add3_u32 v18, v5, v18, s22
	v_and_b32_e32 v18, 0xffff0000, v18
	v_cmp_o_f32_e32 vcc, v5, v5
	v_cndmask_b32_e32 v5, v15, v18, vcc
	v_and_b32_e32 v3, 0xffff0000, v3
	v_mul_f32_e32 v3, v5, v3
	v_bfe_u32 v5, v3, 16, 1
	v_add3_u32 v5, v3, v5, s22
	v_and_b32_e32 v5, 0xffff0000, v5
	v_cmp_o_f32_e32 vcc, v3, v3
	v_cndmask_b32_e32 v3, v15, v5, vcc
	v_div_scale_f32 v5, s[2:3], v7, v7, v3
	v_rcp_f32_e32 v18, v5
	v_fma_f32 v19, -v5, v18, 1.0
	v_fmac_f32_e32 v18, v19, v18
	v_div_scale_f32 v19, vcc, v3, v7, v3
	v_mul_f32_e32 v20, v19, v18
	v_fma_f32 v21, -v5, v20, v19
	v_fmac_f32_e32 v20, v21, v18
	v_fma_f32 v5, -v5, v20, v19
	v_div_fmas_f32 v5, v5, v18, v20
	v_div_fixup_f32 v3, v5, v7, v3
	v_min_f32_e32 v3, 0x43e00000, v3
	v_max_f32_e32 v3, 0xc3e00000, v3
	v_and_b32_e32 v5, 0x7fffffff, v3
	v_cmp_gt_u32_e32 vcc, s23, v5
	s_and_saveexec_b64 s[2:3], vcc
	s_cbranch_execz .LBB84_89
; %bb.84:                               ;   in Loop: Header=BB84_65 Depth=1
	v_cmp_lt_u32_e32 vcc, s24, v5
                                        ; implicit-def: $vgpr4
	s_and_saveexec_b64 s[4:5], vcc
	s_xor_b64 s[4:5], exec, s[4:5]
; %bb.85:                               ;   in Loop: Header=BB84_65 Depth=1
	v_bfe_u32 v4, v3, 20, 1
	v_add3_u32 v4, v3, v4, s25
	v_lshrrev_b32_e32 v4, 20, v4
; %bb.86:                               ;   in Loop: Header=BB84_65 Depth=1
	s_andn2_saveexec_b64 s[4:5], s[4:5]
; %bb.87:                               ;   in Loop: Header=BB84_65 Depth=1
	v_add_f32_e64 v4, |v3|, s26
; %bb.88:                               ;   in Loop: Header=BB84_65 Depth=1
	s_or_b64 exec, exec, s[4:5]
.LBB84_89:                              ;   in Loop: Header=BB84_65 Depth=1
	s_or_b64 exec, exec, s[2:3]
	v_and_b32_sdwa v5, v17, s27 dst_sel:DWORD dst_unused:UNUSED_PAD src0_sel:BYTE_3 src1_sel:DWORD
	v_and_or_b32 v2, v2, s28, v5
	v_and_b32_sdwa v7, v16, s27 dst_sel:DWORD dst_unused:UNUSED_PAD src0_sel:BYTE_3 src1_sel:DWORD
	v_lshlrev_b32_e32 v4, 24, v4
	v_and_b32_e32 v3, 0x80000000, v3
	v_lshlrev_b32_e32 v2, 16, v2
	v_lshrrev_b32_e32 v9, 24, v9
	v_lshlrev_b64 v[16:17], 2, v[0:1]
	v_or3_b32 v2, v3, v4, v2
	v_and_or_b32 v3, v6, s28, v7
	v_and_b32_e32 v4, 0xff, v8
	v_mov_b32_e32 v18, s13
	v_add_co_u32_e32 v16, vcc, s12, v16
	v_lshlrev_b32_e32 v3, 8, v3
	v_and_or_b32 v4, v9, s27, v4
	v_addc_co_u32_e32 v17, vcc, v18, v17, vcc
	v_or3_b32 v2, v2, v3, v4
	global_store_dword v[16:17], v2, off
	v_add_u32_e32 v2, s16, v0
	v_cmp_gt_u32_e32 vcc, s18, v2
	s_mov_b64 s[4:5], -1
	s_and_saveexec_b64 s[2:3], vcc
	s_cbranch_execz .LBB84_64
; %bb.90:                               ;   in Loop: Header=BB84_65 Depth=1
	v_mov_b32_e32 v3, v1
	v_lshlrev_b64 v[6:7], 3, v[2:3]
	v_mov_b32_e32 v5, s42
	v_add_co_u32_e32 v4, vcc, s33, v6
	v_addc_co_u32_e32 v5, vcc, v5, v7, vcc
	global_load_dwordx2 v[4:5], v[4:5], off
	v_mov_b32_e32 v8, s15
	v_add_co_u32_e32 v6, vcc, s14, v6
	v_bfe_u32 v17, v2, 4, 26
	v_addc_co_u32_e32 v7, vcc, v8, v7, vcc
	v_mad_u64_u32 v[8:9], s[4:5], v10, v17, 0
	global_load_dwordx2 v[6:7], v[6:7], off
	v_mov_b32_e32 v16, v9
	v_mad_u64_u32 v[16:17], s[4:5], v11, v17, v[16:17]
	v_mov_b32_e32 v9, v16
	v_lshlrev_b64 v[8:9], 2, v[8:9]
	v_mov_b32_e32 v16, s19
	v_add_co_u32_e32 v8, vcc, s17, v8
	v_addc_co_u32_e32 v9, vcc, v16, v9, vcc
	global_load_dword v9, v[8:9], off
	s_waitcnt vmcnt(2)
	v_lshlrev_b32_e32 v8, 16, v4
	v_mul_f32_e32 v8, v36, v8
	v_bfe_u32 v17, v8, 16, 1
	v_add3_u32 v17, v8, v17, s22
	v_and_b32_e32 v17, 0xffff0000, v17
	v_cmp_o_f32_e32 vcc, v8, v8
	v_cndmask_b32_e32 v8, v15, v17, vcc
	s_waitcnt vmcnt(1)
	v_lshlrev_b32_e32 v16, 16, v6
	v_mul_f32_e32 v8, v8, v16
	v_bfe_u32 v16, v8, 16, 1
	v_add3_u32 v16, v8, v16, s22
	v_and_b32_e32 v16, 0xffff0000, v16
	v_cmp_o_f32_e32 vcc, v8, v8
	v_cndmask_b32_e32 v16, v15, v16, vcc
	v_mov_b32_e32 v8, 0x7f
	s_waitcnt vmcnt(0)
	v_div_scale_f32 v17, s[4:5], v9, v9, v16
	v_rcp_f32_e32 v18, v17
	v_div_scale_f32 v19, vcc, v16, v9, v16
	v_fma_f32 v20, -v17, v18, 1.0
	v_fmac_f32_e32 v18, v20, v18
	v_mul_f32_e32 v20, v19, v18
	v_fma_f32 v21, -v17, v20, v19
	v_fmac_f32_e32 v20, v21, v18
	v_fma_f32 v17, -v17, v20, v19
	v_div_fmas_f32 v17, v17, v18, v20
	v_div_fixup_f32 v16, v17, v9, v16
	v_min_f32_e32 v16, 0x43e00000, v16
	v_max_f32_e32 v17, 0xc3e00000, v16
	v_and_b32_e32 v18, 0x7fffffff, v17
	v_cmp_gt_u32_e32 vcc, s23, v18
	v_mov_b32_e32 v16, 0x7f
	s_and_saveexec_b64 s[4:5], vcc
	s_cbranch_execz .LBB84_96
; %bb.91:                               ;   in Loop: Header=BB84_65 Depth=1
	v_cmp_lt_u32_e32 vcc, s24, v18
                                        ; implicit-def: $vgpr16
	s_and_saveexec_b64 s[6:7], vcc
	s_xor_b64 s[6:7], exec, s[6:7]
; %bb.92:                               ;   in Loop: Header=BB84_65 Depth=1
	v_bfe_u32 v16, v17, 20, 1
	v_add3_u32 v16, v17, v16, s25
	v_lshrrev_b32_e32 v16, 20, v16
; %bb.93:                               ;   in Loop: Header=BB84_65 Depth=1
	s_andn2_saveexec_b64 s[6:7], s[6:7]
; %bb.94:                               ;   in Loop: Header=BB84_65 Depth=1
	v_add_f32_e64 v16, |v17|, s26
; %bb.95:                               ;   in Loop: Header=BB84_65 Depth=1
	s_or_b64 exec, exec, s[6:7]
.LBB84_96:                              ;   in Loop: Header=BB84_65 Depth=1
	s_or_b64 exec, exec, s[4:5]
	v_and_b32_e32 v18, 0xffff0000, v4
	v_mul_f32_e32 v18, v36, v18
	v_bfe_u32 v20, v18, 16, 1
	v_add3_u32 v20, v18, v20, s22
	v_and_b32_e32 v20, 0xffff0000, v20
	v_cmp_o_f32_e32 vcc, v18, v18
	v_and_b32_e32 v19, 0xffff0000, v6
	v_cndmask_b32_e32 v18, v15, v20, vcc
	v_mul_f32_e32 v18, v18, v19
	v_bfe_u32 v19, v18, 16, 1
	v_add3_u32 v19, v18, v19, s22
	v_and_b32_e32 v19, 0xffff0000, v19
	v_cmp_o_f32_e32 vcc, v18, v18
	v_cndmask_b32_e32 v18, v15, v19, vcc
	v_div_scale_f32 v19, s[4:5], v9, v9, v18
	v_rcp_f32_e32 v20, v19
	v_fma_f32 v21, -v19, v20, 1.0
	v_fmac_f32_e32 v20, v21, v20
	v_div_scale_f32 v21, vcc, v18, v9, v18
	v_mul_f32_e32 v22, v21, v20
	v_fma_f32 v23, -v19, v22, v21
	v_fmac_f32_e32 v22, v23, v20
	v_fma_f32 v19, -v19, v22, v21
	v_div_fmas_f32 v19, v19, v20, v22
	v_div_fixup_f32 v18, v19, v9, v18
	v_min_f32_e32 v18, 0x43e00000, v18
	v_max_f32_e32 v18, 0xc3e00000, v18
	v_and_b32_e32 v19, 0x7fffffff, v18
	v_cmp_gt_u32_e32 vcc, s23, v19
	s_and_saveexec_b64 s[4:5], vcc
	s_cbranch_execz .LBB84_102
; %bb.97:                               ;   in Loop: Header=BB84_65 Depth=1
	v_cmp_lt_u32_e32 vcc, s24, v19
                                        ; implicit-def: $vgpr8
	s_and_saveexec_b64 s[6:7], vcc
	s_xor_b64 s[6:7], exec, s[6:7]
; %bb.98:                               ;   in Loop: Header=BB84_65 Depth=1
	v_bfe_u32 v8, v18, 20, 1
	v_add3_u32 v8, v18, v8, s25
	v_lshrrev_b32_e32 v8, 20, v8
; %bb.99:                               ;   in Loop: Header=BB84_65 Depth=1
	s_andn2_saveexec_b64 s[6:7], s[6:7]
; %bb.100:                              ;   in Loop: Header=BB84_65 Depth=1
	v_add_f32_e64 v8, |v18|, s26
; %bb.101:                              ;   in Loop: Header=BB84_65 Depth=1
	s_or_b64 exec, exec, s[6:7]
.LBB84_102:                             ;   in Loop: Header=BB84_65 Depth=1
	s_or_b64 exec, exec, s[4:5]
	v_alignbit_b32 v4, v5, v4, 16
	v_and_b32_e32 v4, 0xffff0000, v4
	v_mul_f32_e32 v4, v36, v4
	v_bfe_u32 v19, v4, 16, 1
	v_add3_u32 v19, v4, v19, s22
	v_and_b32_e32 v19, 0xffff0000, v19
	v_cmp_o_f32_e32 vcc, v4, v4
	v_alignbit_b32 v6, v7, v6, 16
	v_cndmask_b32_e32 v4, v15, v19, vcc
	v_and_b32_e32 v6, 0xffff0000, v6
	v_mul_f32_e32 v4, v4, v6
	v_bfe_u32 v6, v4, 16, 1
	v_add3_u32 v6, v4, v6, s22
	v_and_b32_e32 v6, 0xffff0000, v6
	v_cmp_o_f32_e32 vcc, v4, v4
	v_cndmask_b32_e32 v4, v15, v6, vcc
	v_div_scale_f32 v6, s[4:5], v9, v9, v4
	v_rcp_f32_e32 v19, v6
	v_fma_f32 v20, -v6, v19, 1.0
	v_fmac_f32_e32 v19, v20, v19
	v_div_scale_f32 v20, vcc, v4, v9, v4
	v_mul_f32_e32 v21, v20, v19
	v_fma_f32 v22, -v6, v21, v20
	v_fmac_f32_e32 v21, v22, v19
	v_fma_f32 v6, -v6, v21, v20
	v_div_fmas_f32 v6, v6, v19, v21
	v_div_fixup_f32 v4, v6, v9, v4
	v_min_f32_e32 v4, 0x43e00000, v4
	v_max_f32_e32 v19, 0xc3e00000, v4
	v_and_b32_e32 v20, 0x7fffffff, v19
	v_cmp_gt_u32_e32 vcc, s23, v20
	v_mov_b32_e32 v6, 0x7f
	v_mov_b32_e32 v4, 0x7f
	s_and_saveexec_b64 s[4:5], vcc
	s_cbranch_execz .LBB84_108
; %bb.103:                              ;   in Loop: Header=BB84_65 Depth=1
	v_cmp_lt_u32_e32 vcc, s24, v20
                                        ; implicit-def: $vgpr4
	s_and_saveexec_b64 s[6:7], vcc
	s_xor_b64 s[6:7], exec, s[6:7]
; %bb.104:                              ;   in Loop: Header=BB84_65 Depth=1
	v_bfe_u32 v4, v19, 20, 1
	v_add3_u32 v4, v19, v4, s25
	v_lshrrev_b32_e32 v4, 20, v4
; %bb.105:                              ;   in Loop: Header=BB84_65 Depth=1
	s_andn2_saveexec_b64 s[6:7], s[6:7]
; %bb.106:                              ;   in Loop: Header=BB84_65 Depth=1
	v_add_f32_e64 v4, |v19|, s26
; %bb.107:                              ;   in Loop: Header=BB84_65 Depth=1
	s_or_b64 exec, exec, s[6:7]
.LBB84_108:                             ;   in Loop: Header=BB84_65 Depth=1
	s_or_b64 exec, exec, s[4:5]
	v_and_b32_e32 v5, 0xffff0000, v5
	v_mul_f32_e32 v5, v36, v5
	v_bfe_u32 v20, v5, 16, 1
	v_add3_u32 v20, v5, v20, s22
	v_and_b32_e32 v20, 0xffff0000, v20
	v_cmp_o_f32_e32 vcc, v5, v5
	v_cndmask_b32_e32 v5, v15, v20, vcc
	v_and_b32_e32 v7, 0xffff0000, v7
	v_mul_f32_e32 v5, v5, v7
	v_bfe_u32 v7, v5, 16, 1
	v_add3_u32 v7, v5, v7, s22
	v_and_b32_e32 v7, 0xffff0000, v7
	v_cmp_o_f32_e32 vcc, v5, v5
	v_cndmask_b32_e32 v5, v15, v7, vcc
	v_div_scale_f32 v7, s[4:5], v9, v9, v5
	v_rcp_f32_e32 v20, v7
	v_fma_f32 v21, -v7, v20, 1.0
	v_fmac_f32_e32 v20, v21, v20
	v_div_scale_f32 v21, vcc, v5, v9, v5
	v_mul_f32_e32 v22, v21, v20
	v_fma_f32 v23, -v7, v22, v21
	v_fmac_f32_e32 v22, v23, v20
	v_fma_f32 v7, -v7, v22, v21
	v_div_fmas_f32 v7, v7, v20, v22
	v_div_fixup_f32 v5, v7, v9, v5
	v_min_f32_e32 v5, 0x43e00000, v5
	v_max_f32_e32 v5, 0xc3e00000, v5
	v_and_b32_e32 v7, 0x7fffffff, v5
	v_cmp_gt_u32_e32 vcc, s23, v7
	s_and_saveexec_b64 s[4:5], vcc
	s_cbranch_execz .LBB84_114
; %bb.109:                              ;   in Loop: Header=BB84_65 Depth=1
	v_cmp_lt_u32_e32 vcc, s24, v7
                                        ; implicit-def: $vgpr6
	s_and_saveexec_b64 s[6:7], vcc
	s_xor_b64 s[6:7], exec, s[6:7]
; %bb.110:                              ;   in Loop: Header=BB84_65 Depth=1
	v_bfe_u32 v6, v5, 20, 1
	v_add3_u32 v6, v5, v6, s25
	v_lshrrev_b32_e32 v6, 20, v6
; %bb.111:                              ;   in Loop: Header=BB84_65 Depth=1
	s_andn2_saveexec_b64 s[6:7], s[6:7]
; %bb.112:                              ;   in Loop: Header=BB84_65 Depth=1
	v_add_f32_e64 v6, |v5|, s26
; %bb.113:                              ;   in Loop: Header=BB84_65 Depth=1
	s_or_b64 exec, exec, s[6:7]
.LBB84_114:                             ;   in Loop: Header=BB84_65 Depth=1
	s_or_b64 exec, exec, s[4:5]
	v_and_b32_sdwa v7, v19, s27 dst_sel:DWORD dst_unused:UNUSED_PAD src0_sel:BYTE_3 src1_sel:DWORD
	v_and_b32_sdwa v9, v18, s27 dst_sel:DWORD dst_unused:UNUSED_PAD src0_sel:BYTE_3 src1_sel:DWORD
	v_lshlrev_b64 v[18:19], 2, v[2:3]
	v_mov_b32_e32 v3, s13
	v_add_co_u32_e32 v18, vcc, s12, v18
	v_and_or_b32 v4, v4, s28, v7
	v_addc_co_u32_e32 v19, vcc, v3, v19, vcc
	v_lshlrev_b32_e32 v3, 24, v6
	v_and_b32_e32 v5, 0x80000000, v5
	v_lshlrev_b32_e32 v4, 16, v4
	v_lshrrev_b32_e32 v17, 24, v17
	v_or3_b32 v3, v5, v3, v4
	v_and_or_b32 v4, v8, s28, v9
	v_and_b32_e32 v5, 0xff, v16
	v_lshlrev_b32_e32 v4, 8, v4
	v_and_or_b32 v5, v17, s27, v5
	v_or3_b32 v3, v3, v4, v5
	v_add_u32_e32 v4, s21, v0
	v_cmp_gt_u32_e32 vcc, s18, v4
	s_mov_b64 s[6:7], -1
	global_store_dword v[18:19], v3, off
	s_and_saveexec_b64 s[4:5], vcc
	s_cbranch_execz .LBB84_63
; %bb.115:                              ;   in Loop: Header=BB84_65 Depth=1
	v_mov_b32_e32 v5, v1
	v_lshlrev_b64 v[8:9], 3, v[4:5]
	v_mov_b32_e32 v3, s42
	v_add_co_u32_e32 v6, vcc, s33, v8
	v_addc_co_u32_e32 v7, vcc, v3, v9, vcc
	global_load_dwordx2 v[6:7], v[6:7], off
	v_mov_b32_e32 v3, s15
	v_add_co_u32_e32 v8, vcc, s14, v8
	v_addc_co_u32_e32 v9, vcc, v3, v9, vcc
	v_bfe_u32 v3, v4, 4, 26
	v_mad_u64_u32 v[16:17], s[6:7], v10, v3, 0
	global_load_dwordx2 v[8:9], v[8:9], off
	v_mov_b32_e32 v18, v17
	v_mad_u64_u32 v[18:19], s[6:7], v11, v3, v[18:19]
	v_mov_b32_e32 v17, v18
	v_lshlrev_b64 v[16:17], 2, v[16:17]
	v_mov_b32_e32 v3, s19
	v_add_co_u32_e32 v16, vcc, s17, v16
	v_addc_co_u32_e32 v17, vcc, v3, v17, vcc
	global_load_dword v16, v[16:17], off
	s_waitcnt vmcnt(2)
	v_lshlrev_b32_e32 v3, 16, v6
	v_mul_f32_e32 v3, v36, v3
	v_bfe_u32 v18, v3, 16, 1
	v_add3_u32 v18, v3, v18, s22
	v_and_b32_e32 v18, 0xffff0000, v18
	v_cmp_o_f32_e32 vcc, v3, v3
	v_cndmask_b32_e32 v3, v15, v18, vcc
	s_waitcnt vmcnt(1)
	v_lshlrev_b32_e32 v17, 16, v8
	v_mul_f32_e32 v3, v3, v17
	v_bfe_u32 v17, v3, 16, 1
	v_add3_u32 v17, v3, v17, s22
	v_and_b32_e32 v17, 0xffff0000, v17
	v_cmp_o_f32_e32 vcc, v3, v3
	v_cndmask_b32_e32 v17, v15, v17, vcc
	v_mov_b32_e32 v3, 0x7f
	s_waitcnt vmcnt(0)
	v_div_scale_f32 v18, s[6:7], v16, v16, v17
	v_rcp_f32_e32 v19, v18
	v_div_scale_f32 v20, vcc, v17, v16, v17
	v_fma_f32 v21, -v18, v19, 1.0
	v_fmac_f32_e32 v19, v21, v19
	v_mul_f32_e32 v21, v20, v19
	v_fma_f32 v22, -v18, v21, v20
	v_fmac_f32_e32 v21, v22, v19
	v_fma_f32 v18, -v18, v21, v20
	v_div_fmas_f32 v18, v18, v19, v21
	v_div_fixup_f32 v17, v18, v16, v17
	v_min_f32_e32 v17, 0x43e00000, v17
	v_max_f32_e32 v18, 0xc3e00000, v17
	v_and_b32_e32 v19, 0x7fffffff, v18
	v_cmp_gt_u32_e32 vcc, s23, v19
	v_mov_b32_e32 v17, 0x7f
	s_and_saveexec_b64 s[6:7], vcc
	s_cbranch_execz .LBB84_121
; %bb.116:                              ;   in Loop: Header=BB84_65 Depth=1
	v_cmp_lt_u32_e32 vcc, s24, v19
                                        ; implicit-def: $vgpr17
	s_and_saveexec_b64 s[8:9], vcc
	s_xor_b64 s[8:9], exec, s[8:9]
; %bb.117:                              ;   in Loop: Header=BB84_65 Depth=1
	v_bfe_u32 v17, v18, 20, 1
	v_add3_u32 v17, v18, v17, s25
	v_lshrrev_b32_e32 v17, 20, v17
; %bb.118:                              ;   in Loop: Header=BB84_65 Depth=1
	s_andn2_saveexec_b64 s[8:9], s[8:9]
; %bb.119:                              ;   in Loop: Header=BB84_65 Depth=1
	v_add_f32_e64 v17, |v18|, s26
; %bb.120:                              ;   in Loop: Header=BB84_65 Depth=1
	s_or_b64 exec, exec, s[8:9]
.LBB84_121:                             ;   in Loop: Header=BB84_65 Depth=1
	s_or_b64 exec, exec, s[6:7]
	v_and_b32_e32 v19, 0xffff0000, v6
	v_mul_f32_e32 v19, v36, v19
	v_bfe_u32 v21, v19, 16, 1
	v_add3_u32 v21, v19, v21, s22
	v_and_b32_e32 v21, 0xffff0000, v21
	v_cmp_o_f32_e32 vcc, v19, v19
	v_and_b32_e32 v20, 0xffff0000, v8
	v_cndmask_b32_e32 v19, v15, v21, vcc
	v_mul_f32_e32 v19, v19, v20
	v_bfe_u32 v20, v19, 16, 1
	v_add3_u32 v20, v19, v20, s22
	v_and_b32_e32 v20, 0xffff0000, v20
	v_cmp_o_f32_e32 vcc, v19, v19
	v_cndmask_b32_e32 v19, v15, v20, vcc
	v_div_scale_f32 v20, s[6:7], v16, v16, v19
	v_rcp_f32_e32 v21, v20
	v_fma_f32 v22, -v20, v21, 1.0
	v_fmac_f32_e32 v21, v22, v21
	v_div_scale_f32 v22, vcc, v19, v16, v19
	v_mul_f32_e32 v23, v22, v21
	v_fma_f32 v24, -v20, v23, v22
	v_fmac_f32_e32 v23, v24, v21
	v_fma_f32 v20, -v20, v23, v22
	v_div_fmas_f32 v20, v20, v21, v23
	v_div_fixup_f32 v19, v20, v16, v19
	v_min_f32_e32 v19, 0x43e00000, v19
	v_max_f32_e32 v19, 0xc3e00000, v19
	v_and_b32_e32 v20, 0x7fffffff, v19
	v_cmp_gt_u32_e32 vcc, s23, v20
	s_and_saveexec_b64 s[6:7], vcc
	s_cbranch_execz .LBB84_127
; %bb.122:                              ;   in Loop: Header=BB84_65 Depth=1
	v_cmp_lt_u32_e32 vcc, s24, v20
                                        ; implicit-def: $vgpr3
	s_and_saveexec_b64 s[8:9], vcc
	s_xor_b64 s[8:9], exec, s[8:9]
; %bb.123:                              ;   in Loop: Header=BB84_65 Depth=1
	v_bfe_u32 v3, v19, 20, 1
	v_add3_u32 v3, v19, v3, s25
	v_lshrrev_b32_e32 v3, 20, v3
; %bb.124:                              ;   in Loop: Header=BB84_65 Depth=1
	s_andn2_saveexec_b64 s[8:9], s[8:9]
; %bb.125:                              ;   in Loop: Header=BB84_65 Depth=1
	v_add_f32_e64 v3, |v19|, s26
; %bb.126:                              ;   in Loop: Header=BB84_65 Depth=1
	s_or_b64 exec, exec, s[8:9]
.LBB84_127:                             ;   in Loop: Header=BB84_65 Depth=1
	s_or_b64 exec, exec, s[6:7]
	v_alignbit_b32 v6, v7, v6, 16
	v_and_b32_e32 v6, 0xffff0000, v6
	v_mul_f32_e32 v6, v36, v6
	v_bfe_u32 v20, v6, 16, 1
	v_add3_u32 v20, v6, v20, s22
	v_and_b32_e32 v20, 0xffff0000, v20
	v_cmp_o_f32_e32 vcc, v6, v6
	v_alignbit_b32 v8, v9, v8, 16
	v_cndmask_b32_e32 v6, v15, v20, vcc
	v_and_b32_e32 v8, 0xffff0000, v8
	v_mul_f32_e32 v6, v6, v8
	v_bfe_u32 v8, v6, 16, 1
	v_add3_u32 v8, v6, v8, s22
	v_and_b32_e32 v8, 0xffff0000, v8
	v_cmp_o_f32_e32 vcc, v6, v6
	v_cndmask_b32_e32 v6, v15, v8, vcc
	v_div_scale_f32 v8, s[6:7], v16, v16, v6
	v_rcp_f32_e32 v20, v8
	v_fma_f32 v21, -v8, v20, 1.0
	v_fmac_f32_e32 v20, v21, v20
	v_div_scale_f32 v21, vcc, v6, v16, v6
	v_mul_f32_e32 v22, v21, v20
	v_fma_f32 v23, -v8, v22, v21
	v_fmac_f32_e32 v22, v23, v20
	v_fma_f32 v8, -v8, v22, v21
	v_div_fmas_f32 v8, v8, v20, v22
	v_div_fixup_f32 v6, v8, v16, v6
	v_min_f32_e32 v6, 0x43e00000, v6
	v_max_f32_e32 v20, 0xc3e00000, v6
	v_and_b32_e32 v21, 0x7fffffff, v20
	v_cmp_gt_u32_e32 vcc, s23, v21
	v_mov_b32_e32 v8, 0x7f
	v_mov_b32_e32 v6, 0x7f
	s_and_saveexec_b64 s[6:7], vcc
	s_cbranch_execz .LBB84_133
; %bb.128:                              ;   in Loop: Header=BB84_65 Depth=1
	v_cmp_lt_u32_e32 vcc, s24, v21
                                        ; implicit-def: $vgpr6
	s_and_saveexec_b64 s[8:9], vcc
	s_xor_b64 s[8:9], exec, s[8:9]
; %bb.129:                              ;   in Loop: Header=BB84_65 Depth=1
	v_bfe_u32 v6, v20, 20, 1
	v_add3_u32 v6, v20, v6, s25
	v_lshrrev_b32_e32 v6, 20, v6
; %bb.130:                              ;   in Loop: Header=BB84_65 Depth=1
	s_andn2_saveexec_b64 s[8:9], s[8:9]
; %bb.131:                              ;   in Loop: Header=BB84_65 Depth=1
	v_add_f32_e64 v6, |v20|, s26
; %bb.132:                              ;   in Loop: Header=BB84_65 Depth=1
	s_or_b64 exec, exec, s[8:9]
.LBB84_133:                             ;   in Loop: Header=BB84_65 Depth=1
	s_or_b64 exec, exec, s[6:7]
	v_and_b32_e32 v7, 0xffff0000, v7
	v_mul_f32_e32 v7, v36, v7
	v_bfe_u32 v21, v7, 16, 1
	v_add3_u32 v21, v7, v21, s22
	v_and_b32_e32 v21, 0xffff0000, v21
	v_cmp_o_f32_e32 vcc, v7, v7
	v_cndmask_b32_e32 v7, v15, v21, vcc
	v_and_b32_e32 v9, 0xffff0000, v9
	v_mul_f32_e32 v7, v7, v9
	v_bfe_u32 v9, v7, 16, 1
	v_add3_u32 v9, v7, v9, s22
	v_and_b32_e32 v9, 0xffff0000, v9
	v_cmp_o_f32_e32 vcc, v7, v7
	v_cndmask_b32_e32 v7, v15, v9, vcc
	v_div_scale_f32 v9, s[6:7], v16, v16, v7
	v_rcp_f32_e32 v21, v9
	v_fma_f32 v22, -v9, v21, 1.0
	v_fmac_f32_e32 v21, v22, v21
	v_div_scale_f32 v22, vcc, v7, v16, v7
	v_mul_f32_e32 v23, v22, v21
	v_fma_f32 v24, -v9, v23, v22
	v_fmac_f32_e32 v23, v24, v21
	v_fma_f32 v9, -v9, v23, v22
	v_div_fmas_f32 v9, v9, v21, v23
	v_div_fixup_f32 v7, v9, v16, v7
	v_min_f32_e32 v7, 0x43e00000, v7
	v_max_f32_e32 v7, 0xc3e00000, v7
	v_and_b32_e32 v9, 0x7fffffff, v7
	v_cmp_gt_u32_e32 vcc, s23, v9
	s_and_saveexec_b64 s[6:7], vcc
	s_cbranch_execz .LBB84_139
; %bb.134:                              ;   in Loop: Header=BB84_65 Depth=1
	v_cmp_lt_u32_e32 vcc, s24, v9
                                        ; implicit-def: $vgpr8
	s_and_saveexec_b64 s[8:9], vcc
	s_xor_b64 s[8:9], exec, s[8:9]
; %bb.135:                              ;   in Loop: Header=BB84_65 Depth=1
	v_bfe_u32 v8, v7, 20, 1
	v_add3_u32 v8, v7, v8, s25
	v_lshrrev_b32_e32 v8, 20, v8
; %bb.136:                              ;   in Loop: Header=BB84_65 Depth=1
	s_andn2_saveexec_b64 s[8:9], s[8:9]
; %bb.137:                              ;   in Loop: Header=BB84_65 Depth=1
	v_add_f32_e64 v8, |v7|, s26
; %bb.138:                              ;   in Loop: Header=BB84_65 Depth=1
	s_or_b64 exec, exec, s[8:9]
.LBB84_139:                             ;   in Loop: Header=BB84_65 Depth=1
	s_or_b64 exec, exec, s[6:7]
	v_and_b32_sdwa v9, v20, s27 dst_sel:DWORD dst_unused:UNUSED_PAD src0_sel:BYTE_3 src1_sel:DWORD
	v_and_or_b32 v6, v6, s28, v9
	v_and_b32_sdwa v16, v19, s27 dst_sel:DWORD dst_unused:UNUSED_PAD src0_sel:BYTE_3 src1_sel:DWORD
	v_lshlrev_b64 v[4:5], 2, v[4:5]
	v_lshlrev_b32_e32 v8, 24, v8
	v_and_b32_e32 v7, 0x80000000, v7
	v_lshlrev_b32_e32 v6, 16, v6
	v_lshrrev_b32_e32 v18, 24, v18
	v_mov_b32_e32 v19, s13
	v_add_co_u32_e32 v4, vcc, s12, v4
	v_or3_b32 v6, v7, v8, v6
	v_and_or_b32 v3, v3, s28, v16
	v_and_b32_e32 v7, 0xff, v17
	v_addc_co_u32_e32 v5, vcc, v19, v5, vcc
	v_lshlrev_b32_e32 v3, 8, v3
	v_and_or_b32 v7, v18, s27, v7
	v_add_u32_e32 v0, s20, v0
	v_or3_b32 v3, v6, v3, v7
	v_cmp_gt_u32_e32 vcc, s18, v0
	s_mov_b64 s[8:9], -1
	global_store_dword v[4:5], v3, off
	s_and_saveexec_b64 s[6:7], vcc
	s_cbranch_execz .LBB84_62
; %bb.140:                              ;   in Loop: Header=BB84_65 Depth=1
	v_lshlrev_b64 v[6:7], 3, v[0:1]
	v_mov_b32_e32 v3, s42
	v_add_co_u32_e32 v4, vcc, s33, v6
	v_addc_co_u32_e32 v5, vcc, v3, v7, vcc
	global_load_dwordx2 v[4:5], v[4:5], off
	v_mov_b32_e32 v3, s15
	v_add_co_u32_e32 v6, vcc, s14, v6
	v_addc_co_u32_e32 v7, vcc, v3, v7, vcc
	v_bfe_u32 v3, v0, 4, 26
	v_mad_u64_u32 v[8:9], s[8:9], v10, v3, 0
	global_load_dwordx2 v[6:7], v[6:7], off
	v_mov_b32_e32 v16, v9
	v_mad_u64_u32 v[16:17], s[8:9], v11, v3, v[16:17]
	v_mov_b32_e32 v9, v16
	v_lshlrev_b64 v[8:9], 2, v[8:9]
	v_mov_b32_e32 v3, s19
	v_add_co_u32_e32 v8, vcc, s17, v8
	v_addc_co_u32_e32 v9, vcc, v3, v9, vcc
	global_load_dword v8, v[8:9], off
	s_waitcnt vmcnt(2)
	v_lshlrev_b32_e32 v3, 16, v4
	v_mul_f32_e32 v3, v36, v3
	v_bfe_u32 v16, v3, 16, 1
	v_add3_u32 v16, v3, v16, s22
	v_and_b32_e32 v16, 0xffff0000, v16
	v_cmp_o_f32_e32 vcc, v3, v3
	v_cndmask_b32_e32 v3, v15, v16, vcc
	s_waitcnt vmcnt(1)
	v_lshlrev_b32_e32 v9, 16, v6
	v_mul_f32_e32 v3, v3, v9
	v_bfe_u32 v9, v3, 16, 1
	v_add3_u32 v9, v3, v9, s22
	v_and_b32_e32 v9, 0xffff0000, v9
	v_cmp_o_f32_e32 vcc, v3, v3
	v_cndmask_b32_e32 v9, v15, v9, vcc
	v_mov_b32_e32 v3, 0x7f
	s_waitcnt vmcnt(0)
	v_div_scale_f32 v16, s[8:9], v8, v8, v9
	v_rcp_f32_e32 v17, v16
	v_div_scale_f32 v18, vcc, v9, v8, v9
	v_fma_f32 v19, -v16, v17, 1.0
	v_fmac_f32_e32 v17, v19, v17
	v_mul_f32_e32 v19, v18, v17
	v_fma_f32 v20, -v16, v19, v18
	v_fmac_f32_e32 v19, v20, v17
	v_fma_f32 v16, -v16, v19, v18
	v_div_fmas_f32 v16, v16, v17, v19
	v_div_fixup_f32 v9, v16, v8, v9
	v_min_f32_e32 v9, 0x43e00000, v9
	v_max_f32_e32 v16, 0xc3e00000, v9
	v_and_b32_e32 v17, 0x7fffffff, v16
	v_cmp_gt_u32_e32 vcc, s23, v17
	v_mov_b32_e32 v9, 0x7f
	s_and_saveexec_b64 s[8:9], vcc
	s_cbranch_execz .LBB84_146
; %bb.141:                              ;   in Loop: Header=BB84_65 Depth=1
	v_cmp_lt_u32_e32 vcc, s24, v17
                                        ; implicit-def: $vgpr9
	s_and_saveexec_b64 s[10:11], vcc
	s_xor_b64 s[10:11], exec, s[10:11]
; %bb.142:                              ;   in Loop: Header=BB84_65 Depth=1
	v_bfe_u32 v9, v16, 20, 1
	v_add3_u32 v9, v16, v9, s25
	v_lshrrev_b32_e32 v9, 20, v9
; %bb.143:                              ;   in Loop: Header=BB84_65 Depth=1
	s_andn2_saveexec_b64 s[10:11], s[10:11]
; %bb.144:                              ;   in Loop: Header=BB84_65 Depth=1
	v_add_f32_e64 v9, |v16|, s26
; %bb.145:                              ;   in Loop: Header=BB84_65 Depth=1
	s_or_b64 exec, exec, s[10:11]
.LBB84_146:                             ;   in Loop: Header=BB84_65 Depth=1
	s_or_b64 exec, exec, s[8:9]
	v_and_b32_e32 v17, 0xffff0000, v4
	v_mul_f32_e32 v17, v36, v17
	v_bfe_u32 v19, v17, 16, 1
	v_add3_u32 v19, v17, v19, s22
	v_and_b32_e32 v19, 0xffff0000, v19
	v_cmp_o_f32_e32 vcc, v17, v17
	v_and_b32_e32 v18, 0xffff0000, v6
	v_cndmask_b32_e32 v17, v15, v19, vcc
	v_mul_f32_e32 v17, v17, v18
	v_bfe_u32 v18, v17, 16, 1
	v_add3_u32 v18, v17, v18, s22
	v_and_b32_e32 v18, 0xffff0000, v18
	v_cmp_o_f32_e32 vcc, v17, v17
	v_cndmask_b32_e32 v17, v15, v18, vcc
	v_div_scale_f32 v18, s[8:9], v8, v8, v17
	v_rcp_f32_e32 v19, v18
	v_fma_f32 v20, -v18, v19, 1.0
	v_fmac_f32_e32 v19, v20, v19
	v_div_scale_f32 v20, vcc, v17, v8, v17
	v_mul_f32_e32 v21, v20, v19
	v_fma_f32 v22, -v18, v21, v20
	v_fmac_f32_e32 v21, v22, v19
	v_fma_f32 v18, -v18, v21, v20
	v_div_fmas_f32 v18, v18, v19, v21
	v_div_fixup_f32 v17, v18, v8, v17
	v_min_f32_e32 v17, 0x43e00000, v17
	v_max_f32_e32 v17, 0xc3e00000, v17
	v_and_b32_e32 v18, 0x7fffffff, v17
	v_cmp_gt_u32_e32 vcc, s23, v18
	s_and_saveexec_b64 s[8:9], vcc
	s_cbranch_execz .LBB84_152
; %bb.147:                              ;   in Loop: Header=BB84_65 Depth=1
	v_cmp_lt_u32_e32 vcc, s24, v18
                                        ; implicit-def: $vgpr3
	s_and_saveexec_b64 s[10:11], vcc
	s_xor_b64 s[10:11], exec, s[10:11]
; %bb.148:                              ;   in Loop: Header=BB84_65 Depth=1
	v_bfe_u32 v3, v17, 20, 1
	v_add3_u32 v3, v17, v3, s25
	v_lshrrev_b32_e32 v3, 20, v3
; %bb.149:                              ;   in Loop: Header=BB84_65 Depth=1
	s_andn2_saveexec_b64 s[10:11], s[10:11]
; %bb.150:                              ;   in Loop: Header=BB84_65 Depth=1
	v_add_f32_e64 v3, |v17|, s26
; %bb.151:                              ;   in Loop: Header=BB84_65 Depth=1
	s_or_b64 exec, exec, s[10:11]
.LBB84_152:                             ;   in Loop: Header=BB84_65 Depth=1
	s_or_b64 exec, exec, s[8:9]
	v_alignbit_b32 v4, v5, v4, 16
	v_and_b32_e32 v4, 0xffff0000, v4
	v_mul_f32_e32 v4, v36, v4
	v_bfe_u32 v18, v4, 16, 1
	v_add3_u32 v18, v4, v18, s22
	v_and_b32_e32 v18, 0xffff0000, v18
	v_cmp_o_f32_e32 vcc, v4, v4
	v_alignbit_b32 v6, v7, v6, 16
	v_cndmask_b32_e32 v4, v15, v18, vcc
	v_and_b32_e32 v6, 0xffff0000, v6
	v_mul_f32_e32 v4, v4, v6
	v_bfe_u32 v6, v4, 16, 1
	v_add3_u32 v6, v4, v6, s22
	v_and_b32_e32 v6, 0xffff0000, v6
	v_cmp_o_f32_e32 vcc, v4, v4
	v_cndmask_b32_e32 v4, v15, v6, vcc
	v_div_scale_f32 v6, s[8:9], v8, v8, v4
	v_rcp_f32_e32 v18, v6
	v_fma_f32 v19, -v6, v18, 1.0
	v_fmac_f32_e32 v18, v19, v18
	v_div_scale_f32 v19, vcc, v4, v8, v4
	v_mul_f32_e32 v20, v19, v18
	v_fma_f32 v21, -v6, v20, v19
	v_fmac_f32_e32 v20, v21, v18
	v_fma_f32 v6, -v6, v20, v19
	v_div_fmas_f32 v6, v6, v18, v20
	v_div_fixup_f32 v4, v6, v8, v4
	v_min_f32_e32 v4, 0x43e00000, v4
	v_max_f32_e32 v18, 0xc3e00000, v4
	v_and_b32_e32 v19, 0x7fffffff, v18
	v_cmp_gt_u32_e32 vcc, s23, v19
	v_mov_b32_e32 v6, 0x7f
	v_mov_b32_e32 v4, 0x7f
	s_and_saveexec_b64 s[8:9], vcc
	s_cbranch_execz .LBB84_158
; %bb.153:                              ;   in Loop: Header=BB84_65 Depth=1
	v_cmp_lt_u32_e32 vcc, s24, v19
                                        ; implicit-def: $vgpr4
	s_and_saveexec_b64 s[10:11], vcc
	s_xor_b64 s[10:11], exec, s[10:11]
; %bb.154:                              ;   in Loop: Header=BB84_65 Depth=1
	v_bfe_u32 v4, v18, 20, 1
	v_add3_u32 v4, v18, v4, s25
	v_lshrrev_b32_e32 v4, 20, v4
; %bb.155:                              ;   in Loop: Header=BB84_65 Depth=1
	s_andn2_saveexec_b64 s[10:11], s[10:11]
; %bb.156:                              ;   in Loop: Header=BB84_65 Depth=1
	v_add_f32_e64 v4, |v18|, s26
; %bb.157:                              ;   in Loop: Header=BB84_65 Depth=1
	s_or_b64 exec, exec, s[10:11]
.LBB84_158:                             ;   in Loop: Header=BB84_65 Depth=1
	s_or_b64 exec, exec, s[8:9]
	v_and_b32_e32 v5, 0xffff0000, v5
	v_mul_f32_e32 v5, v36, v5
	v_bfe_u32 v19, v5, 16, 1
	v_add3_u32 v19, v5, v19, s22
	v_and_b32_e32 v19, 0xffff0000, v19
	v_cmp_o_f32_e32 vcc, v5, v5
	v_cndmask_b32_e32 v5, v15, v19, vcc
	v_and_b32_e32 v7, 0xffff0000, v7
	v_mul_f32_e32 v5, v5, v7
	v_bfe_u32 v7, v5, 16, 1
	v_add3_u32 v7, v5, v7, s22
	v_and_b32_e32 v7, 0xffff0000, v7
	v_cmp_o_f32_e32 vcc, v5, v5
	v_cndmask_b32_e32 v5, v15, v7, vcc
	v_div_scale_f32 v7, s[8:9], v8, v8, v5
	v_rcp_f32_e32 v19, v7
	v_fma_f32 v20, -v7, v19, 1.0
	v_fmac_f32_e32 v19, v20, v19
	v_div_scale_f32 v20, vcc, v5, v8, v5
	v_mul_f32_e32 v21, v20, v19
	v_fma_f32 v22, -v7, v21, v20
	v_fmac_f32_e32 v21, v22, v19
	v_fma_f32 v7, -v7, v21, v20
	v_div_fmas_f32 v7, v7, v19, v21
	v_div_fixup_f32 v5, v7, v8, v5
	v_min_f32_e32 v5, 0x43e00000, v5
	v_max_f32_e32 v5, 0xc3e00000, v5
	v_and_b32_e32 v7, 0x7fffffff, v5
	v_cmp_gt_u32_e32 vcc, s23, v7
	s_and_saveexec_b64 s[8:9], vcc
	s_cbranch_execz .LBB84_61
; %bb.159:                              ;   in Loop: Header=BB84_65 Depth=1
	v_cmp_lt_u32_e32 vcc, s24, v7
                                        ; implicit-def: $vgpr6
	s_and_saveexec_b64 s[10:11], vcc
	s_xor_b64 s[10:11], exec, s[10:11]
; %bb.160:                              ;   in Loop: Header=BB84_65 Depth=1
	v_bfe_u32 v6, v5, 20, 1
	v_add3_u32 v6, v5, v6, s25
	v_lshrrev_b32_e32 v6, 20, v6
; %bb.161:                              ;   in Loop: Header=BB84_65 Depth=1
	s_andn2_saveexec_b64 s[10:11], s[10:11]
	s_cbranch_execz .LBB84_60
; %bb.162:                              ;   in Loop: Header=BB84_65 Depth=1
	v_add_f32_e64 v6, |v5|, s26
	s_branch .LBB84_60
.LBB84_163:
	s_endpgm
.LBB84_164:
                                        ; implicit-def: $vgpr4_vgpr5
	s_andn2_b64 vcc, exec, s[26:27]
	s_cbranch_vccz .LBB84_53
	s_branch .LBB84_54
.LBB84_165:
                                        ; implicit-def: $vgpr2_vgpr3
	s_andn2_b64 vcc, exec, s[22:23]
	s_cbranch_vccz .LBB84_58
	s_branch .LBB84_59
	.section	.rodata,"a",@progbits
	.p2align	6, 0x0
	.amdhsa_kernel _ZN4vllm31rms_norm_per_block_quant_kernelIN3c108BFloat16ENS1_13Float8_e4m3fnELb0ELb1ELi64EEEvPT0_PfPKT_S9_PKffiiPS7_l
		.amdhsa_group_segment_fixed_size 4164
		.amdhsa_private_segment_fixed_size 0
		.amdhsa_kernarg_size 328
		.amdhsa_user_sgpr_count 6
		.amdhsa_user_sgpr_private_segment_buffer 1
		.amdhsa_user_sgpr_dispatch_ptr 0
		.amdhsa_user_sgpr_queue_ptr 0
		.amdhsa_user_sgpr_kernarg_segment_ptr 1
		.amdhsa_user_sgpr_dispatch_id 0
		.amdhsa_user_sgpr_flat_scratch_init 0
		.amdhsa_user_sgpr_kernarg_preload_length 0
		.amdhsa_user_sgpr_kernarg_preload_offset 0
		.amdhsa_user_sgpr_private_segment_size 0
		.amdhsa_uses_dynamic_stack 0
		.amdhsa_system_sgpr_private_segment_wavefront_offset 0
		.amdhsa_system_sgpr_workgroup_id_x 1
		.amdhsa_system_sgpr_workgroup_id_y 0
		.amdhsa_system_sgpr_workgroup_id_z 0
		.amdhsa_system_sgpr_workgroup_info 0
		.amdhsa_system_vgpr_workitem_id 0
		.amdhsa_next_free_vgpr 48
		.amdhsa_next_free_sgpr 45
		.amdhsa_accum_offset 48
		.amdhsa_reserve_vcc 1
		.amdhsa_reserve_flat_scratch 0
		.amdhsa_float_round_mode_32 0
		.amdhsa_float_round_mode_16_64 0
		.amdhsa_float_denorm_mode_32 3
		.amdhsa_float_denorm_mode_16_64 3
		.amdhsa_dx10_clamp 1
		.amdhsa_ieee_mode 1
		.amdhsa_fp16_overflow 0
		.amdhsa_tg_split 0
		.amdhsa_exception_fp_ieee_invalid_op 0
		.amdhsa_exception_fp_denorm_src 0
		.amdhsa_exception_fp_ieee_div_zero 0
		.amdhsa_exception_fp_ieee_overflow 0
		.amdhsa_exception_fp_ieee_underflow 0
		.amdhsa_exception_fp_ieee_inexact 0
		.amdhsa_exception_int_div_zero 0
	.end_amdhsa_kernel
	.section	.text._ZN4vllm31rms_norm_per_block_quant_kernelIN3c108BFloat16ENS1_13Float8_e4m3fnELb0ELb1ELi64EEEvPT0_PfPKT_S9_PKffiiPS7_l,"axG",@progbits,_ZN4vllm31rms_norm_per_block_quant_kernelIN3c108BFloat16ENS1_13Float8_e4m3fnELb0ELb1ELi64EEEvPT0_PfPKT_S9_PKffiiPS7_l,comdat
.Lfunc_end84:
	.size	_ZN4vllm31rms_norm_per_block_quant_kernelIN3c108BFloat16ENS1_13Float8_e4m3fnELb0ELb1ELi64EEEvPT0_PfPKT_S9_PKffiiPS7_l, .Lfunc_end84-_ZN4vllm31rms_norm_per_block_quant_kernelIN3c108BFloat16ENS1_13Float8_e4m3fnELb0ELb1ELi64EEEvPT0_PfPKT_S9_PKffiiPS7_l
                                        ; -- End function
	.section	.AMDGPU.csdata,"",@progbits
; Kernel info:
; codeLenInByte = 12408
; NumSgprs: 49
; NumVgprs: 48
; NumAgprs: 0
; TotalNumVgprs: 48
; ScratchSize: 0
; MemoryBound: 0
; FloatMode: 240
; IeeeMode: 1
; LDSByteSize: 4164 bytes/workgroup (compile time only)
; SGPRBlocks: 6
; VGPRBlocks: 5
; NumSGPRsForWavesPerEU: 49
; NumVGPRsForWavesPerEU: 48
; AccumOffset: 48
; Occupancy: 8
; WaveLimiterHint : 0
; COMPUTE_PGM_RSRC2:SCRATCH_EN: 0
; COMPUTE_PGM_RSRC2:USER_SGPR: 6
; COMPUTE_PGM_RSRC2:TRAP_HANDLER: 0
; COMPUTE_PGM_RSRC2:TGID_X_EN: 1
; COMPUTE_PGM_RSRC2:TGID_Y_EN: 0
; COMPUTE_PGM_RSRC2:TGID_Z_EN: 0
; COMPUTE_PGM_RSRC2:TIDIG_COMP_CNT: 0
; COMPUTE_PGM_RSRC3_GFX90A:ACCUM_OFFSET: 11
; COMPUTE_PGM_RSRC3_GFX90A:TG_SPLIT: 0
	.section	.text._ZN4vllm31rms_norm_per_block_quant_kernelIN3c108BFloat16ENS1_15Float8_e4m3fnuzELb0ELb1ELi64EEEvPT0_PfPKT_S9_PKffiiPS7_l,"axG",@progbits,_ZN4vllm31rms_norm_per_block_quant_kernelIN3c108BFloat16ENS1_15Float8_e4m3fnuzELb0ELb1ELi64EEEvPT0_PfPKT_S9_PKffiiPS7_l,comdat
	.protected	_ZN4vllm31rms_norm_per_block_quant_kernelIN3c108BFloat16ENS1_15Float8_e4m3fnuzELb0ELb1ELi64EEEvPT0_PfPKT_S9_PKffiiPS7_l ; -- Begin function _ZN4vllm31rms_norm_per_block_quant_kernelIN3c108BFloat16ENS1_15Float8_e4m3fnuzELb0ELb1ELi64EEEvPT0_PfPKT_S9_PKffiiPS7_l
	.globl	_ZN4vllm31rms_norm_per_block_quant_kernelIN3c108BFloat16ENS1_15Float8_e4m3fnuzELb0ELb1ELi64EEEvPT0_PfPKT_S9_PKffiiPS7_l
	.p2align	8
	.type	_ZN4vllm31rms_norm_per_block_quant_kernelIN3c108BFloat16ENS1_15Float8_e4m3fnuzELb0ELb1ELi64EEEvPT0_PfPKT_S9_PKffiiPS7_l,@function
_ZN4vllm31rms_norm_per_block_quant_kernelIN3c108BFloat16ENS1_15Float8_e4m3fnuzELb0ELb1ELi64EEEvPT0_PfPKT_S9_PKffiiPS7_l: ; @_ZN4vllm31rms_norm_per_block_quant_kernelIN3c108BFloat16ENS1_15Float8_e4m3fnuzELb0ELb1ELi64EEEvPT0_PfPKT_S9_PKffiiPS7_l
; %bb.0:
	s_load_dwordx4 s[16:19], s[4:5], 0x28
	s_load_dwordx8 s[8:15], s[4:5], 0x0
	s_load_dword s43, s[4:5], 0x48
	s_mov_b32 s7, 0
	v_mov_b32_e32 v1, 0
	s_waitcnt lgkmcnt(0)
	s_ashr_i32 s0, s18, 31
	s_mul_hi_u32 s1, s18, s6
	s_mul_i32 s0, s0, s6
	s_add_i32 s1, s1, s0
	s_mul_i32 s0, s18, s6
	s_lshl_b64 s[28:29], s[0:1], 1
	s_add_u32 s33, s12, s28
	s_addc_u32 s42, s13, s29
	s_ashr_i32 s18, s17, 2
	s_add_u32 s24, s4, 0x48
	s_mov_b32 s20, s17
	v_cmp_gt_u32_e64 s[0:1], s18, v0
	s_addc_u32 s25, s5, 0
	s_and_saveexec_b64 s[2:3], s[0:1]
	s_cbranch_execz .LBB85_10
; %bb.1:
	s_cmp_lt_u32 s6, s43
	s_cselect_b32 s19, 12, 18
	s_add_u32 s22, s24, s19
	s_addc_u32 s23, s25, 0
	v_mov_b32_e32 v3, 0
	global_load_ushort v8, v3, s[22:23]
	s_mov_b64 s[22:23], 0
	v_mov_b32_e32 v9, s42
	v_mov_b32_e32 v2, v0
                                        ; implicit-def: $sgpr26_sgpr27
	s_waitcnt vmcnt(0)
	v_add_u32_e32 v1, v8, v8
	v_mul_lo_u32 v10, v8, 3
	v_lshlrev_b32_e32 v11, 1, v8
	v_add_u32_e32 v12, v1, v8
	v_mov_b32_e32 v1, v3
	s_branch .LBB85_5
.LBB85_2:                               ;   in Loop: Header=BB85_5 Depth=1
	s_or_b64 exec, exec, s[36:37]
	s_orn2_b64 s[36:37], s[38:39], exec
.LBB85_3:                               ;   in Loop: Header=BB85_5 Depth=1
	s_or_b64 exec, exec, s[34:35]
	s_andn2_b64 s[26:27], s[26:27], exec
	s_and_b64 s[34:35], s[36:37], exec
	s_or_b64 s[26:27], s[26:27], s[34:35]
.LBB85_4:                               ;   in Loop: Header=BB85_5 Depth=1
	s_or_b64 exec, exec, s[30:31]
	s_and_b64 s[30:31], exec, s[26:27]
	s_or_b64 s[22:23], s[30:31], s[22:23]
	s_andn2_b64 exec, exec, s[22:23]
	s_cbranch_execz .LBB85_9
.LBB85_5:                               ; =>This Inner Loop Header: Depth=1
	v_lshlrev_b64 v[4:5], 3, v[2:3]
	v_add_co_u32_e32 v4, vcc, s33, v4
	v_addc_co_u32_e32 v5, vcc, v9, v5, vcc
	global_load_dwordx2 v[6:7], v[4:5], off
	v_add_u32_e32 v4, v2, v8
	v_cmp_gt_u32_e32 vcc, s18, v4
	s_or_b64 s[26:27], s[26:27], exec
	s_waitcnt vmcnt(0)
	v_lshlrev_b32_e32 v13, 16, v6
	v_and_b32_e32 v5, 0xffff0000, v6
	v_alignbit_b32 v6, v7, v6, 16
	v_fmac_f32_e32 v1, v13, v13
	v_and_b32_e32 v6, 0xffff0000, v6
	v_fmac_f32_e32 v1, v5, v5
	v_and_b32_e32 v7, 0xffff0000, v7
	v_fmac_f32_e32 v1, v6, v6
	v_fmac_f32_e32 v1, v7, v7
	s_and_saveexec_b64 s[30:31], vcc
	s_cbranch_execz .LBB85_4
; %bb.6:                                ;   in Loop: Header=BB85_5 Depth=1
	v_mov_b32_e32 v5, v3
	v_lshlrev_b64 v[6:7], 3, v[4:5]
	v_add_co_u32_e32 v6, vcc, s33, v6
	v_addc_co_u32_e32 v7, vcc, v9, v7, vcc
	global_load_dwordx2 v[14:15], v[6:7], off
	v_add_u32_e32 v6, v11, v2
	v_cmp_gt_u32_e32 vcc, s18, v6
	s_mov_b64 s[36:37], -1
	s_waitcnt vmcnt(0)
	v_lshlrev_b32_e32 v7, 16, v14
	v_and_b32_e32 v5, 0xffff0000, v14
	v_alignbit_b32 v13, v15, v14, 16
	v_fmac_f32_e32 v1, v7, v7
	v_and_b32_e32 v13, 0xffff0000, v13
	v_fmac_f32_e32 v1, v5, v5
	v_and_b32_e32 v14, 0xffff0000, v15
	v_fmac_f32_e32 v1, v13, v13
	v_fmac_f32_e32 v1, v14, v14
	s_and_saveexec_b64 s[34:35], vcc
	s_cbranch_execz .LBB85_3
; %bb.7:                                ;   in Loop: Header=BB85_5 Depth=1
	v_mov_b32_e32 v7, v3
	v_lshlrev_b64 v[6:7], 3, v[6:7]
	v_add_co_u32_e32 v6, vcc, s33, v6
	v_addc_co_u32_e32 v7, vcc, v9, v7, vcc
	global_load_dwordx2 v[6:7], v[6:7], off
	v_add_u32_e32 v2, v10, v2
	v_cmp_gt_u32_e32 vcc, s18, v2
	s_mov_b64 s[38:39], -1
	s_waitcnt vmcnt(0)
	v_lshlrev_b32_e32 v13, 16, v6
	v_and_b32_e32 v5, 0xffff0000, v6
	v_alignbit_b32 v6, v7, v6, 16
	v_fmac_f32_e32 v1, v13, v13
	v_and_b32_e32 v6, 0xffff0000, v6
	v_fmac_f32_e32 v1, v5, v5
	v_and_b32_e32 v7, 0xffff0000, v7
	v_fmac_f32_e32 v1, v6, v6
	v_fmac_f32_e32 v1, v7, v7
	s_and_saveexec_b64 s[36:37], vcc
	s_xor_b64 s[36:37], exec, s[36:37]
	s_cbranch_execz .LBB85_2
; %bb.8:                                ;   in Loop: Header=BB85_5 Depth=1
	v_lshlrev_b64 v[6:7], 3, v[2:3]
	v_add_co_u32_e32 v6, vcc, s33, v6
	v_addc_co_u32_e32 v7, vcc, v9, v7, vcc
	global_load_dwordx2 v[6:7], v[6:7], off
	v_add_u32_e32 v2, v12, v4
	v_cmp_le_u32_e32 vcc, s18, v2
	s_orn2_b64 s[38:39], vcc, exec
	s_waitcnt vmcnt(0)
	v_lshlrev_b32_e32 v5, 16, v6
	v_and_b32_e32 v4, 0xffff0000, v6
	v_alignbit_b32 v6, v7, v6, 16
	v_fmac_f32_e32 v1, v5, v5
	v_and_b32_e32 v6, 0xffff0000, v6
	v_fmac_f32_e32 v1, v4, v4
	v_and_b32_e32 v7, 0xffff0000, v7
	v_fmac_f32_e32 v1, v6, v6
	v_fmac_f32_e32 v1, v7, v7
	s_branch .LBB85_2
.LBB85_9:
	s_or_b64 exec, exec, s[22:23]
.LBB85_10:
	s_or_b64 exec, exec, s[2:3]
	v_mbcnt_lo_u32_b32 v2, -1, 0
	v_mbcnt_hi_u32_b32 v2, -1, v2
	v_and_b32_e32 v3, 63, v2
	v_cmp_ne_u32_e32 vcc, 63, v3
	s_load_dword s2, s[24:25], 0xc
	v_addc_co_u32_e32 v4, vcc, 0, v2, vcc
	v_lshlrev_b32_e32 v4, 2, v4
	ds_bpermute_b32 v4, v4, v1
	s_waitcnt lgkmcnt(0)
	s_and_b32 s19, s2, 0xffff
	v_and_b32_e32 v5, 0x3c0, v0
	v_sub_u32_e64 v5, s19, v5 clamp
	v_add_u32_e32 v6, 1, v2
	v_add_f32_e32 v4, v1, v4
	v_cmp_lt_u32_e32 vcc, v6, v5
	v_cndmask_b32_e32 v1, v1, v4, vcc
	v_cmp_gt_u32_e32 vcc, 62, v3
	v_cndmask_b32_e64 v4, 0, 1, vcc
	v_lshlrev_b32_e32 v4, 1, v4
	v_add_lshl_u32 v4, v4, v2, 2
	ds_bpermute_b32 v4, v4, v1
	v_add_u32_e32 v6, 2, v2
	v_cmp_lt_u32_e32 vcc, v6, v5
	v_add_u32_e32 v6, 4, v2
	s_waitcnt lgkmcnt(0)
	v_add_f32_e32 v4, v1, v4
	v_cndmask_b32_e32 v1, v1, v4, vcc
	v_cmp_gt_u32_e32 vcc, 60, v3
	v_cndmask_b32_e64 v4, 0, 1, vcc
	v_lshlrev_b32_e32 v4, 2, v4
	v_add_lshl_u32 v4, v4, v2, 2
	ds_bpermute_b32 v4, v4, v1
	v_cmp_lt_u32_e32 vcc, v6, v5
	v_add_u32_e32 v6, 8, v2
	s_waitcnt lgkmcnt(0)
	v_add_f32_e32 v4, v1, v4
	v_cndmask_b32_e32 v1, v1, v4, vcc
	v_cmp_gt_u32_e32 vcc, 56, v3
	v_cndmask_b32_e64 v4, 0, 1, vcc
	v_lshlrev_b32_e32 v4, 3, v4
	v_add_lshl_u32 v4, v4, v2, 2
	ds_bpermute_b32 v4, v4, v1
	;; [unrolled: 10-line block ×3, first 2 shown]
	v_cmp_lt_u32_e32 vcc, v6, v5
	s_waitcnt lgkmcnt(0)
	v_add_f32_e32 v4, v1, v4
	v_cndmask_b32_e32 v1, v1, v4, vcc
	v_cmp_gt_u32_e32 vcc, 32, v3
	v_cndmask_b32_e64 v3, 0, 1, vcc
	v_lshlrev_b32_e32 v3, 5, v3
	v_add_lshl_u32 v3, v3, v2, 2
	ds_bpermute_b32 v3, v3, v1
	v_add_u32_e32 v4, 32, v2
	v_cmp_lt_u32_e32 vcc, v4, v5
	s_waitcnt lgkmcnt(0)
	v_add_f32_e32 v3, v1, v3
	v_cndmask_b32_e32 v1, v1, v3, vcc
	v_cmp_eq_u32_e32 vcc, 0, v2
	s_and_saveexec_b64 s[2:3], vcc
	s_cbranch_execz .LBB85_12
; %bb.11:
	v_lshrrev_b32_e32 v3, 4, v0
	v_and_b32_e32 v3, 60, v3
	ds_write_b32 v3, v1 offset:4096
.LBB85_12:
	s_or_b64 exec, exec, s[2:3]
	v_cmp_gt_u32_e32 vcc, 16, v0
	s_waitcnt lgkmcnt(0)
	s_barrier
	s_and_saveexec_b64 s[22:23], vcc
	s_cbranch_execz .LBB85_14
; %bb.13:
	v_lshlrev_b32_e32 v1, 2, v2
	ds_read_b32 v1, v1 offset:4096
	v_and_b32_e32 v3, 15, v2
	v_cmp_ne_u32_e32 vcc, 15, v3
	v_addc_co_u32_e32 v4, vcc, 0, v2, vcc
	v_lshlrev_b32_e32 v4, 2, v4
	s_waitcnt lgkmcnt(0)
	ds_bpermute_b32 v4, v4, v1
	s_add_i32 s19, s19, 63
	s_lshr_b32 s19, s19, 6
	v_add_u32_e32 v5, 1, v3
	v_cmp_gt_u32_e64 s[2:3], 14, v3
	v_cmp_gt_u32_e32 vcc, s19, v5
	v_cndmask_b32_e64 v5, 0, 1, s[2:3]
	s_waitcnt lgkmcnt(0)
	v_add_f32_e32 v4, v1, v4
	v_lshlrev_b32_e32 v5, 1, v5
	v_cndmask_b32_e32 v4, v1, v4, vcc
	v_add_lshl_u32 v5, v5, v2, 2
	ds_bpermute_b32 v5, v5, v4
	v_add_u32_e32 v6, 2, v3
	v_cmp_gt_u32_e64 s[2:3], s19, v6
	v_add_u32_e32 v6, 4, v3
	s_waitcnt lgkmcnt(0)
	v_add_f32_e32 v5, v4, v5
	v_cndmask_b32_e64 v4, v4, v5, s[2:3]
	v_cmp_gt_u32_e64 s[2:3], 12, v3
	v_cndmask_b32_e64 v5, 0, 1, s[2:3]
	v_lshlrev_b32_e32 v5, 2, v5
	v_add_lshl_u32 v5, v5, v2, 2
	ds_bpermute_b32 v5, v5, v4
	v_cmp_gt_u32_e64 s[2:3], s19, v6
	s_waitcnt lgkmcnt(0)
	v_add_f32_e32 v5, v4, v5
	v_cndmask_b32_e64 v4, v4, v5, s[2:3]
	v_cmp_gt_u32_e64 s[2:3], 8, v3
	v_cndmask_b32_e64 v5, 0, 1, s[2:3]
	v_lshlrev_b32_e32 v5, 3, v5
	v_add_lshl_u32 v2, v5, v2, 2
	ds_bpermute_b32 v2, v2, v4
	v_add_u32_e32 v3, 8, v3
	v_cmp_gt_u32_e64 s[2:3], s19, v3
	s_waitcnt lgkmcnt(0)
	v_add_f32_e32 v2, v4, v2
	v_cndmask_b32_e64 v2, v4, v2, s[2:3]
	v_cndmask_b32_e32 v1, v1, v2, vcc
.LBB85_14:
	s_or_b64 exec, exec, s[22:23]
	v_cmp_eq_u32_e32 vcc, 0, v0
	s_and_saveexec_b64 s[2:3], vcc
	s_cbranch_execz .LBB85_16
; %bb.15:
	v_cvt_f32_i32_e32 v2, s17
	s_mov_b32 s19, 0x800000
	v_div_scale_f32 v3, s[22:23], v2, v2, v1
	v_rcp_f32_e32 v4, v3
	v_div_scale_f32 v5, vcc, v1, v2, v1
	v_fma_f32 v6, -v3, v4, 1.0
	v_fmac_f32_e32 v4, v6, v4
	v_mul_f32_e32 v6, v5, v4
	v_fma_f32 v7, -v3, v6, v5
	v_fmac_f32_e32 v6, v7, v4
	v_fma_f32 v3, -v3, v6, v5
	v_div_fmas_f32 v3, v3, v4, v6
	v_div_fixup_f32 v1, v3, v2, v1
	v_add_f32_e32 v1, s16, v1
	v_mul_f32_e32 v2, 0x4b800000, v1
	v_cmp_gt_f32_e32 vcc, s19, v1
	v_cndmask_b32_e32 v1, v1, v2, vcc
	v_rsq_f32_e32 v1, v1
	v_mul_f32_e32 v2, 0x45800000, v1
	v_cndmask_b32_e32 v1, v1, v2, vcc
	v_mov_b32_e32 v2, 0
	ds_write_b32 v2, v1 offset:4160
.LBB85_16:
	s_or_b64 exec, exec, s[2:3]
	s_ashr_i32 s21, s17, 31
	s_lshr_b32 s2, s21, 26
	s_add_i32 s16, s17, s2
	s_ashr_i32 s22, s16, 6
	s_cmp_lt_u32 s6, s43
	s_cselect_b32 s2, 12, 18
	s_add_u32 s2, s24, s2
	v_mov_b32_e32 v5, 0
	s_addc_u32 s3, s25, 0
	s_waitcnt lgkmcnt(0)
	s_barrier
	global_load_ushort v1, v5, s[2:3]
	ds_read_b32 v36, v5 offset:4160
	s_abs_i32 s2, s22
	v_cvt_f32_u32_e32 v2, s2
	s_ashr_i32 s3, s16, 31
	s_sub_i32 s16, 0, s2
	v_mov_b32_e32 v10, s18
	v_rcp_iflag_f32_e32 v2, v2
	v_mul_f32_e32 v2, 0x4f7ffffe, v2
	v_cvt_u32_f32_e32 v2, v2
	v_readfirstlane_b32 s19, v2
	s_mul_i32 s16, s16, s19
	s_mul_hi_u32 s16, s19, s16
	s_add_i32 s19, s19, s16
	s_waitcnt vmcnt(0)
	v_readfirstlane_b32 s16, v1
	s_mul_hi_u32 s19, s16, s19
	s_mul_i32 s23, s19, s2
	s_sub_i32 s23, s16, s23
	s_add_i32 s24, s19, 1
	s_sub_i32 s25, s23, s2
	s_cmp_ge_u32 s23, s2
	s_cselect_b32 s19, s24, s19
	s_cselect_b32 s23, s25, s23
	s_add_i32 s24, s19, 1
	s_cmp_ge_u32 s23, s2
	s_cselect_b32 s2, s24, s19
	s_xor_b32 s2, s2, s3
	s_sub_i32 s24, s2, s3
	s_abs_i32 s2, s24
	v_cvt_f32_u32_e32 v1, s2
	s_sub_i32 s3, 0, s2
	s_ashr_i32 s25, s24, 31
	s_ashr_i32 s19, s18, 31
	v_rcp_iflag_f32_e32 v1, v1
	v_mov_b32_e32 v11, s19
	v_mul_f32_e32 v1, 0x4f7ffffe, v1
	v_cvt_u32_f32_e32 v1, v1
	v_mul_lo_u32 v2, s3, v1
	v_mul_hi_u32 v2, v1, v2
	v_add_u32_e32 v1, v1, v2
	v_mul_hi_u32 v1, v0, v1
	v_mul_lo_u32 v2, v1, s2
	v_sub_u32_e32 v2, v0, v2
	v_add_u32_e32 v3, 1, v1
	v_cmp_le_u32_e32 vcc, s2, v2
	v_cndmask_b32_e32 v1, v1, v3, vcc
	v_subrev_u32_e32 v3, s2, v2
	v_cndmask_b32_e32 v2, v2, v3, vcc
	v_add_u32_e32 v3, 1, v1
	v_cmp_le_u32_e32 vcc, s2, v2
	v_cndmask_b32_e32 v1, v1, v3, vcc
	v_xor_b32_e32 v1, s25, v1
	v_subrev_u32_e32 v2, s25, v1
	v_mul_lo_u32 v1, v2, s24
	v_ashrrev_i32_e32 v3, 31, v2
	v_sub_u32_e32 v4, v0, v1
	v_lshlrev_b64 v[8:9], 4, v[2:3]
	v_add_co_u32_e32 v6, vcc, v8, v4
	v_addc_co_u32_e32 v7, vcc, 0, v9, vcc
	v_add_co_u32_e32 v8, vcc, 16, v8
	v_addc_co_u32_e32 v9, vcc, 0, v9, vcc
	v_cmp_gt_i64_e32 vcc, s[18:19], v[8:9]
	v_cndmask_b32_e32 v8, v10, v8, vcc
	v_cndmask_b32_e32 v9, v11, v9, vcc
	v_ashrrev_i32_e32 v11, 31, v8
	v_mov_b32_e32 v10, v8
	v_cmp_lt_i64_e32 vcc, v[6:7], v[10:11]
	s_and_saveexec_b64 s[26:27], vcc
	s_cbranch_execz .LBB85_26
; %bb.17:
	v_lshlrev_b64 v[28:29], 7, v[2:3]
	s_mul_i32 s23, s24, 24
	v_lshlrev_b64 v[12:13], 3, v[4:5]
	v_mov_b32_e32 v1, s29
	v_add_co_u32_e32 v5, vcc, s28, v28
	s_mul_hi_i32 s19, s24, 24
	s_add_u32 s2, s12, s23
	v_addc_co_u32_e32 v19, vcc, v1, v29, vcc
	s_addc_u32 s3, s13, s19
	v_mov_b32_e32 v1, s3
	v_add_co_u32_e32 v14, vcc, s2, v5
	s_lshl_b64 s[28:29], s[24:25], 5
	s_lshl_b64 s[2:3], s[24:25], 4
	s_add_u32 s30, s12, s2
	v_addc_co_u32_e32 v1, vcc, v1, v19, vcc
	s_addc_u32 s31, s13, s3
	v_mov_b32_e32 v15, s31
	v_add_co_u32_e32 v16, vcc, s30, v5
	s_lshl_b64 s[30:31], s[24:25], 3
	s_add_u32 s34, s12, s30
	v_addc_co_u32_e32 v15, vcc, v15, v19, vcc
	s_addc_u32 s35, s13, s31
	v_mov_b32_e32 v17, s35
	v_add_co_u32_e32 v18, vcc, s34, v5
	v_addc_co_u32_e32 v17, vcc, v17, v19, vcc
	v_mov_b32_e32 v21, s13
	v_add_co_u32_e32 v20, vcc, s12, v5
	s_add_u32 s12, s14, s23
	v_addc_co_u32_e32 v19, vcc, v21, v19, vcc
	s_addc_u32 s13, s15, s19
	v_mov_b32_e32 v5, s13
	v_add_co_u32_e32 v22, vcc, s12, v28
	s_add_u32 s2, s14, s2
	v_addc_co_u32_e32 v21, vcc, v5, v29, vcc
	s_addc_u32 s3, s15, s3
	;; [unrolled: 5-line block ×3, first 2 shown]
	v_mov_b32_e32 v5, s3
	v_add_co_u32_e32 v26, vcc, s2, v28
	v_addc_co_u32_e32 v25, vcc, v5, v29, vcc
	v_mov_b32_e32 v5, s15
	v_add_co_u32_e32 v28, vcc, s14, v28
	v_addc_co_u32_e32 v27, vcc, v5, v29, vcc
	s_mul_hi_i32 s19, s24, 3
	s_mul_i32 s23, s24, 3
	s_lshl_b64 s[30:31], s[24:25], 1
	s_mov_b64 s[12:13], 0
	v_mov_b32_e32 v5, 0
	s_movk_i32 s44, 0x7fff
	v_mov_b32_e32 v29, 0x7fc00000
	v_mov_b32_e32 v34, s25
	v_pk_mov_b32 v[30:31], v[6:7], v[6:7] op_sel:[0,1]
                                        ; implicit-def: $sgpr34_sgpr35
	s_branch .LBB85_21
.LBB85_18:                              ;   in Loop: Header=BB85_21 Depth=1
	s_or_b64 exec, exec, s[2:3]
	s_orn2_b64 s[2:3], s[40:41], exec
.LBB85_19:                              ;   in Loop: Header=BB85_21 Depth=1
	s_or_b64 exec, exec, s[38:39]
	s_andn2_b64 s[34:35], s[34:35], exec
	s_and_b64 s[2:3], s[2:3], exec
	s_or_b64 s[34:35], s[34:35], s[2:3]
.LBB85_20:                              ;   in Loop: Header=BB85_21 Depth=1
	s_or_b64 exec, exec, s[36:37]
	s_and_b64 s[2:3], exec, s[34:35]
	s_or_b64 s[12:13], s[2:3], s[12:13]
	s_andn2_b64 exec, exec, s[12:13]
	s_cbranch_execz .LBB85_25
.LBB85_21:                              ; =>This Inner Loop Header: Depth=1
	v_add_co_u32_e32 v32, vcc, v20, v12
	v_addc_co_u32_e32 v33, vcc, v19, v13, vcc
	global_load_dwordx2 v[38:39], v[32:33], off
	v_add_co_u32_e32 v32, vcc, v28, v12
	v_addc_co_u32_e32 v33, vcc, v27, v13, vcc
	global_load_dwordx2 v[40:41], v[32:33], off
	v_add_co_u32_e32 v32, vcc, s24, v30
	v_addc_co_u32_e32 v33, vcc, v31, v34, vcc
	v_cmp_lt_i64_e32 vcc, v[32:33], v[10:11]
	s_or_b64 s[34:35], s[34:35], exec
	s_waitcnt vmcnt(1)
	v_lshlrev_b32_e32 v42, 16, v38
	v_and_b32_e32 v35, 0xffff0000, v38
	s_waitcnt lgkmcnt(0)
	v_mul_f32_e32 v42, v36, v42
	v_alignbit_b32 v38, v39, v38, 16
	v_and_b32_e32 v39, 0xffff0000, v39
	v_mul_f32_e32 v35, v36, v35
	v_bfe_u32 v44, v42, 16, 1
	v_mul_f32_e32 v39, v36, v39
	v_bfe_u32 v45, v35, 16, 1
	v_add3_u32 v44, v42, v44, s44
	v_and_b32_e32 v38, 0xffff0000, v38
	v_bfe_u32 v46, v39, 16, 1
	v_add3_u32 v45, v35, v45, s44
	v_and_b32_e32 v44, 0xffff0000, v44
	v_cmp_o_f32_e64 s[2:3], v42, v42
	v_mul_f32_e32 v38, v36, v38
	v_add3_u32 v46, v39, v46, s44
	v_and_b32_e32 v45, 0xffff0000, v45
	v_cndmask_b32_e64 v42, v29, v44, s[2:3]
	v_cmp_o_f32_e64 s[2:3], v35, v35
	s_waitcnt vmcnt(0)
	v_lshlrev_b32_e32 v43, 16, v40
	v_bfe_u32 v47, v38, 16, 1
	v_and_b32_e32 v46, 0xffff0000, v46
	v_cndmask_b32_e64 v35, v29, v45, s[2:3]
	v_cmp_o_f32_e64 s[2:3], v39, v39
	v_and_b32_e32 v37, 0xffff0000, v40
	v_alignbit_b32 v40, v41, v40, 16
	v_and_b32_e32 v41, 0xffff0000, v41
	v_add3_u32 v47, v38, v47, s44
	v_cndmask_b32_e64 v39, v29, v46, s[2:3]
	v_mul_f32_e32 v42, v42, v43
	v_and_b32_e32 v44, 0xffff0000, v47
	v_mul_f32_e32 v35, v35, v37
	v_cmp_o_f32_e64 s[2:3], v38, v38
	v_mul_f32_e32 v38, v39, v41
	v_bfe_u32 v39, v42, 16, 1
	v_and_b32_e32 v40, 0xffff0000, v40
	v_cndmask_b32_e64 v37, v29, v44, s[2:3]
	v_bfe_u32 v41, v35, 16, 1
	v_add3_u32 v39, v42, v39, s44
	v_mul_f32_e32 v37, v37, v40
	v_bfe_u32 v40, v38, 16, 1
	v_add3_u32 v41, v35, v41, s44
	v_and_b32_e32 v39, 0xffff0000, v39
	v_cmp_o_f32_e64 s[2:3], v42, v42
	v_bfe_u32 v43, v37, 16, 1
	v_add3_u32 v40, v38, v40, s44
	v_and_b32_e32 v41, 0xffff0000, v41
	v_cndmask_b32_e64 v39, v29, |v39|, s[2:3]
	v_cmp_o_f32_e64 s[2:3], v35, v35
	v_add3_u32 v43, v37, v43, s44
	v_and_b32_e32 v40, 0xffff0000, v40
	v_cndmask_b32_e64 v35, v29, |v41|, s[2:3]
	v_cmp_o_f32_e64 s[2:3], v38, v38
	v_and_b32_e32 v41, 0xffff0000, v43
	v_cndmask_b32_e64 v38, v29, |v40|, s[2:3]
	v_cmp_o_f32_e64 s[2:3], v37, v37
	v_max3_f32 v5, v5, v39, v35
	v_cndmask_b32_e64 v35, v29, |v41|, s[2:3]
	v_max3_f32 v5, v5, v35, v38
	s_and_saveexec_b64 s[36:37], vcc
	s_cbranch_execz .LBB85_20
; %bb.22:                               ;   in Loop: Header=BB85_21 Depth=1
	v_add_co_u32_e32 v38, vcc, v18, v12
	v_addc_co_u32_e32 v39, vcc, v17, v13, vcc
	global_load_dwordx2 v[38:39], v[38:39], off
	v_add_co_u32_e32 v40, vcc, v26, v12
	v_addc_co_u32_e32 v41, vcc, v25, v13, vcc
	global_load_dwordx2 v[40:41], v[40:41], off
	v_mov_b32_e32 v35, s31
	v_add_co_u32_e32 v42, vcc, s30, v30
	v_addc_co_u32_e32 v43, vcc, v35, v31, vcc
	v_cmp_lt_i64_e32 vcc, v[42:43], v[10:11]
	s_waitcnt vmcnt(1)
	v_lshlrev_b32_e32 v42, 16, v38
	v_and_b32_e32 v35, 0xffff0000, v38
	v_mul_f32_e32 v42, v36, v42
	v_alignbit_b32 v38, v39, v38, 16
	v_and_b32_e32 v39, 0xffff0000, v39
	v_mul_f32_e32 v35, v36, v35
	v_bfe_u32 v44, v42, 16, 1
	v_mul_f32_e32 v39, v36, v39
	v_bfe_u32 v45, v35, 16, 1
	v_add3_u32 v44, v42, v44, s44
	v_and_b32_e32 v38, 0xffff0000, v38
	v_bfe_u32 v46, v39, 16, 1
	v_add3_u32 v45, v35, v45, s44
	v_and_b32_e32 v44, 0xffff0000, v44
	v_cmp_o_f32_e64 s[2:3], v42, v42
	v_mul_f32_e32 v38, v36, v38
	v_add3_u32 v46, v39, v46, s44
	v_and_b32_e32 v45, 0xffff0000, v45
	v_cndmask_b32_e64 v42, v29, v44, s[2:3]
	v_cmp_o_f32_e64 s[2:3], v35, v35
	s_waitcnt vmcnt(0)
	v_lshlrev_b32_e32 v43, 16, v40
	v_bfe_u32 v47, v38, 16, 1
	v_and_b32_e32 v46, 0xffff0000, v46
	v_cndmask_b32_e64 v35, v29, v45, s[2:3]
	v_cmp_o_f32_e64 s[2:3], v39, v39
	v_and_b32_e32 v37, 0xffff0000, v40
	v_alignbit_b32 v40, v41, v40, 16
	v_and_b32_e32 v41, 0xffff0000, v41
	v_add3_u32 v47, v38, v47, s44
	v_cndmask_b32_e64 v39, v29, v46, s[2:3]
	v_mul_f32_e32 v42, v42, v43
	v_and_b32_e32 v44, 0xffff0000, v47
	v_mul_f32_e32 v35, v35, v37
	v_cmp_o_f32_e64 s[2:3], v38, v38
	v_mul_f32_e32 v38, v39, v41
	v_bfe_u32 v39, v42, 16, 1
	v_and_b32_e32 v40, 0xffff0000, v40
	v_cndmask_b32_e64 v37, v29, v44, s[2:3]
	v_bfe_u32 v41, v35, 16, 1
	v_add3_u32 v39, v42, v39, s44
	v_mul_f32_e32 v37, v37, v40
	v_bfe_u32 v40, v38, 16, 1
	v_add3_u32 v41, v35, v41, s44
	v_and_b32_e32 v39, 0xffff0000, v39
	v_cmp_o_f32_e64 s[2:3], v42, v42
	v_bfe_u32 v43, v37, 16, 1
	v_add3_u32 v40, v38, v40, s44
	v_and_b32_e32 v41, 0xffff0000, v41
	v_cndmask_b32_e64 v39, v29, |v39|, s[2:3]
	v_cmp_o_f32_e64 s[2:3], v35, v35
	v_add3_u32 v43, v37, v43, s44
	v_and_b32_e32 v40, 0xffff0000, v40
	v_cndmask_b32_e64 v35, v29, |v41|, s[2:3]
	v_cmp_o_f32_e64 s[2:3], v38, v38
	v_and_b32_e32 v41, 0xffff0000, v43
	v_cndmask_b32_e64 v38, v29, |v40|, s[2:3]
	v_cmp_o_f32_e64 s[2:3], v37, v37
	v_max3_f32 v5, v5, v39, v35
	v_cndmask_b32_e64 v35, v29, |v41|, s[2:3]
	v_max3_f32 v5, v5, v35, v38
	s_mov_b64 s[2:3], -1
	s_and_saveexec_b64 s[38:39], vcc
	s_cbranch_execz .LBB85_19
; %bb.23:                               ;   in Loop: Header=BB85_21 Depth=1
	v_add_co_u32_e32 v38, vcc, v16, v12
	v_addc_co_u32_e32 v39, vcc, v15, v13, vcc
	global_load_dwordx2 v[38:39], v[38:39], off
	v_add_co_u32_e32 v40, vcc, v24, v12
	v_addc_co_u32_e32 v41, vcc, v23, v13, vcc
	global_load_dwordx2 v[40:41], v[40:41], off
	v_mov_b32_e32 v35, s19
	v_add_co_u32_e32 v30, vcc, s23, v30
	v_addc_co_u32_e32 v31, vcc, v35, v31, vcc
	v_cmp_lt_i64_e32 vcc, v[30:31], v[10:11]
	s_mov_b64 s[40:41], -1
	s_waitcnt vmcnt(1)
	v_lshlrev_b32_e32 v35, 16, v38
	v_and_b32_e32 v30, 0xffff0000, v38
	v_mul_f32_e32 v35, v36, v35
	v_alignbit_b32 v37, v39, v38, 16
	v_and_b32_e32 v38, 0xffff0000, v39
	v_mul_f32_e32 v30, v36, v30
	v_bfe_u32 v42, v35, 16, 1
	v_mul_f32_e32 v38, v36, v38
	v_bfe_u32 v43, v30, 16, 1
	v_add3_u32 v42, v35, v42, s44
	v_and_b32_e32 v37, 0xffff0000, v37
	v_bfe_u32 v44, v38, 16, 1
	v_add3_u32 v43, v30, v43, s44
	v_and_b32_e32 v42, 0xffff0000, v42
	v_cmp_o_f32_e64 s[2:3], v35, v35
	v_mul_f32_e32 v37, v36, v37
	v_add3_u32 v44, v38, v44, s44
	v_and_b32_e32 v43, 0xffff0000, v43
	v_cndmask_b32_e64 v35, v29, v42, s[2:3]
	v_cmp_o_f32_e64 s[2:3], v30, v30
	s_waitcnt vmcnt(0)
	v_lshlrev_b32_e32 v39, 16, v40
	v_bfe_u32 v45, v37, 16, 1
	v_and_b32_e32 v44, 0xffff0000, v44
	v_cndmask_b32_e64 v30, v29, v43, s[2:3]
	v_cmp_o_f32_e64 s[2:3], v38, v38
	v_and_b32_e32 v31, 0xffff0000, v40
	v_alignbit_b32 v40, v41, v40, 16
	v_and_b32_e32 v41, 0xffff0000, v41
	v_add3_u32 v45, v37, v45, s44
	v_cndmask_b32_e64 v38, v29, v44, s[2:3]
	v_mul_f32_e32 v35, v35, v39
	v_and_b32_e32 v42, 0xffff0000, v45
	v_mul_f32_e32 v30, v30, v31
	v_cmp_o_f32_e64 s[2:3], v37, v37
	v_mul_f32_e32 v37, v38, v41
	v_bfe_u32 v38, v35, 16, 1
	v_and_b32_e32 v40, 0xffff0000, v40
	v_cndmask_b32_e64 v31, v29, v42, s[2:3]
	v_bfe_u32 v39, v30, 16, 1
	v_add3_u32 v38, v35, v38, s44
	v_mul_f32_e32 v31, v31, v40
	v_bfe_u32 v40, v37, 16, 1
	v_add3_u32 v39, v30, v39, s44
	v_and_b32_e32 v38, 0xffff0000, v38
	v_cmp_o_f32_e64 s[2:3], v35, v35
	v_bfe_u32 v41, v31, 16, 1
	v_add3_u32 v40, v37, v40, s44
	v_and_b32_e32 v39, 0xffff0000, v39
	v_cndmask_b32_e64 v35, v29, |v38|, s[2:3]
	v_cmp_o_f32_e64 s[2:3], v30, v30
	v_add3_u32 v41, v31, v41, s44
	v_and_b32_e32 v40, 0xffff0000, v40
	v_cndmask_b32_e64 v30, v29, |v39|, s[2:3]
	v_cmp_o_f32_e64 s[2:3], v37, v37
	v_and_b32_e32 v38, 0xffff0000, v41
	v_cndmask_b32_e64 v37, v29, |v40|, s[2:3]
	v_cmp_o_f32_e64 s[2:3], v31, v31
	v_max3_f32 v5, v5, v35, v30
	v_cndmask_b32_e64 v30, v29, |v38|, s[2:3]
	v_max3_f32 v5, v5, v30, v37
                                        ; implicit-def: $vgpr30_vgpr31
	s_and_saveexec_b64 s[2:3], vcc
	s_xor_b64 s[2:3], exec, s[2:3]
	s_cbranch_execz .LBB85_18
; %bb.24:                               ;   in Loop: Header=BB85_21 Depth=1
	v_add_co_u32_e32 v30, vcc, v14, v12
	v_addc_co_u32_e32 v31, vcc, v1, v13, vcc
	global_load_dwordx2 v[38:39], v[30:31], off
	v_add_co_u32_e32 v30, vcc, v22, v12
	v_addc_co_u32_e32 v31, vcc, v21, v13, vcc
	global_load_dwordx2 v[40:41], v[30:31], off
	v_mov_b32_e32 v35, s29
	v_add_co_u32_e32 v14, vcc, s28, v14
	v_addc_co_u32_e32 v1, vcc, v1, v35, vcc
	v_add_co_u32_e32 v16, vcc, s28, v16
	s_add_u32 s40, s24, s24
	v_addc_co_u32_e32 v15, vcc, v15, v35, vcc
	s_addc_u32 s41, s25, s25
	v_add_co_u32_e32 v18, vcc, s28, v18
	v_addc_co_u32_e32 v17, vcc, v17, v35, vcc
	s_add_u32 s40, s40, s24
	s_addc_u32 s41, s41, s25
	v_add_co_u32_e32 v30, vcc, s40, v32
	v_mov_b32_e32 v31, s41
	v_addc_co_u32_e32 v31, vcc, v31, v33, vcc
	s_waitcnt vmcnt(1)
	v_lshlrev_b32_e32 v37, 16, v38
	v_and_b32_e32 v32, 0xffff0000, v38
	v_mul_f32_e32 v37, v36, v37
	v_alignbit_b32 v38, v39, v38, 16
	v_and_b32_e32 v39, 0xffff0000, v39
	v_mul_f32_e32 v32, v36, v32
	v_bfe_u32 v43, v37, 16, 1
	v_mul_f32_e32 v39, v36, v39
	v_bfe_u32 v44, v32, 16, 1
	v_add3_u32 v43, v37, v43, s44
	v_and_b32_e32 v38, 0xffff0000, v38
	v_bfe_u32 v45, v39, 16, 1
	v_add3_u32 v44, v32, v44, s44
	v_and_b32_e32 v43, 0xffff0000, v43
	v_cmp_o_f32_e32 vcc, v37, v37
	v_mul_f32_e32 v38, v36, v38
	v_add3_u32 v45, v39, v45, s44
	v_and_b32_e32 v44, 0xffff0000, v44
	v_cndmask_b32_e32 v37, v29, v43, vcc
	v_cmp_o_f32_e32 vcc, v32, v32
	s_waitcnt vmcnt(0)
	v_lshlrev_b32_e32 v42, 16, v40
	v_bfe_u32 v46, v38, 16, 1
	v_and_b32_e32 v45, 0xffff0000, v45
	v_cndmask_b32_e32 v32, v29, v44, vcc
	v_cmp_o_f32_e32 vcc, v39, v39
	v_and_b32_e32 v33, 0xffff0000, v40
	v_alignbit_b32 v40, v41, v40, 16
	v_and_b32_e32 v41, 0xffff0000, v41
	v_add3_u32 v46, v38, v46, s44
	v_cndmask_b32_e32 v39, v29, v45, vcc
	v_mul_f32_e32 v37, v37, v42
	v_and_b32_e32 v43, 0xffff0000, v46
	v_mul_f32_e32 v32, v32, v33
	v_cmp_o_f32_e32 vcc, v38, v38
	v_mul_f32_e32 v38, v39, v41
	v_bfe_u32 v39, v37, 16, 1
	v_and_b32_e32 v40, 0xffff0000, v40
	v_cndmask_b32_e32 v33, v29, v43, vcc
	v_bfe_u32 v41, v32, 16, 1
	v_add3_u32 v39, v37, v39, s44
	v_mul_f32_e32 v33, v33, v40
	v_bfe_u32 v40, v38, 16, 1
	v_add3_u32 v41, v32, v41, s44
	v_and_b32_e32 v39, 0xffff0000, v39
	v_cmp_o_f32_e32 vcc, v37, v37
	v_bfe_u32 v42, v33, 16, 1
	v_add3_u32 v40, v38, v40, s44
	v_and_b32_e32 v41, 0xffff0000, v41
	v_cndmask_b32_e64 v37, v29, |v39|, vcc
	v_cmp_o_f32_e32 vcc, v32, v32
	v_add3_u32 v42, v33, v42, s44
	v_and_b32_e32 v40, 0xffff0000, v40
	v_cndmask_b32_e64 v32, v29, |v41|, vcc
	v_cmp_o_f32_e32 vcc, v38, v38
	v_and_b32_e32 v39, 0xffff0000, v42
	v_cndmask_b32_e64 v38, v29, |v40|, vcc
	v_cmp_o_f32_e32 vcc, v33, v33
	v_max3_f32 v5, v5, v37, v32
	v_cndmask_b32_e64 v32, v29, |v39|, vcc
	v_add_co_u32_e32 v20, vcc, s28, v20
	v_addc_co_u32_e32 v19, vcc, v19, v35, vcc
	v_add_co_u32_e32 v22, vcc, s28, v22
	v_addc_co_u32_e32 v21, vcc, v21, v35, vcc
	v_add_co_u32_e32 v24, vcc, s28, v24
	v_addc_co_u32_e32 v23, vcc, v23, v35, vcc
	v_add_co_u32_e32 v26, vcc, s28, v26
	v_addc_co_u32_e32 v25, vcc, v25, v35, vcc
	v_add_co_u32_e32 v28, vcc, s28, v28
	v_addc_co_u32_e32 v27, vcc, v27, v35, vcc
	v_cmp_ge_i64_e32 vcc, v[30:31], v[10:11]
	v_max3_f32 v5, v5, v32, v38
	s_orn2_b64 s[40:41], vcc, exec
	s_branch .LBB85_18
.LBB85_25:
	s_or_b64 exec, exec, s[12:13]
.LBB85_26:
	s_or_b64 exec, exec, s[26:27]
	s_lshr_b32 s19, s16, 6
	v_cvt_f32_u32_e32 v10, s19
	v_lshlrev_b32_e32 v1, 2, v0
	ds_write_b32 v1, v5
	s_sub_i32 s12, 0, s19
	v_rcp_iflag_f32_e32 v5, v10
	s_add_i32 s2, s22, s19
	s_add_i32 s2, s2, -1
	s_ashr_i32 s3, s2, 31
	v_mul_f32_e32 v5, 0x4f7ffffe, v5
	v_cvt_u32_f32_e32 v5, v5
	s_abs_i32 s2, s2
	s_waitcnt lgkmcnt(0)
	s_barrier
	v_readfirstlane_b32 s13, v5
	s_mul_i32 s12, s12, s13
	s_mul_hi_u32 s12, s13, s12
	s_add_i32 s13, s13, s12
	s_mul_hi_u32 s12, s2, s13
	s_mul_i32 s13, s12, s19
	s_sub_i32 s2, s2, s13
	s_add_i32 s13, s12, 1
	s_sub_i32 s23, s2, s19
	s_cmp_ge_u32 s2, s19
	s_cselect_b32 s12, s13, s12
	s_cselect_b32 s2, s23, s2
	s_add_i32 s13, s12, 1
	s_cmp_ge_u32 s2, s19
	s_cselect_b32 s2, s13, s12
	s_xor_b32 s2, s2, s3
	s_sub_i32 s2, s2, s3
	s_ashr_i32 s3, s2, 31
	v_cmp_lt_i64_e64 s[12:13], s[2:3], 1
	s_and_b64 vcc, exec, s[12:13]
	s_cbranch_vccnz .LBB85_48
; %bb.27:
	v_and_b32_e32 v12, 63, v0
	v_add_co_u32_e32 v14, vcc, 32, v12
	v_addc_co_u32_e64 v15, s[12:13], 0, 0, vcc
	v_add_co_u32_e32 v16, vcc, 16, v12
	v_addc_co_u32_e64 v17, s[12:13], 0, 0, vcc
	;; [unrolled: 2-line block ×4, first 2 shown]
	v_add_co_u32_e32 v22, vcc, 2, v12
	v_lshrrev_b32_e32 v10, 6, v0
	v_addc_co_u32_e64 v23, s[12:13], 0, 0, vcc
	v_add_co_u32_e32 v24, vcc, 1, v12
	v_addc_co_u32_e64 v25, s[12:13], 0, 0, vcc
	v_mul_lo_u32 v5, s24, v10
	v_lshlrev_b32_e32 v5, 2, v5
	v_lshlrev_b32_e32 v26, 2, v12
	s_movk_i32 s12, 0x100
	v_mov_b32_e32 v11, 0
	v_add3_u32 v5, v5, v26, s12
	s_mul_i32 s12, s24, s19
	s_ashr_i32 s23, s22, 31
	v_mov_b32_e32 v13, v11
	s_lshl_b32 s36, s12, 2
	s_mov_b64 s[12:13], 0
	v_mov_b32_e32 v37, s19
	s_mov_b64 s[26:27], src_shared_base
	s_branch .LBB85_30
.LBB85_28:                              ;   in Loop: Header=BB85_30 Depth=1
	s_or_b64 exec, exec, s[30:31]
	v_mov_b32_e32 v27, s27
	flat_load_dword v26, v[26:27] glc
	s_waitcnt vmcnt(0)
.LBB85_29:                              ;   in Loop: Header=BB85_30 Depth=1
	s_or_b64 exec, exec, s[28:29]
	s_add_u32 s12, s12, 1
	s_addc_u32 s13, s13, 0
	s_cmp_eq_u64 s[12:13], s[2:3]
	v_add_u32_e32 v5, s36, v5
	s_cbranch_scc1 .LBB85_48
.LBB85_30:                              ; =>This Loop Header: Depth=1
                                        ;     Child Loop BB85_33 Depth 2
	v_mad_u64_u32 v[30:31], s[28:29], s12, v37, v[10:11]
	s_mul_i32 s26, s13, s19
	v_add_u32_e32 v31, s26, v31
	v_cmp_gt_i64_e32 vcc, s[22:23], v[30:31]
	s_and_saveexec_b64 s[28:29], vcc
	s_cbranch_execz .LBB85_29
; %bb.31:                               ;   in Loop: Header=BB85_30 Depth=1
	v_pk_mov_b32 v[32:33], s[24:25], s[24:25] op_sel:[0,1]
	v_mul_lo_u32 v29, v31, s24
	v_mul_lo_u32 v38, v30, s25
	v_mad_u64_u32 v[32:33], s[30:31], v30, s24, v[32:33]
	v_add3_u32 v33, v29, v33, v38
	v_mov_b32_e32 v28, s21
	v_cmp_gt_i64_e32 vcc, s[20:21], v[32:33]
	s_waitcnt lgkmcnt(0)
	v_mad_u64_u32 v[26:27], s[30:31], v30, s24, v[12:13]
	v_cndmask_b32_e32 v33, v28, v33, vcc
	v_mov_b32_e32 v28, s17
	v_add3_u32 v27, v29, v27, v38
	v_cndmask_b32_e32 v32, v28, v32, vcc
	v_add_co_u32_e32 v34, vcc, 64, v26
	v_addc_co_u32_e32 v35, vcc, 0, v27, vcc
	v_cmp_lt_i64_e32 vcc, v[34:35], v[32:33]
	v_lshlrev_b32_e32 v28, 2, v26
	s_and_saveexec_b64 s[30:31], vcc
	s_cbranch_execz .LBB85_34
; %bb.32:                               ;   in Loop: Header=BB85_30 Depth=1
	ds_read_b32 v31, v28
	s_mov_b64 s[34:35], 0
	v_mov_b32_e32 v27, v5
.LBB85_33:                              ;   Parent Loop BB85_30 Depth=1
                                        ; =>  This Inner Loop Header: Depth=2
	ds_read_b32 v39, v27
	v_add_co_u32_e32 v34, vcc, 64, v34
	v_addc_co_u32_e32 v35, vcc, 0, v35, vcc
	s_waitcnt lgkmcnt(1)
	v_max_f32_e32 v31, v31, v31
	v_cmp_ge_i64_e32 vcc, v[34:35], v[32:33]
	s_waitcnt lgkmcnt(0)
	v_max_f32_e32 v39, v39, v39
	v_add_u32_e32 v27, 0x100, v27
	s_or_b64 s[34:35], vcc, s[34:35]
	v_max_f32_e32 v31, v31, v39
	ds_write_b32 v28, v31
	s_andn2_b64 exec, exec, s[34:35]
	s_cbranch_execnz .LBB85_33
.LBB85_34:                              ;   in Loop: Header=BB85_30 Depth=1
	s_or_b64 exec, exec, s[30:31]
	v_mad_u64_u32 v[30:31], s[30:31], v30, s24, 0
	v_add3_u32 v27, v31, v38, v29
	v_sub_co_u32_e32 v30, vcc, v32, v30
	v_subb_co_u32_e32 v31, vcc, v33, v27, vcc
	v_cmp_gt_i64_e32 vcc, 64, v[30:31]
	v_cndmask_b32_e32 v31, 0, v31, vcc
	v_cndmask_b32_e32 v30, 64, v30, vcc
	v_cmp_lt_i64_e32 vcc, v[14:15], v[30:31]
	s_and_saveexec_b64 s[30:31], vcc
	s_cbranch_execnz .LBB85_46
; %bb.35:                               ;   in Loop: Header=BB85_30 Depth=1
	s_or_b64 exec, exec, s[30:31]
	v_cmp_lt_i64_e32 vcc, v[16:17], v[30:31]
	s_and_saveexec_b64 s[30:31], vcc
	s_cbranch_execnz .LBB85_47
.LBB85_36:                              ;   in Loop: Header=BB85_30 Depth=1
	s_or_b64 exec, exec, s[30:31]
	v_cmp_lt_i64_e32 vcc, v[18:19], v[30:31]
	s_and_saveexec_b64 s[30:31], vcc
	s_cbranch_execz .LBB85_38
.LBB85_37:                              ;   in Loop: Header=BB85_30 Depth=1
	v_mov_b32_e32 v29, s27
	v_add_u32_e32 v32, 32, v28
	v_mov_b32_e32 v33, s27
	flat_load_dword v27, v[28:29] glc
	s_waitcnt vmcnt(0)
	flat_load_dword v34, v[32:33] glc
	s_waitcnt vmcnt(0) lgkmcnt(0)
	v_max_f32_e32 v27, v27, v27
	v_max_f32_e32 v32, v34, v34
	;; [unrolled: 1-line block ×3, first 2 shown]
	flat_store_dword v[28:29], v27
	s_waitcnt vmcnt(0)
.LBB85_38:                              ;   in Loop: Header=BB85_30 Depth=1
	s_or_b64 exec, exec, s[30:31]
	v_cmp_ge_i64_e32 vcc, v[20:21], v[30:31]
	s_and_saveexec_b64 s[30:31], vcc
	s_xor_b64 s[30:31], exec, s[30:31]
; %bb.39:                               ;   in Loop: Header=BB85_30 Depth=1
                                        ; implicit-def: $vgpr28
; %bb.40:                               ;   in Loop: Header=BB85_30 Depth=1
	s_andn2_saveexec_b64 s[30:31], s[30:31]
	s_cbranch_execz .LBB85_42
; %bb.41:                               ;   in Loop: Header=BB85_30 Depth=1
	v_mov_b32_e32 v29, s27
	v_add_u32_e32 v32, 16, v28
	v_mov_b32_e32 v33, s27
	flat_load_dword v27, v[28:29] glc
	s_waitcnt vmcnt(0)
	flat_load_dword v34, v[32:33] glc
	s_waitcnt vmcnt(0) lgkmcnt(0)
	v_max_f32_e32 v27, v27, v27
	v_max_f32_e32 v32, v34, v34
	;; [unrolled: 1-line block ×3, first 2 shown]
	flat_store_dword v[28:29], v27
	s_waitcnt vmcnt(0)
.LBB85_42:                              ;   in Loop: Header=BB85_30 Depth=1
	s_or_b64 exec, exec, s[30:31]
	v_cmp_lt_i64_e32 vcc, v[22:23], v[30:31]
	v_lshlrev_b32_e32 v26, 2, v26
	s_and_saveexec_b64 s[30:31], vcc
	s_cbranch_execz .LBB85_44
; %bb.43:                               ;   in Loop: Header=BB85_30 Depth=1
	v_mov_b32_e32 v27, s27
	v_add_u32_e32 v28, 8, v26
	v_mov_b32_e32 v29, s27
	flat_load_dword v32, v[26:27] glc
	s_waitcnt vmcnt(0)
	flat_load_dword v33, v[28:29] glc
	s_waitcnt vmcnt(0) lgkmcnt(0)
	v_max_f32_e32 v28, v32, v32
	v_max_f32_e32 v29, v33, v33
	;; [unrolled: 1-line block ×3, first 2 shown]
	flat_store_dword v[26:27], v28
	s_waitcnt vmcnt(0)
.LBB85_44:                              ;   in Loop: Header=BB85_30 Depth=1
	s_or_b64 exec, exec, s[30:31]
	v_cmp_lt_i64_e32 vcc, v[24:25], v[30:31]
	s_and_saveexec_b64 s[30:31], vcc
	s_cbranch_execz .LBB85_28
; %bb.45:                               ;   in Loop: Header=BB85_30 Depth=1
	v_mov_b32_e32 v27, s27
	v_add_u32_e32 v28, 4, v26
	v_mov_b32_e32 v29, s27
	flat_load_dword v30, v[26:27] glc
	s_waitcnt vmcnt(0)
	flat_load_dword v31, v[28:29] glc
	s_waitcnt vmcnt(0) lgkmcnt(0)
	v_max_f32_e32 v28, v30, v30
	v_max_f32_e32 v29, v31, v31
	;; [unrolled: 1-line block ×3, first 2 shown]
	flat_store_dword v[26:27], v28
	s_waitcnt vmcnt(0)
	s_branch .LBB85_28
.LBB85_46:                              ;   in Loop: Header=BB85_30 Depth=1
	v_mov_b32_e32 v29, s27
	v_add_u32_e32 v32, 0x80, v28
	v_mov_b32_e32 v33, s27
	flat_load_dword v27, v[28:29] glc
	s_waitcnt vmcnt(0)
	flat_load_dword v34, v[32:33] glc
	s_waitcnt vmcnt(0) lgkmcnt(0)
	v_max_f32_e32 v27, v27, v27
	v_max_f32_e32 v32, v34, v34
	;; [unrolled: 1-line block ×3, first 2 shown]
	flat_store_dword v[28:29], v27
	s_waitcnt vmcnt(0)
	s_or_b64 exec, exec, s[30:31]
	v_cmp_lt_i64_e32 vcc, v[16:17], v[30:31]
	s_and_saveexec_b64 s[30:31], vcc
	s_cbranch_execz .LBB85_36
.LBB85_47:                              ;   in Loop: Header=BB85_30 Depth=1
	v_mov_b32_e32 v29, s27
	v_add_u32_e32 v32, 64, v28
	v_mov_b32_e32 v33, s27
	flat_load_dword v27, v[28:29] glc
	s_waitcnt vmcnt(0)
	flat_load_dword v34, v[32:33] glc
	s_waitcnt vmcnt(0) lgkmcnt(0)
	v_max_f32_e32 v27, v27, v27
	v_max_f32_e32 v32, v34, v34
	v_max_f32_e32 v27, v27, v32
	flat_store_dword v[28:29], v27
	s_waitcnt vmcnt(0)
	s_or_b64 exec, exec, s[30:31]
	v_cmp_lt_i64_e32 vcc, v[18:19], v[30:31]
	s_and_saveexec_b64 s[30:31], vcc
	s_cbranch_execnz .LBB85_37
	s_branch .LBB85_38
.LBB85_48:
	s_load_dwordx2 s[12:13], s[4:5], 0x40
	v_cmp_eq_u32_e32 vcc, 0, v4
	v_cmp_lt_i64_e64 s[2:3], v[6:7], v[8:9]
	s_and_b64 s[2:3], vcc, s[2:3]
	s_waitcnt lgkmcnt(0)
	s_barrier
	s_and_saveexec_b64 s[22:23], s[2:3]
	s_cbranch_execz .LBB85_55
; %bb.49:
	s_load_dwordx2 s[2:3], s[4:5], 0x20
	ds_read_b32 v1, v1
	s_waitcnt lgkmcnt(0)
	s_cmp_eq_u64 s[2:3], 0
	s_cbranch_scc1 .LBB85_51
; %bb.50:
	s_load_dword s2, s[2:3], 0x0
	v_max_f32_e32 v1, v1, v1
	s_waitcnt lgkmcnt(0)
	v_max_f32_e64 v4, s2, s2
	v_min_f32_e32 v1, v1, v4
.LBB85_51:
	s_add_u32 s3, s12, s43
	s_addc_u32 s4, s13, 0
	s_add_u32 s24, s3, -1
	s_addc_u32 s25, s4, -1
	s_or_b64 s[4:5], s[24:25], s[12:13]
	s_mov_b32 s2, 0
	s_mov_b32 s3, s5
	s_cmp_lg_u64 s[2:3], 0
	s_mov_b64 s[26:27], -1
	s_cbranch_scc0 .LBB85_196
; %bb.52:
	s_ashr_i32 s2, s13, 31
	s_add_u32 s4, s12, s2
	s_mov_b32 s3, s2
	s_addc_u32 s5, s13, s2
	s_xor_b64 s[28:29], s[4:5], s[2:3]
	v_cvt_f32_u32_e32 v4, s28
	v_cvt_f32_u32_e32 v5, s29
	s_sub_u32 s2, 0, s28
	s_subb_u32 s3, 0, s29
	v_madmk_f32 v4, v5, 0x4f800000, v4
	v_rcp_f32_e32 v4, v4
	v_mul_f32_e32 v4, 0x5f7ffffc, v4
	v_mul_f32_e32 v5, 0x2f800000, v4
	v_trunc_f32_e32 v5, v5
	v_madmk_f32 v4, v5, 0xcf800000, v4
	v_cvt_u32_f32_e32 v5, v5
	v_cvt_u32_f32_e32 v4, v4
	v_readfirstlane_b32 s4, v5
	v_readfirstlane_b32 s5, v4
	s_mul_i32 s19, s2, s4
	s_mul_hi_u32 s30, s2, s5
	s_mul_i32 s20, s3, s5
	s_add_i32 s19, s30, s19
	s_add_i32 s19, s19, s20
	s_mul_i32 s31, s2, s5
	s_mul_hi_u32 s20, s5, s19
	s_mul_i32 s30, s5, s19
	s_mul_hi_u32 s5, s5, s31
	s_add_u32 s5, s5, s30
	s_addc_u32 s20, 0, s20
	s_mul_hi_u32 s34, s4, s31
	s_mul_i32 s31, s4, s31
	s_add_u32 s5, s5, s31
	s_mul_hi_u32 s30, s4, s19
	s_addc_u32 s5, s20, s34
	s_addc_u32 s20, s30, 0
	s_mul_i32 s19, s4, s19
	s_add_u32 s5, s5, s19
	s_addc_u32 s19, 0, s20
	v_add_co_u32_e32 v4, vcc, s5, v4
	s_cmp_lg_u64 vcc, 0
	s_addc_u32 s4, s4, s19
	v_readfirstlane_b32 s19, v4
	s_mul_i32 s5, s2, s4
	s_mul_hi_u32 s20, s2, s19
	s_add_i32 s5, s20, s5
	s_mul_i32 s3, s3, s19
	s_add_i32 s5, s5, s3
	s_mul_i32 s2, s2, s19
	s_mul_hi_u32 s20, s4, s2
	s_mul_i32 s30, s4, s2
	s_mul_i32 s34, s19, s5
	s_mul_hi_u32 s2, s19, s2
	s_mul_hi_u32 s31, s19, s5
	s_add_u32 s2, s2, s34
	s_addc_u32 s19, 0, s31
	s_add_u32 s2, s2, s30
	s_mul_hi_u32 s3, s4, s5
	s_addc_u32 s2, s19, s20
	s_addc_u32 s3, s3, 0
	s_mul_i32 s5, s4, s5
	s_add_u32 s2, s2, s5
	s_addc_u32 s3, 0, s3
	v_add_co_u32_e32 v4, vcc, s2, v4
	s_cmp_lg_u64 vcc, 0
	s_addc_u32 s4, s4, s3
	s_ashr_i32 s30, s25, 31
	s_add_u32 s2, s24, s30
	s_mov_b32 s31, s30
	s_addc_u32 s3, s25, s30
	s_xor_b64 s[34:35], s[2:3], s[30:31]
	v_readfirstlane_b32 s5, v4
	s_mul_i32 s3, s34, s4
	s_mul_hi_u32 s19, s34, s5
	s_mul_hi_u32 s2, s34, s4
	s_add_u32 s3, s19, s3
	s_addc_u32 s2, 0, s2
	s_mul_hi_u32 s20, s35, s5
	s_mul_i32 s5, s35, s5
	s_add_u32 s3, s3, s5
	s_mul_hi_u32 s19, s35, s4
	s_addc_u32 s2, s2, s20
	s_addc_u32 s3, s19, 0
	s_mul_i32 s4, s35, s4
	s_add_u32 s2, s2, s4
	s_addc_u32 s3, 0, s3
	s_mul_i32 s3, s28, s3
	s_mul_hi_u32 s4, s28, s2
	s_add_i32 s3, s4, s3
	s_mul_i32 s4, s29, s2
	s_mul_i32 s2, s28, s2
	s_add_i32 s19, s3, s4
	v_mov_b32_e32 v4, s2
	s_sub_i32 s3, s35, s19
	v_sub_co_u32_e32 v4, vcc, s34, v4
	s_cmp_lg_u64 vcc, 0
	s_subb_u32 s20, s3, s29
	v_subrev_co_u32_e64 v5, s[2:3], s28, v4
	s_cmp_lg_u64 s[2:3], 0
	s_subb_u32 s31, s20, 0
	s_cmp_ge_u32 s31, s29
	s_cselect_b32 s34, -1, 0
	v_cmp_le_u32_e64 s[4:5], s28, v5
	s_cmp_eq_u32 s31, s29
	v_cndmask_b32_e64 v6, 0, -1, s[4:5]
	v_mov_b32_e32 v7, s34
	s_cselect_b64 s[4:5], -1, 0
	s_cmp_lg_u64 s[2:3], 0
	v_cndmask_b32_e64 v6, v7, v6, s[4:5]
	s_subb_u32 s4, s20, s29
	v_subrev_co_u32_e64 v7, s[2:3], s28, v5
	s_cmp_lg_u64 s[2:3], 0
	s_subb_u32 s4, s4, 0
	v_cmp_ne_u32_e64 s[2:3], 0, v6
	v_cndmask_b32_e64 v5, v5, v7, s[2:3]
	v_mov_b32_e32 v6, s31
	v_mov_b32_e32 v7, s4
	s_cmp_lg_u64 vcc, 0
	v_cndmask_b32_e64 v6, v6, v7, s[2:3]
	s_subb_u32 s2, s35, s19
	s_cmp_ge_u32 s2, s29
	s_cselect_b32 s3, -1, 0
	v_cmp_le_u32_e32 vcc, s28, v4
	s_cmp_eq_u32 s2, s29
	v_cndmask_b32_e64 v7, 0, -1, vcc
	v_mov_b32_e32 v8, s3
	s_cselect_b64 vcc, -1, 0
	v_cndmask_b32_e32 v7, v8, v7, vcc
	v_cmp_ne_u32_e32 vcc, 0, v7
	v_mov_b32_e32 v8, s2
	v_cndmask_b32_e32 v4, v4, v5, vcc
	v_cndmask_b32_e32 v6, v8, v6, vcc
	v_xor_b32_e32 v4, s30, v4
	v_xor_b32_e32 v5, s30, v6
	v_mov_b32_e32 v6, s30
	v_subrev_co_u32_e32 v4, vcc, s30, v4
	v_subb_co_u32_e32 v5, vcc, v5, v6, vcc
	s_cbranch_execnz .LBB85_54
.LBB85_53:
	v_cvt_f32_u32_e32 v4, s12
	s_sub_i32 s2, 0, s12
	v_rcp_iflag_f32_e32 v4, v4
	v_mul_f32_e32 v4, 0x4f7ffffe, v4
	v_cvt_u32_f32_e32 v4, v4
	v_mul_lo_u32 v5, s2, v4
	v_mul_hi_u32 v5, v4, v5
	v_add_u32_e32 v4, v4, v5
	v_mul_hi_u32 v4, s24, v4
	v_mul_lo_u32 v4, v4, s12
	v_sub_u32_e32 v4, s24, v4
	v_subrev_u32_e32 v5, s12, v4
	v_cmp_le_u32_e32 vcc, s12, v4
	v_cndmask_b32_e32 v4, v4, v5, vcc
	v_subrev_u32_e32 v5, s12, v4
	v_cmp_le_u32_e32 vcc, s12, v4
	v_cndmask_b32_e32 v4, v4, v5, vcc
	v_mov_b32_e32 v5, 0
.LBB85_54:
	s_mov_b32 s4, 0x43600000
	v_div_scale_f32 v6, s[2:3], s4, s4, v1
	v_rcp_f32_e32 v7, v6
	v_div_scale_f32 v8, vcc, v1, s4, v1
	v_fma_f32 v9, -v6, v7, 1.0
	v_fmac_f32_e32 v7, v9, v7
	v_mul_f32_e32 v9, v8, v7
	v_fma_f32 v10, -v6, v9, v8
	v_fmac_f32_e32 v9, v10, v7
	v_fma_f32 v6, -v6, v9, v8
	v_div_fmas_f32 v6, v6, v7, v9
	v_div_fixup_f32 v1, v6, s4, v1
	v_mov_b32_e32 v6, s25
	v_sub_co_u32_e32 v4, vcc, s24, v4
	v_subb_co_u32_e32 v5, vcc, v6, v5, vcc
	v_mul_lo_u32 v5, v5, v2
	v_mul_lo_u32 v6, v4, v3
	v_mad_u64_u32 v[2:3], s[2:3], v4, v2, 0
	s_lshl_b64 s[2:3], s[6:7], 2
	v_add3_u32 v3, v3, v6, v5
	s_add_u32 s2, s2, s10
	v_lshlrev_b64 v[2:3], 2, v[2:3]
	s_addc_u32 s3, s3, s11
	v_mov_b32_e32 v4, s3
	v_add_co_u32_e32 v2, vcc, s2, v2
	v_max_f32_e32 v1, 0x37124925, v1
	v_addc_co_u32_e32 v3, vcc, v4, v3, vcc
	global_store_dword v[2:3], v1, off
.LBB85_55:
	s_or_b64 exec, exec, s[22:23]
	s_barrier
	s_and_saveexec_b64 s[2:3], s[0:1]
	s_cbranch_execz .LBB85_195
; %bb.56:
	s_add_u32 s1, s12, s43
	s_addc_u32 s2, s13, 0
	s_add_u32 s4, s1, -1
	s_addc_u32 s5, s2, -1
	s_or_b64 s[2:3], s[4:5], s[12:13]
	s_mov_b32 s0, 0
	s_mov_b32 s1, s3
	s_cmp_lg_u64 s[0:1], 0
	s_mov_b64 s[22:23], -1
	s_cbranch_scc0 .LBB85_197
; %bb.57:
	s_ashr_i32 s0, s13, 31
	s_add_u32 s2, s12, s0
	s_mov_b32 s1, s0
	s_addc_u32 s3, s13, s0
	s_xor_b64 s[24:25], s[2:3], s[0:1]
	v_cvt_f32_u32_e32 v1, s24
	v_cvt_f32_u32_e32 v2, s25
	s_sub_u32 s0, 0, s24
	s_subb_u32 s1, 0, s25
	v_madmk_f32 v1, v2, 0x4f800000, v1
	v_rcp_f32_e32 v1, v1
	v_mul_f32_e32 v1, 0x5f7ffffc, v1
	v_mul_f32_e32 v2, 0x2f800000, v1
	v_trunc_f32_e32 v2, v2
	v_madmk_f32 v1, v2, 0xcf800000, v1
	v_cvt_u32_f32_e32 v2, v2
	v_cvt_u32_f32_e32 v1, v1
	v_readfirstlane_b32 s2, v2
	v_readfirstlane_b32 s3, v1
	s_mul_i32 s13, s0, s2
	s_mul_hi_u32 s20, s0, s3
	s_mul_i32 s19, s1, s3
	s_add_i32 s13, s20, s13
	s_add_i32 s13, s13, s19
	s_mul_i32 s26, s0, s3
	s_mul_hi_u32 s19, s3, s13
	s_mul_i32 s20, s3, s13
	s_mul_hi_u32 s3, s3, s26
	s_add_u32 s3, s3, s20
	s_addc_u32 s19, 0, s19
	s_mul_hi_u32 s27, s2, s26
	s_mul_i32 s26, s2, s26
	s_add_u32 s3, s3, s26
	s_mul_hi_u32 s20, s2, s13
	s_addc_u32 s3, s19, s27
	s_addc_u32 s19, s20, 0
	s_mul_i32 s13, s2, s13
	s_add_u32 s3, s3, s13
	s_addc_u32 s13, 0, s19
	v_add_co_u32_e32 v1, vcc, s3, v1
	s_cmp_lg_u64 vcc, 0
	s_addc_u32 s2, s2, s13
	v_readfirstlane_b32 s13, v1
	s_mul_i32 s3, s0, s2
	s_mul_hi_u32 s19, s0, s13
	s_add_i32 s3, s19, s3
	s_mul_i32 s1, s1, s13
	s_add_i32 s3, s3, s1
	s_mul_i32 s0, s0, s13
	s_mul_hi_u32 s19, s2, s0
	s_mul_i32 s20, s2, s0
	s_mul_i32 s27, s13, s3
	s_mul_hi_u32 s0, s13, s0
	s_mul_hi_u32 s26, s13, s3
	s_add_u32 s0, s0, s27
	s_addc_u32 s13, 0, s26
	s_add_u32 s0, s0, s20
	s_mul_hi_u32 s1, s2, s3
	s_addc_u32 s0, s13, s19
	s_addc_u32 s1, s1, 0
	s_mul_i32 s3, s2, s3
	s_add_u32 s0, s0, s3
	s_addc_u32 s1, 0, s1
	v_add_co_u32_e32 v1, vcc, s0, v1
	s_cmp_lg_u64 vcc, 0
	s_addc_u32 s2, s2, s1
	s_ashr_i32 s26, s5, 31
	s_add_u32 s0, s4, s26
	s_mov_b32 s27, s26
	s_addc_u32 s1, s5, s26
	s_xor_b64 s[28:29], s[0:1], s[26:27]
	v_readfirstlane_b32 s3, v1
	s_mul_i32 s1, s28, s2
	s_mul_hi_u32 s13, s28, s3
	s_mul_hi_u32 s0, s28, s2
	s_add_u32 s1, s13, s1
	s_addc_u32 s0, 0, s0
	s_mul_hi_u32 s19, s29, s3
	s_mul_i32 s3, s29, s3
	s_add_u32 s1, s1, s3
	s_mul_hi_u32 s13, s29, s2
	s_addc_u32 s0, s0, s19
	s_addc_u32 s1, s13, 0
	s_mul_i32 s2, s29, s2
	s_add_u32 s0, s0, s2
	s_addc_u32 s1, 0, s1
	s_mul_i32 s1, s24, s1
	s_mul_hi_u32 s2, s24, s0
	s_add_i32 s1, s2, s1
	s_mul_i32 s2, s25, s0
	s_mul_i32 s0, s24, s0
	s_add_i32 s13, s1, s2
	v_mov_b32_e32 v1, s0
	s_sub_i32 s1, s29, s13
	v_sub_co_u32_e32 v1, vcc, s28, v1
	s_cmp_lg_u64 vcc, 0
	s_subb_u32 s19, s1, s25
	v_subrev_co_u32_e64 v2, s[0:1], s24, v1
	s_cmp_lg_u64 s[0:1], 0
	s_subb_u32 s20, s19, 0
	s_cmp_ge_u32 s20, s25
	s_cselect_b32 s27, -1, 0
	v_cmp_le_u32_e64 s[2:3], s24, v2
	s_cmp_eq_u32 s20, s25
	v_cndmask_b32_e64 v3, 0, -1, s[2:3]
	v_mov_b32_e32 v4, s27
	s_cselect_b64 s[2:3], -1, 0
	s_cmp_lg_u64 s[0:1], 0
	v_cndmask_b32_e64 v3, v4, v3, s[2:3]
	s_subb_u32 s2, s19, s25
	v_subrev_co_u32_e64 v4, s[0:1], s24, v2
	s_cmp_lg_u64 s[0:1], 0
	s_subb_u32 s2, s2, 0
	v_cmp_ne_u32_e64 s[0:1], 0, v3
	v_cndmask_b32_e64 v2, v2, v4, s[0:1]
	v_mov_b32_e32 v3, s20
	v_mov_b32_e32 v4, s2
	s_cmp_lg_u64 vcc, 0
	v_cndmask_b32_e64 v3, v3, v4, s[0:1]
	s_subb_u32 s0, s29, s13
	s_cmp_ge_u32 s0, s25
	s_cselect_b32 s1, -1, 0
	v_cmp_le_u32_e32 vcc, s24, v1
	s_cmp_eq_u32 s0, s25
	v_cndmask_b32_e64 v4, 0, -1, vcc
	v_mov_b32_e32 v5, s1
	s_cselect_b64 vcc, -1, 0
	v_cndmask_b32_e32 v4, v5, v4, vcc
	v_cmp_ne_u32_e32 vcc, 0, v4
	v_mov_b32_e32 v5, s0
	v_cndmask_b32_e32 v1, v1, v2, vcc
	v_cndmask_b32_e32 v3, v5, v3, vcc
	v_xor_b32_e32 v1, s26, v1
	v_xor_b32_e32 v3, s26, v3
	v_mov_b32_e32 v4, s26
	v_subrev_co_u32_e32 v2, vcc, s26, v1
	v_subb_co_u32_e32 v3, vcc, v3, v4, vcc
	s_cbranch_execnz .LBB85_59
.LBB85_58:
	v_cvt_f32_u32_e32 v1, s12
	s_sub_i32 s0, 0, s12
	v_mov_b32_e32 v3, 0
	v_rcp_iflag_f32_e32 v1, v1
	v_mul_f32_e32 v1, 0x4f7ffffe, v1
	v_cvt_u32_f32_e32 v1, v1
	v_mul_lo_u32 v2, s0, v1
	v_mul_hi_u32 v2, v1, v2
	v_add_u32_e32 v1, v1, v2
	v_mul_hi_u32 v1, s4, v1
	v_mul_lo_u32 v1, v1, s12
	v_sub_u32_e32 v1, s4, v1
	v_subrev_u32_e32 v2, s12, v1
	v_cmp_le_u32_e32 vcc, s12, v1
	v_cndmask_b32_e32 v1, v1, v2, vcc
	v_subrev_u32_e32 v2, s12, v1
	v_cmp_le_u32_e32 vcc, s12, v1
	v_cndmask_b32_e32 v2, v1, v2, vcc
.LBB85_59:
	s_mul_i32 s0, s21, s6
	s_mul_hi_u32 s1, s17, s6
	s_add_i32 s1, s1, s0
	s_mul_i32 s0, s17, s6
	s_add_u32 s17, s8, s0
	s_addc_u32 s19, s9, s1
	s_lshl_b64 s[0:1], s[6:7], 2
	s_add_u32 s20, s10, s0
	s_addc_u32 s21, s11, s1
	v_mov_b32_e32 v1, s5
	v_sub_co_u32_e32 v10, vcc, s4, v2
	v_subb_co_u32_e32 v11, vcc, v1, v3, vcc
	s_mul_i32 s22, s16, 3
	s_lshl_b32 s23, s16, 1
	s_mov_b64 s[0:1], 0
	v_mov_b32_e32 v1, 0
	v_mov_b32_e32 v12, s42
	;; [unrolled: 1-line block ×4, first 2 shown]
	s_movk_i32 s24, 0x7fff
	v_mov_b32_e32 v15, 0x7fc00000
	s_mov_b32 s25, 0x43800000
	s_mov_b32 s26, 0x3bffffff
	;; [unrolled: 1-line block ×4, first 2 shown]
	s_movk_i32 s29, 0x80
	s_mov_b32 s30, 0x4020c0c
	s_branch .LBB85_65
.LBB85_60:                              ;   in Loop: Header=BB85_65 Depth=1
	s_or_b64 exec, exec, s[12:13]
.LBB85_61:                              ;   in Loop: Header=BB85_65 Depth=1
	s_or_b64 exec, exec, s[8:9]
	v_lshlrev_b64 v[16:17], 2, v[0:1]
	v_mov_b32_e32 v0, s19
	v_add_co_u32_e32 v16, vcc, s17, v16
	v_addc_co_u32_e32 v17, vcc, v0, v17, vcc
	v_lshlrev_b32_e32 v0, 16, v6
	v_lshlrev_b32_e32 v3, 8, v8
	v_perm_b32 v0, v4, v0, s30
	v_and_b32_e32 v3, 0xff00, v3
	v_and_b32_e32 v4, 0xff, v9
	s_add_i32 s8, s16, s16
	v_or3_b32 v0, v0, v3, v4
	s_add_i32 s8, s8, s16
	global_store_dword v[16:17], v0, off
	v_add_u32_e32 v0, s8, v2
	v_cmp_le_u32_e32 vcc, s18, v0
	s_orn2_b64 s[8:9], vcc, exec
.LBB85_62:                              ;   in Loop: Header=BB85_65 Depth=1
	s_or_b64 exec, exec, s[6:7]
	s_orn2_b64 s[6:7], s[8:9], exec
.LBB85_63:                              ;   in Loop: Header=BB85_65 Depth=1
	s_or_b64 exec, exec, s[4:5]
	s_orn2_b64 s[4:5], s[6:7], exec
.LBB85_64:                              ;   in Loop: Header=BB85_65 Depth=1
	s_or_b64 exec, exec, s[2:3]
	s_and_b64 s[2:3], exec, s[4:5]
	s_or_b64 s[0:1], s[2:3], s[0:1]
	s_andn2_b64 exec, exec, s[0:1]
	s_cbranch_execz .LBB85_195
.LBB85_65:                              ; =>This Inner Loop Header: Depth=1
	v_lshlrev_b64 v[2:3], 3, v[0:1]
	v_add_co_u32_e32 v4, vcc, s33, v2
	v_addc_co_u32_e32 v5, vcc, v12, v3, vcc
	global_load_dwordx2 v[4:5], v[4:5], off
	v_add_co_u32_e32 v2, vcc, s14, v2
	v_bfe_u32 v9, v0, 4, 26
	v_addc_co_u32_e32 v3, vcc, v13, v3, vcc
	v_mad_u64_u32 v[6:7], s[2:3], v10, v9, 0
	global_load_dwordx2 v[2:3], v[2:3], off
	v_mov_b32_e32 v8, v7
	v_mad_u64_u32 v[8:9], s[2:3], v11, v9, v[8:9]
	v_mov_b32_e32 v7, v8
	v_lshlrev_b64 v[6:7], 2, v[6:7]
	v_add_co_u32_e32 v6, vcc, s20, v6
	v_addc_co_u32_e32 v7, vcc, v14, v7, vcc
	global_load_dword v6, v[6:7], off
	s_waitcnt vmcnt(2)
	v_lshlrev_b32_e32 v7, 16, v4
	v_mul_f32_e32 v7, v36, v7
	v_bfe_u32 v9, v7, 16, 1
	v_add3_u32 v9, v7, v9, s24
	v_and_b32_e32 v9, 0xffff0000, v9
	v_cmp_o_f32_e32 vcc, v7, v7
	v_cndmask_b32_e32 v7, v15, v9, vcc
	s_waitcnt vmcnt(1)
	v_lshlrev_b32_e32 v8, 16, v2
	v_mul_f32_e32 v7, v7, v8
	v_bfe_u32 v8, v7, 16, 1
	v_add3_u32 v8, v7, v8, s24
	v_and_b32_e32 v8, 0xffff0000, v8
	v_cmp_o_f32_e32 vcc, v7, v7
	v_cndmask_b32_e32 v8, v15, v8, vcc
	v_mov_b32_e32 v7, 0x80
	s_waitcnt vmcnt(0)
	v_div_scale_f32 v9, s[2:3], v6, v6, v8
	v_rcp_f32_e32 v16, v9
	v_div_scale_f32 v17, vcc, v8, v6, v8
	v_fma_f32 v18, -v9, v16, 1.0
	v_fmac_f32_e32 v16, v18, v16
	v_mul_f32_e32 v18, v17, v16
	v_fma_f32 v19, -v9, v18, v17
	v_fmac_f32_e32 v18, v19, v16
	v_fma_f32 v9, -v9, v18, v17
	v_div_fmas_f32 v9, v9, v16, v18
	v_div_fixup_f32 v8, v9, v6, v8
	v_min_f32_e32 v8, 0x43600000, v8
	v_max_f32_e32 v9, 0xc3600000, v8
	v_and_b32_e32 v16, 0x7fffffff, v9
	v_cmp_gt_u32_e32 vcc, s25, v16
	v_mov_b32_e32 v8, 0x80
	s_and_saveexec_b64 s[2:3], vcc
	s_cbranch_execz .LBB85_71
; %bb.66:                               ;   in Loop: Header=BB85_65 Depth=1
	v_cmp_lt_u32_e32 vcc, s26, v16
	s_mov_b64 s[4:5], 0
                                        ; implicit-def: $vgpr16
	s_and_saveexec_b64 s[6:7], vcc
	s_xor_b64 s[6:7], exec, s[6:7]
	s_cbranch_execnz .LBB85_162
; %bb.67:                               ;   in Loop: Header=BB85_65 Depth=1
	s_or_saveexec_b64 s[6:7], s[6:7]
                                        ; implicit-def: $sgpr8
	s_xor_b64 exec, exec, s[6:7]
	s_cbranch_execnz .LBB85_163
.LBB85_68:                              ;   in Loop: Header=BB85_65 Depth=1
	s_or_b64 exec, exec, s[6:7]
	v_mov_b32_e32 v8, s8
	s_and_saveexec_b64 s[6:7], s[4:5]
.LBB85_69:                              ;   in Loop: Header=BB85_65 Depth=1
	v_lshrrev_b32_e32 v8, 24, v9
	v_and_or_b32 v8, v8, s29, v16
.LBB85_70:                              ;   in Loop: Header=BB85_65 Depth=1
	s_or_b64 exec, exec, s[6:7]
.LBB85_71:                              ;   in Loop: Header=BB85_65 Depth=1
	s_or_b64 exec, exec, s[2:3]
	v_and_b32_e32 v9, 0xffff0000, v4
	v_mul_f32_e32 v9, v36, v9
	v_bfe_u32 v17, v9, 16, 1
	v_add3_u32 v17, v9, v17, s24
	v_and_b32_e32 v17, 0xffff0000, v17
	v_cmp_o_f32_e32 vcc, v9, v9
	v_and_b32_e32 v16, 0xffff0000, v2
	v_cndmask_b32_e32 v9, v15, v17, vcc
	v_mul_f32_e32 v9, v9, v16
	v_bfe_u32 v16, v9, 16, 1
	v_add3_u32 v16, v9, v16, s24
	v_and_b32_e32 v16, 0xffff0000, v16
	v_cmp_o_f32_e32 vcc, v9, v9
	v_cndmask_b32_e32 v9, v15, v16, vcc
	v_div_scale_f32 v16, s[2:3], v6, v6, v9
	v_rcp_f32_e32 v17, v16
	v_fma_f32 v18, -v16, v17, 1.0
	v_fmac_f32_e32 v17, v18, v17
	v_div_scale_f32 v18, vcc, v9, v6, v9
	v_mul_f32_e32 v19, v18, v17
	v_fma_f32 v20, -v16, v19, v18
	v_fmac_f32_e32 v19, v20, v17
	v_fma_f32 v16, -v16, v19, v18
	v_div_fmas_f32 v16, v16, v17, v19
	v_div_fixup_f32 v9, v16, v6, v9
	v_min_f32_e32 v9, 0x43600000, v9
	v_max_f32_e32 v9, 0xc3600000, v9
	v_and_b32_e32 v16, 0x7fffffff, v9
	v_cmp_gt_u32_e32 vcc, s25, v16
	s_and_saveexec_b64 s[2:3], vcc
	s_cbranch_execz .LBB85_77
; %bb.72:                               ;   in Loop: Header=BB85_65 Depth=1
	v_cmp_lt_u32_e32 vcc, s26, v16
	s_mov_b64 s[4:5], 0
                                        ; implicit-def: $vgpr16
	s_and_saveexec_b64 s[6:7], vcc
	s_xor_b64 s[6:7], exec, s[6:7]
	s_cbranch_execnz .LBB85_164
; %bb.73:                               ;   in Loop: Header=BB85_65 Depth=1
	s_or_saveexec_b64 s[6:7], s[6:7]
                                        ; implicit-def: $sgpr8
	s_xor_b64 exec, exec, s[6:7]
	s_cbranch_execnz .LBB85_165
.LBB85_74:                              ;   in Loop: Header=BB85_65 Depth=1
	s_or_b64 exec, exec, s[6:7]
	v_mov_b32_e32 v7, s8
	s_and_saveexec_b64 s[6:7], s[4:5]
.LBB85_75:                              ;   in Loop: Header=BB85_65 Depth=1
	v_lshrrev_b32_e32 v7, 24, v9
	v_and_or_b32 v7, v7, s29, v16
.LBB85_76:                              ;   in Loop: Header=BB85_65 Depth=1
	s_or_b64 exec, exec, s[6:7]
.LBB85_77:                              ;   in Loop: Header=BB85_65 Depth=1
	s_or_b64 exec, exec, s[2:3]
	v_alignbit_b32 v4, v5, v4, 16
	v_and_b32_e32 v4, 0xffff0000, v4
	v_mul_f32_e32 v4, v36, v4
	v_bfe_u32 v9, v4, 16, 1
	v_add3_u32 v9, v4, v9, s24
	v_and_b32_e32 v9, 0xffff0000, v9
	v_cmp_o_f32_e32 vcc, v4, v4
	v_alignbit_b32 v2, v3, v2, 16
	v_cndmask_b32_e32 v4, v15, v9, vcc
	v_and_b32_e32 v2, 0xffff0000, v2
	v_mul_f32_e32 v2, v4, v2
	v_bfe_u32 v4, v2, 16, 1
	v_add3_u32 v4, v2, v4, s24
	v_and_b32_e32 v4, 0xffff0000, v4
	v_cmp_o_f32_e32 vcc, v2, v2
	v_cndmask_b32_e32 v2, v15, v4, vcc
	v_div_scale_f32 v4, s[2:3], v6, v6, v2
	v_rcp_f32_e32 v9, v4
	v_fma_f32 v16, -v4, v9, 1.0
	v_fmac_f32_e32 v9, v16, v9
	v_div_scale_f32 v16, vcc, v2, v6, v2
	v_mul_f32_e32 v17, v16, v9
	v_fma_f32 v18, -v4, v17, v16
	v_fmac_f32_e32 v17, v18, v9
	v_fma_f32 v4, -v4, v17, v16
	v_div_fmas_f32 v4, v4, v9, v17
	v_div_fixup_f32 v2, v4, v6, v2
	v_min_f32_e32 v2, 0x43600000, v2
	v_max_f32_e32 v9, 0xc3600000, v2
	v_and_b32_e32 v16, 0x7fffffff, v9
	v_cmp_gt_u32_e32 vcc, s25, v16
	v_mov_b32_e32 v2, 0x80
	v_mov_b32_e32 v4, 0x80
	s_and_saveexec_b64 s[2:3], vcc
	s_cbranch_execz .LBB85_83
; %bb.78:                               ;   in Loop: Header=BB85_65 Depth=1
	v_cmp_lt_u32_e32 vcc, s26, v16
	s_mov_b64 s[4:5], 0
                                        ; implicit-def: $vgpr16
	s_and_saveexec_b64 s[6:7], vcc
	s_xor_b64 s[6:7], exec, s[6:7]
	s_cbranch_execnz .LBB85_166
; %bb.79:                               ;   in Loop: Header=BB85_65 Depth=1
	s_or_saveexec_b64 s[6:7], s[6:7]
                                        ; implicit-def: $sgpr8
	s_xor_b64 exec, exec, s[6:7]
	s_cbranch_execnz .LBB85_167
.LBB85_80:                              ;   in Loop: Header=BB85_65 Depth=1
	s_or_b64 exec, exec, s[6:7]
	v_mov_b32_e32 v4, s8
	s_and_saveexec_b64 s[6:7], s[4:5]
.LBB85_81:                              ;   in Loop: Header=BB85_65 Depth=1
	v_lshrrev_b32_e32 v4, 24, v9
	v_and_or_b32 v4, v4, s29, v16
.LBB85_82:                              ;   in Loop: Header=BB85_65 Depth=1
	s_or_b64 exec, exec, s[6:7]
.LBB85_83:                              ;   in Loop: Header=BB85_65 Depth=1
	s_or_b64 exec, exec, s[2:3]
	v_and_b32_e32 v5, 0xffff0000, v5
	v_mul_f32_e32 v5, v36, v5
	v_bfe_u32 v9, v5, 16, 1
	v_add3_u32 v9, v5, v9, s24
	v_and_b32_e32 v9, 0xffff0000, v9
	v_cmp_o_f32_e32 vcc, v5, v5
	v_cndmask_b32_e32 v5, v15, v9, vcc
	v_and_b32_e32 v3, 0xffff0000, v3
	v_mul_f32_e32 v3, v5, v3
	v_bfe_u32 v5, v3, 16, 1
	v_add3_u32 v5, v3, v5, s24
	v_and_b32_e32 v5, 0xffff0000, v5
	v_cmp_o_f32_e32 vcc, v3, v3
	v_cndmask_b32_e32 v3, v15, v5, vcc
	v_div_scale_f32 v5, s[2:3], v6, v6, v3
	v_rcp_f32_e32 v9, v5
	v_fma_f32 v16, -v5, v9, 1.0
	v_fmac_f32_e32 v9, v16, v9
	v_div_scale_f32 v16, vcc, v3, v6, v3
	v_mul_f32_e32 v17, v16, v9
	v_fma_f32 v18, -v5, v17, v16
	v_fmac_f32_e32 v17, v18, v9
	v_fma_f32 v5, -v5, v17, v16
	v_div_fmas_f32 v5, v5, v9, v17
	v_div_fixup_f32 v3, v5, v6, v3
	v_min_f32_e32 v3, 0x43600000, v3
	v_max_f32_e32 v3, 0xc3600000, v3
	v_and_b32_e32 v5, 0x7fffffff, v3
	v_cmp_gt_u32_e32 vcc, s25, v5
	s_and_saveexec_b64 s[2:3], vcc
	s_cbranch_execz .LBB85_89
; %bb.84:                               ;   in Loop: Header=BB85_65 Depth=1
	v_cmp_lt_u32_e32 vcc, s26, v5
	s_mov_b64 s[4:5], 0
                                        ; implicit-def: $vgpr5
	s_and_saveexec_b64 s[6:7], vcc
	s_xor_b64 s[6:7], exec, s[6:7]
	s_cbranch_execnz .LBB85_168
; %bb.85:                               ;   in Loop: Header=BB85_65 Depth=1
	s_or_saveexec_b64 s[6:7], s[6:7]
                                        ; implicit-def: $sgpr8
	s_xor_b64 exec, exec, s[6:7]
	s_cbranch_execnz .LBB85_169
.LBB85_86:                              ;   in Loop: Header=BB85_65 Depth=1
	s_or_b64 exec, exec, s[6:7]
	v_mov_b32_e32 v2, s8
	s_and_saveexec_b64 s[6:7], s[4:5]
.LBB85_87:                              ;   in Loop: Header=BB85_65 Depth=1
	v_lshrrev_b32_e32 v2, 24, v3
	v_and_or_b32 v2, v2, s29, v5
.LBB85_88:                              ;   in Loop: Header=BB85_65 Depth=1
	s_or_b64 exec, exec, s[6:7]
.LBB85_89:                              ;   in Loop: Header=BB85_65 Depth=1
	s_or_b64 exec, exec, s[2:3]
	v_lshlrev_b64 v[16:17], 2, v[0:1]
	v_mov_b32_e32 v3, s19
	v_add_co_u32_e32 v16, vcc, s17, v16
	v_addc_co_u32_e32 v17, vcc, v3, v17, vcc
	v_lshlrev_b32_e32 v3, 16, v4
	v_perm_b32 v2, v2, v3, s30
	v_lshlrev_b32_e32 v3, 8, v7
	v_and_b32_e32 v3, 0xff00, v3
	v_and_b32_e32 v4, 0xff, v8
	v_or3_b32 v2, v2, v3, v4
	global_store_dword v[16:17], v2, off
	v_add_u32_e32 v2, s16, v0
	v_cmp_gt_u32_e32 vcc, s18, v2
	s_mov_b64 s[4:5], -1
	s_and_saveexec_b64 s[2:3], vcc
	s_cbranch_execz .LBB85_64
; %bb.90:                               ;   in Loop: Header=BB85_65 Depth=1
	v_mov_b32_e32 v3, v1
	v_lshlrev_b64 v[6:7], 3, v[2:3]
	v_mov_b32_e32 v5, s42
	v_add_co_u32_e32 v4, vcc, s33, v6
	v_addc_co_u32_e32 v5, vcc, v5, v7, vcc
	global_load_dwordx2 v[4:5], v[4:5], off
	v_mov_b32_e32 v8, s15
	v_add_co_u32_e32 v6, vcc, s14, v6
	v_bfe_u32 v17, v2, 4, 26
	v_addc_co_u32_e32 v7, vcc, v8, v7, vcc
	v_mad_u64_u32 v[8:9], s[4:5], v10, v17, 0
	global_load_dwordx2 v[6:7], v[6:7], off
	v_mov_b32_e32 v16, v9
	v_mad_u64_u32 v[16:17], s[4:5], v11, v17, v[16:17]
	v_mov_b32_e32 v9, v16
	v_lshlrev_b64 v[8:9], 2, v[8:9]
	v_mov_b32_e32 v16, s21
	v_add_co_u32_e32 v8, vcc, s20, v8
	v_addc_co_u32_e32 v9, vcc, v16, v9, vcc
	global_load_dword v8, v[8:9], off
	s_waitcnt vmcnt(2)
	v_lshlrev_b32_e32 v9, 16, v4
	v_mul_f32_e32 v9, v36, v9
	v_bfe_u32 v17, v9, 16, 1
	v_add3_u32 v17, v9, v17, s24
	v_and_b32_e32 v17, 0xffff0000, v17
	v_cmp_o_f32_e32 vcc, v9, v9
	v_cndmask_b32_e32 v9, v15, v17, vcc
	s_waitcnt vmcnt(1)
	v_lshlrev_b32_e32 v16, 16, v6
	v_mul_f32_e32 v9, v9, v16
	v_bfe_u32 v16, v9, 16, 1
	v_add3_u32 v16, v9, v16, s24
	v_and_b32_e32 v16, 0xffff0000, v16
	v_cmp_o_f32_e32 vcc, v9, v9
	v_cndmask_b32_e32 v16, v15, v16, vcc
	v_mov_b32_e32 v9, 0x80
	s_waitcnt vmcnt(0)
	v_div_scale_f32 v17, s[4:5], v8, v8, v16
	v_rcp_f32_e32 v18, v17
	v_div_scale_f32 v19, vcc, v16, v8, v16
	v_fma_f32 v20, -v17, v18, 1.0
	v_fmac_f32_e32 v18, v20, v18
	v_mul_f32_e32 v20, v19, v18
	v_fma_f32 v21, -v17, v20, v19
	v_fmac_f32_e32 v20, v21, v18
	v_fma_f32 v17, -v17, v20, v19
	v_div_fmas_f32 v17, v17, v18, v20
	v_div_fixup_f32 v16, v17, v8, v16
	v_min_f32_e32 v16, 0x43600000, v16
	v_max_f32_e32 v17, 0xc3600000, v16
	v_and_b32_e32 v18, 0x7fffffff, v17
	v_cmp_gt_u32_e32 vcc, s25, v18
	v_mov_b32_e32 v16, 0x80
	s_and_saveexec_b64 s[4:5], vcc
	s_cbranch_execz .LBB85_96
; %bb.91:                               ;   in Loop: Header=BB85_65 Depth=1
	v_cmp_lt_u32_e32 vcc, s26, v18
	s_mov_b64 s[6:7], 0
                                        ; implicit-def: $vgpr18
	s_and_saveexec_b64 s[8:9], vcc
	s_xor_b64 s[8:9], exec, s[8:9]
	s_cbranch_execnz .LBB85_170
; %bb.92:                               ;   in Loop: Header=BB85_65 Depth=1
	s_or_saveexec_b64 s[8:9], s[8:9]
                                        ; implicit-def: $sgpr10
	s_xor_b64 exec, exec, s[8:9]
	s_cbranch_execnz .LBB85_171
.LBB85_93:                              ;   in Loop: Header=BB85_65 Depth=1
	s_or_b64 exec, exec, s[8:9]
	v_mov_b32_e32 v16, s10
	s_and_saveexec_b64 s[8:9], s[6:7]
.LBB85_94:                              ;   in Loop: Header=BB85_65 Depth=1
	v_lshrrev_b32_e32 v16, 24, v17
	v_and_or_b32 v16, v16, s29, v18
.LBB85_95:                              ;   in Loop: Header=BB85_65 Depth=1
	s_or_b64 exec, exec, s[8:9]
.LBB85_96:                              ;   in Loop: Header=BB85_65 Depth=1
	s_or_b64 exec, exec, s[4:5]
	v_and_b32_e32 v17, 0xffff0000, v4
	v_mul_f32_e32 v17, v36, v17
	v_bfe_u32 v19, v17, 16, 1
	v_add3_u32 v19, v17, v19, s24
	v_and_b32_e32 v19, 0xffff0000, v19
	v_cmp_o_f32_e32 vcc, v17, v17
	v_and_b32_e32 v18, 0xffff0000, v6
	v_cndmask_b32_e32 v17, v15, v19, vcc
	v_mul_f32_e32 v17, v17, v18
	v_bfe_u32 v18, v17, 16, 1
	v_add3_u32 v18, v17, v18, s24
	v_and_b32_e32 v18, 0xffff0000, v18
	v_cmp_o_f32_e32 vcc, v17, v17
	v_cndmask_b32_e32 v17, v15, v18, vcc
	v_div_scale_f32 v18, s[4:5], v8, v8, v17
	v_rcp_f32_e32 v19, v18
	v_fma_f32 v20, -v18, v19, 1.0
	v_fmac_f32_e32 v19, v20, v19
	v_div_scale_f32 v20, vcc, v17, v8, v17
	v_mul_f32_e32 v21, v20, v19
	v_fma_f32 v22, -v18, v21, v20
	v_fmac_f32_e32 v21, v22, v19
	v_fma_f32 v18, -v18, v21, v20
	v_div_fmas_f32 v18, v18, v19, v21
	v_div_fixup_f32 v17, v18, v8, v17
	v_min_f32_e32 v17, 0x43600000, v17
	v_max_f32_e32 v17, 0xc3600000, v17
	v_and_b32_e32 v18, 0x7fffffff, v17
	v_cmp_gt_u32_e32 vcc, s25, v18
	s_and_saveexec_b64 s[4:5], vcc
	s_cbranch_execz .LBB85_102
; %bb.97:                               ;   in Loop: Header=BB85_65 Depth=1
	v_cmp_lt_u32_e32 vcc, s26, v18
	s_mov_b64 s[6:7], 0
                                        ; implicit-def: $vgpr18
	s_and_saveexec_b64 s[8:9], vcc
	s_xor_b64 s[8:9], exec, s[8:9]
	s_cbranch_execnz .LBB85_172
; %bb.98:                               ;   in Loop: Header=BB85_65 Depth=1
	s_or_saveexec_b64 s[8:9], s[8:9]
                                        ; implicit-def: $sgpr10
	s_xor_b64 exec, exec, s[8:9]
	s_cbranch_execnz .LBB85_173
.LBB85_99:                              ;   in Loop: Header=BB85_65 Depth=1
	s_or_b64 exec, exec, s[8:9]
	v_mov_b32_e32 v9, s10
	s_and_saveexec_b64 s[8:9], s[6:7]
.LBB85_100:                             ;   in Loop: Header=BB85_65 Depth=1
	v_lshrrev_b32_e32 v9, 24, v17
	v_and_or_b32 v9, v9, s29, v18
.LBB85_101:                             ;   in Loop: Header=BB85_65 Depth=1
	s_or_b64 exec, exec, s[8:9]
.LBB85_102:                             ;   in Loop: Header=BB85_65 Depth=1
	s_or_b64 exec, exec, s[4:5]
	v_alignbit_b32 v4, v5, v4, 16
	v_and_b32_e32 v4, 0xffff0000, v4
	v_mul_f32_e32 v4, v36, v4
	v_bfe_u32 v17, v4, 16, 1
	v_add3_u32 v17, v4, v17, s24
	v_and_b32_e32 v17, 0xffff0000, v17
	v_cmp_o_f32_e32 vcc, v4, v4
	v_alignbit_b32 v6, v7, v6, 16
	v_cndmask_b32_e32 v4, v15, v17, vcc
	v_and_b32_e32 v6, 0xffff0000, v6
	v_mul_f32_e32 v4, v4, v6
	v_bfe_u32 v6, v4, 16, 1
	v_add3_u32 v6, v4, v6, s24
	v_and_b32_e32 v6, 0xffff0000, v6
	v_cmp_o_f32_e32 vcc, v4, v4
	v_cndmask_b32_e32 v4, v15, v6, vcc
	v_div_scale_f32 v6, s[4:5], v8, v8, v4
	v_rcp_f32_e32 v17, v6
	v_fma_f32 v18, -v6, v17, 1.0
	v_fmac_f32_e32 v17, v18, v17
	v_div_scale_f32 v18, vcc, v4, v8, v4
	v_mul_f32_e32 v19, v18, v17
	v_fma_f32 v20, -v6, v19, v18
	v_fmac_f32_e32 v19, v20, v17
	v_fma_f32 v6, -v6, v19, v18
	v_div_fmas_f32 v6, v6, v17, v19
	v_div_fixup_f32 v4, v6, v8, v4
	v_min_f32_e32 v4, 0x43600000, v4
	v_max_f32_e32 v17, 0xc3600000, v4
	v_and_b32_e32 v18, 0x7fffffff, v17
	v_cmp_gt_u32_e32 vcc, s25, v18
	v_mov_b32_e32 v4, 0x80
	v_mov_b32_e32 v6, 0x80
	s_and_saveexec_b64 s[4:5], vcc
	s_cbranch_execz .LBB85_108
; %bb.103:                              ;   in Loop: Header=BB85_65 Depth=1
	v_cmp_lt_u32_e32 vcc, s26, v18
	s_mov_b64 s[6:7], 0
                                        ; implicit-def: $vgpr18
	s_and_saveexec_b64 s[8:9], vcc
	s_xor_b64 s[8:9], exec, s[8:9]
	s_cbranch_execnz .LBB85_174
; %bb.104:                              ;   in Loop: Header=BB85_65 Depth=1
	s_or_saveexec_b64 s[8:9], s[8:9]
                                        ; implicit-def: $sgpr10
	s_xor_b64 exec, exec, s[8:9]
	s_cbranch_execnz .LBB85_175
.LBB85_105:                             ;   in Loop: Header=BB85_65 Depth=1
	s_or_b64 exec, exec, s[8:9]
	v_mov_b32_e32 v6, s10
	s_and_saveexec_b64 s[8:9], s[6:7]
.LBB85_106:                             ;   in Loop: Header=BB85_65 Depth=1
	v_lshrrev_b32_e32 v6, 24, v17
	v_and_or_b32 v6, v6, s29, v18
.LBB85_107:                             ;   in Loop: Header=BB85_65 Depth=1
	s_or_b64 exec, exec, s[8:9]
.LBB85_108:                             ;   in Loop: Header=BB85_65 Depth=1
	s_or_b64 exec, exec, s[4:5]
	v_and_b32_e32 v5, 0xffff0000, v5
	v_mul_f32_e32 v5, v36, v5
	v_bfe_u32 v17, v5, 16, 1
	v_add3_u32 v17, v5, v17, s24
	v_and_b32_e32 v17, 0xffff0000, v17
	v_cmp_o_f32_e32 vcc, v5, v5
	v_cndmask_b32_e32 v5, v15, v17, vcc
	v_and_b32_e32 v7, 0xffff0000, v7
	v_mul_f32_e32 v5, v5, v7
	v_bfe_u32 v7, v5, 16, 1
	v_add3_u32 v7, v5, v7, s24
	v_and_b32_e32 v7, 0xffff0000, v7
	v_cmp_o_f32_e32 vcc, v5, v5
	v_cndmask_b32_e32 v5, v15, v7, vcc
	v_div_scale_f32 v7, s[4:5], v8, v8, v5
	v_rcp_f32_e32 v17, v7
	v_fma_f32 v18, -v7, v17, 1.0
	v_fmac_f32_e32 v17, v18, v17
	v_div_scale_f32 v18, vcc, v5, v8, v5
	v_mul_f32_e32 v19, v18, v17
	v_fma_f32 v20, -v7, v19, v18
	v_fmac_f32_e32 v19, v20, v17
	v_fma_f32 v7, -v7, v19, v18
	v_div_fmas_f32 v7, v7, v17, v19
	v_div_fixup_f32 v5, v7, v8, v5
	v_min_f32_e32 v5, 0x43600000, v5
	v_max_f32_e32 v5, 0xc3600000, v5
	v_and_b32_e32 v7, 0x7fffffff, v5
	v_cmp_gt_u32_e32 vcc, s25, v7
	s_and_saveexec_b64 s[4:5], vcc
	s_cbranch_execz .LBB85_114
; %bb.109:                              ;   in Loop: Header=BB85_65 Depth=1
	v_cmp_lt_u32_e32 vcc, s26, v7
	s_mov_b64 s[6:7], 0
                                        ; implicit-def: $vgpr7
	s_and_saveexec_b64 s[8:9], vcc
	s_xor_b64 s[8:9], exec, s[8:9]
	s_cbranch_execnz .LBB85_176
; %bb.110:                              ;   in Loop: Header=BB85_65 Depth=1
	s_or_saveexec_b64 s[8:9], s[8:9]
                                        ; implicit-def: $sgpr10
	s_xor_b64 exec, exec, s[8:9]
	s_cbranch_execnz .LBB85_177
.LBB85_111:                             ;   in Loop: Header=BB85_65 Depth=1
	s_or_b64 exec, exec, s[8:9]
	v_mov_b32_e32 v4, s10
	s_and_saveexec_b64 s[8:9], s[6:7]
.LBB85_112:                             ;   in Loop: Header=BB85_65 Depth=1
	v_lshrrev_b32_e32 v4, 24, v5
	v_and_or_b32 v4, v4, s29, v7
.LBB85_113:                             ;   in Loop: Header=BB85_65 Depth=1
	s_or_b64 exec, exec, s[8:9]
.LBB85_114:                             ;   in Loop: Header=BB85_65 Depth=1
	s_or_b64 exec, exec, s[4:5]
	v_lshlrev_b64 v[18:19], 2, v[2:3]
	v_mov_b32_e32 v3, s19
	v_add_co_u32_e32 v18, vcc, s17, v18
	v_addc_co_u32_e32 v19, vcc, v3, v19, vcc
	v_lshlrev_b32_e32 v3, 16, v6
	v_perm_b32 v3, v4, v3, s30
	v_lshlrev_b32_e32 v4, 8, v9
	v_and_b32_e32 v4, 0xff00, v4
	v_and_b32_e32 v5, 0xff, v16
	v_or3_b32 v3, v3, v4, v5
	v_add_u32_e32 v4, s23, v0
	v_cmp_gt_u32_e32 vcc, s18, v4
	s_mov_b64 s[6:7], -1
	global_store_dword v[18:19], v3, off
	s_and_saveexec_b64 s[4:5], vcc
	s_cbranch_execz .LBB85_63
; %bb.115:                              ;   in Loop: Header=BB85_65 Depth=1
	v_mov_b32_e32 v5, v1
	v_lshlrev_b64 v[8:9], 3, v[4:5]
	v_mov_b32_e32 v3, s42
	v_add_co_u32_e32 v6, vcc, s33, v8
	v_addc_co_u32_e32 v7, vcc, v3, v9, vcc
	global_load_dwordx2 v[6:7], v[6:7], off
	v_mov_b32_e32 v3, s15
	v_add_co_u32_e32 v8, vcc, s14, v8
	v_addc_co_u32_e32 v9, vcc, v3, v9, vcc
	v_bfe_u32 v3, v4, 4, 26
	v_mad_u64_u32 v[16:17], s[6:7], v10, v3, 0
	global_load_dwordx2 v[8:9], v[8:9], off
	v_mov_b32_e32 v18, v17
	v_mad_u64_u32 v[18:19], s[6:7], v11, v3, v[18:19]
	v_mov_b32_e32 v17, v18
	v_lshlrev_b64 v[16:17], 2, v[16:17]
	v_mov_b32_e32 v3, s21
	v_add_co_u32_e32 v16, vcc, s20, v16
	v_addc_co_u32_e32 v17, vcc, v3, v17, vcc
	global_load_dword v3, v[16:17], off
	s_waitcnt vmcnt(2)
	v_lshlrev_b32_e32 v16, 16, v6
	v_mul_f32_e32 v16, v36, v16
	v_bfe_u32 v18, v16, 16, 1
	v_add3_u32 v18, v16, v18, s24
	v_and_b32_e32 v18, 0xffff0000, v18
	v_cmp_o_f32_e32 vcc, v16, v16
	v_cndmask_b32_e32 v16, v15, v18, vcc
	s_waitcnt vmcnt(1)
	v_lshlrev_b32_e32 v17, 16, v8
	v_mul_f32_e32 v16, v16, v17
	v_bfe_u32 v17, v16, 16, 1
	v_add3_u32 v17, v16, v17, s24
	v_and_b32_e32 v17, 0xffff0000, v17
	v_cmp_o_f32_e32 vcc, v16, v16
	v_cndmask_b32_e32 v17, v15, v17, vcc
	v_mov_b32_e32 v16, 0x80
	s_waitcnt vmcnt(0)
	v_div_scale_f32 v18, s[6:7], v3, v3, v17
	v_rcp_f32_e32 v19, v18
	v_div_scale_f32 v20, vcc, v17, v3, v17
	v_fma_f32 v21, -v18, v19, 1.0
	v_fmac_f32_e32 v19, v21, v19
	v_mul_f32_e32 v21, v20, v19
	v_fma_f32 v22, -v18, v21, v20
	v_fmac_f32_e32 v21, v22, v19
	v_fma_f32 v18, -v18, v21, v20
	v_div_fmas_f32 v18, v18, v19, v21
	v_div_fixup_f32 v17, v18, v3, v17
	v_min_f32_e32 v17, 0x43600000, v17
	v_max_f32_e32 v18, 0xc3600000, v17
	v_and_b32_e32 v19, 0x7fffffff, v18
	v_cmp_gt_u32_e32 vcc, s25, v19
	v_mov_b32_e32 v17, 0x80
	s_and_saveexec_b64 s[6:7], vcc
	s_cbranch_execz .LBB85_121
; %bb.116:                              ;   in Loop: Header=BB85_65 Depth=1
	v_cmp_lt_u32_e32 vcc, s26, v19
	s_mov_b64 s[8:9], 0
                                        ; implicit-def: $vgpr19
	s_and_saveexec_b64 s[10:11], vcc
	s_xor_b64 s[10:11], exec, s[10:11]
	s_cbranch_execnz .LBB85_178
; %bb.117:                              ;   in Loop: Header=BB85_65 Depth=1
	s_or_saveexec_b64 s[10:11], s[10:11]
                                        ; implicit-def: $sgpr12
	s_xor_b64 exec, exec, s[10:11]
	s_cbranch_execnz .LBB85_179
.LBB85_118:                             ;   in Loop: Header=BB85_65 Depth=1
	s_or_b64 exec, exec, s[10:11]
	v_mov_b32_e32 v17, s12
	s_and_saveexec_b64 s[10:11], s[8:9]
.LBB85_119:                             ;   in Loop: Header=BB85_65 Depth=1
	v_lshrrev_b32_e32 v17, 24, v18
	v_and_or_b32 v17, v17, s29, v19
.LBB85_120:                             ;   in Loop: Header=BB85_65 Depth=1
	s_or_b64 exec, exec, s[10:11]
.LBB85_121:                             ;   in Loop: Header=BB85_65 Depth=1
	s_or_b64 exec, exec, s[6:7]
	v_and_b32_e32 v18, 0xffff0000, v6
	v_mul_f32_e32 v18, v36, v18
	v_bfe_u32 v20, v18, 16, 1
	v_add3_u32 v20, v18, v20, s24
	v_and_b32_e32 v20, 0xffff0000, v20
	v_cmp_o_f32_e32 vcc, v18, v18
	v_and_b32_e32 v19, 0xffff0000, v8
	v_cndmask_b32_e32 v18, v15, v20, vcc
	v_mul_f32_e32 v18, v18, v19
	v_bfe_u32 v19, v18, 16, 1
	v_add3_u32 v19, v18, v19, s24
	v_and_b32_e32 v19, 0xffff0000, v19
	v_cmp_o_f32_e32 vcc, v18, v18
	v_cndmask_b32_e32 v18, v15, v19, vcc
	v_div_scale_f32 v19, s[6:7], v3, v3, v18
	v_rcp_f32_e32 v20, v19
	v_fma_f32 v21, -v19, v20, 1.0
	v_fmac_f32_e32 v20, v21, v20
	v_div_scale_f32 v21, vcc, v18, v3, v18
	v_mul_f32_e32 v22, v21, v20
	v_fma_f32 v23, -v19, v22, v21
	v_fmac_f32_e32 v22, v23, v20
	v_fma_f32 v19, -v19, v22, v21
	v_div_fmas_f32 v19, v19, v20, v22
	v_div_fixup_f32 v18, v19, v3, v18
	v_min_f32_e32 v18, 0x43600000, v18
	v_max_f32_e32 v18, 0xc3600000, v18
	v_and_b32_e32 v19, 0x7fffffff, v18
	v_cmp_gt_u32_e32 vcc, s25, v19
	s_and_saveexec_b64 s[6:7], vcc
	s_cbranch_execz .LBB85_127
; %bb.122:                              ;   in Loop: Header=BB85_65 Depth=1
	v_cmp_lt_u32_e32 vcc, s26, v19
	s_mov_b64 s[8:9], 0
                                        ; implicit-def: $vgpr19
	s_and_saveexec_b64 s[10:11], vcc
	s_xor_b64 s[10:11], exec, s[10:11]
	s_cbranch_execnz .LBB85_180
; %bb.123:                              ;   in Loop: Header=BB85_65 Depth=1
	s_or_saveexec_b64 s[10:11], s[10:11]
                                        ; implicit-def: $sgpr12
	s_xor_b64 exec, exec, s[10:11]
	s_cbranch_execnz .LBB85_181
.LBB85_124:                             ;   in Loop: Header=BB85_65 Depth=1
	s_or_b64 exec, exec, s[10:11]
	v_mov_b32_e32 v16, s12
	s_and_saveexec_b64 s[10:11], s[8:9]
.LBB85_125:                             ;   in Loop: Header=BB85_65 Depth=1
	v_lshrrev_b32_e32 v16, 24, v18
	v_and_or_b32 v16, v16, s29, v19
.LBB85_126:                             ;   in Loop: Header=BB85_65 Depth=1
	s_or_b64 exec, exec, s[10:11]
.LBB85_127:                             ;   in Loop: Header=BB85_65 Depth=1
	s_or_b64 exec, exec, s[6:7]
	v_alignbit_b32 v6, v7, v6, 16
	v_and_b32_e32 v6, 0xffff0000, v6
	v_mul_f32_e32 v6, v36, v6
	v_bfe_u32 v18, v6, 16, 1
	v_add3_u32 v18, v6, v18, s24
	v_and_b32_e32 v18, 0xffff0000, v18
	v_cmp_o_f32_e32 vcc, v6, v6
	v_alignbit_b32 v8, v9, v8, 16
	v_cndmask_b32_e32 v6, v15, v18, vcc
	v_and_b32_e32 v8, 0xffff0000, v8
	v_mul_f32_e32 v6, v6, v8
	v_bfe_u32 v8, v6, 16, 1
	v_add3_u32 v8, v6, v8, s24
	v_and_b32_e32 v8, 0xffff0000, v8
	v_cmp_o_f32_e32 vcc, v6, v6
	v_cndmask_b32_e32 v6, v15, v8, vcc
	v_div_scale_f32 v8, s[6:7], v3, v3, v6
	v_rcp_f32_e32 v18, v8
	v_fma_f32 v19, -v8, v18, 1.0
	v_fmac_f32_e32 v18, v19, v18
	v_div_scale_f32 v19, vcc, v6, v3, v6
	v_mul_f32_e32 v20, v19, v18
	v_fma_f32 v21, -v8, v20, v19
	v_fmac_f32_e32 v20, v21, v18
	v_fma_f32 v8, -v8, v20, v19
	v_div_fmas_f32 v8, v8, v18, v20
	v_div_fixup_f32 v6, v8, v3, v6
	v_min_f32_e32 v6, 0x43600000, v6
	v_max_f32_e32 v18, 0xc3600000, v6
	v_and_b32_e32 v19, 0x7fffffff, v18
	v_cmp_gt_u32_e32 vcc, s25, v19
	v_mov_b32_e32 v6, 0x80
	v_mov_b32_e32 v8, 0x80
	s_and_saveexec_b64 s[6:7], vcc
	s_cbranch_execz .LBB85_133
; %bb.128:                              ;   in Loop: Header=BB85_65 Depth=1
	v_cmp_lt_u32_e32 vcc, s26, v19
	s_mov_b64 s[8:9], 0
                                        ; implicit-def: $vgpr19
	s_and_saveexec_b64 s[10:11], vcc
	s_xor_b64 s[10:11], exec, s[10:11]
	s_cbranch_execnz .LBB85_182
; %bb.129:                              ;   in Loop: Header=BB85_65 Depth=1
	s_or_saveexec_b64 s[10:11], s[10:11]
                                        ; implicit-def: $sgpr12
	s_xor_b64 exec, exec, s[10:11]
	s_cbranch_execnz .LBB85_183
.LBB85_130:                             ;   in Loop: Header=BB85_65 Depth=1
	s_or_b64 exec, exec, s[10:11]
	v_mov_b32_e32 v8, s12
	s_and_saveexec_b64 s[10:11], s[8:9]
.LBB85_131:                             ;   in Loop: Header=BB85_65 Depth=1
	v_lshrrev_b32_e32 v8, 24, v18
	v_and_or_b32 v8, v8, s29, v19
.LBB85_132:                             ;   in Loop: Header=BB85_65 Depth=1
	s_or_b64 exec, exec, s[10:11]
.LBB85_133:                             ;   in Loop: Header=BB85_65 Depth=1
	s_or_b64 exec, exec, s[6:7]
	v_and_b32_e32 v7, 0xffff0000, v7
	v_mul_f32_e32 v7, v36, v7
	v_bfe_u32 v18, v7, 16, 1
	v_add3_u32 v18, v7, v18, s24
	v_and_b32_e32 v18, 0xffff0000, v18
	v_cmp_o_f32_e32 vcc, v7, v7
	v_cndmask_b32_e32 v7, v15, v18, vcc
	v_and_b32_e32 v9, 0xffff0000, v9
	v_mul_f32_e32 v7, v7, v9
	v_bfe_u32 v9, v7, 16, 1
	v_add3_u32 v9, v7, v9, s24
	v_and_b32_e32 v9, 0xffff0000, v9
	v_cmp_o_f32_e32 vcc, v7, v7
	v_cndmask_b32_e32 v7, v15, v9, vcc
	v_div_scale_f32 v9, s[6:7], v3, v3, v7
	v_rcp_f32_e32 v18, v9
	v_fma_f32 v19, -v9, v18, 1.0
	v_fmac_f32_e32 v18, v19, v18
	v_div_scale_f32 v19, vcc, v7, v3, v7
	v_mul_f32_e32 v20, v19, v18
	v_fma_f32 v21, -v9, v20, v19
	v_fmac_f32_e32 v20, v21, v18
	v_fma_f32 v9, -v9, v20, v19
	v_div_fmas_f32 v9, v9, v18, v20
	v_div_fixup_f32 v3, v9, v3, v7
	v_min_f32_e32 v3, 0x43600000, v3
	v_max_f32_e32 v3, 0xc3600000, v3
	v_and_b32_e32 v7, 0x7fffffff, v3
	v_cmp_gt_u32_e32 vcc, s25, v7
	s_and_saveexec_b64 s[6:7], vcc
	s_cbranch_execz .LBB85_139
; %bb.134:                              ;   in Loop: Header=BB85_65 Depth=1
	v_cmp_lt_u32_e32 vcc, s26, v7
	s_mov_b64 s[8:9], 0
                                        ; implicit-def: $vgpr7
	s_and_saveexec_b64 s[10:11], vcc
	s_xor_b64 s[10:11], exec, s[10:11]
	s_cbranch_execnz .LBB85_184
; %bb.135:                              ;   in Loop: Header=BB85_65 Depth=1
	s_or_saveexec_b64 s[10:11], s[10:11]
                                        ; implicit-def: $sgpr12
	s_xor_b64 exec, exec, s[10:11]
	s_cbranch_execnz .LBB85_185
.LBB85_136:                             ;   in Loop: Header=BB85_65 Depth=1
	s_or_b64 exec, exec, s[10:11]
	v_mov_b32_e32 v6, s12
	s_and_saveexec_b64 s[10:11], s[8:9]
.LBB85_137:                             ;   in Loop: Header=BB85_65 Depth=1
	v_lshrrev_b32_e32 v3, 24, v3
	v_and_or_b32 v6, v3, s29, v7
.LBB85_138:                             ;   in Loop: Header=BB85_65 Depth=1
	s_or_b64 exec, exec, s[10:11]
.LBB85_139:                             ;   in Loop: Header=BB85_65 Depth=1
	s_or_b64 exec, exec, s[6:7]
	v_lshlrev_b64 v[4:5], 2, v[4:5]
	v_mov_b32_e32 v3, s19
	v_add_co_u32_e32 v4, vcc, s17, v4
	v_addc_co_u32_e32 v5, vcc, v3, v5, vcc
	v_lshlrev_b32_e32 v3, 16, v8
	v_perm_b32 v3, v6, v3, s30
	v_lshlrev_b32_e32 v6, 8, v16
	v_and_b32_e32 v6, 0xff00, v6
	v_and_b32_e32 v7, 0xff, v17
	v_add_u32_e32 v0, s22, v0
	v_or3_b32 v3, v3, v6, v7
	v_cmp_gt_u32_e32 vcc, s18, v0
	s_mov_b64 s[8:9], -1
	global_store_dword v[4:5], v3, off
	s_and_saveexec_b64 s[6:7], vcc
	s_cbranch_execz .LBB85_62
; %bb.140:                              ;   in Loop: Header=BB85_65 Depth=1
	v_lshlrev_b64 v[6:7], 3, v[0:1]
	v_mov_b32_e32 v3, s42
	v_add_co_u32_e32 v4, vcc, s33, v6
	v_addc_co_u32_e32 v5, vcc, v3, v7, vcc
	global_load_dwordx2 v[4:5], v[4:5], off
	v_mov_b32_e32 v3, s15
	v_add_co_u32_e32 v6, vcc, s14, v6
	v_addc_co_u32_e32 v7, vcc, v3, v7, vcc
	v_bfe_u32 v3, v0, 4, 26
	v_mad_u64_u32 v[8:9], s[8:9], v10, v3, 0
	global_load_dwordx2 v[6:7], v[6:7], off
	v_mov_b32_e32 v16, v9
	v_mad_u64_u32 v[16:17], s[8:9], v11, v3, v[16:17]
	v_mov_b32_e32 v9, v16
	v_lshlrev_b64 v[8:9], 2, v[8:9]
	v_mov_b32_e32 v3, s21
	v_add_co_u32_e32 v8, vcc, s20, v8
	v_addc_co_u32_e32 v9, vcc, v3, v9, vcc
	global_load_dword v3, v[8:9], off
	s_waitcnt vmcnt(2)
	v_lshlrev_b32_e32 v8, 16, v4
	v_mul_f32_e32 v8, v36, v8
	v_bfe_u32 v16, v8, 16, 1
	v_add3_u32 v16, v8, v16, s24
	v_and_b32_e32 v16, 0xffff0000, v16
	v_cmp_o_f32_e32 vcc, v8, v8
	v_cndmask_b32_e32 v8, v15, v16, vcc
	s_waitcnt vmcnt(1)
	v_lshlrev_b32_e32 v9, 16, v6
	v_mul_f32_e32 v8, v8, v9
	v_bfe_u32 v9, v8, 16, 1
	v_add3_u32 v9, v8, v9, s24
	v_and_b32_e32 v9, 0xffff0000, v9
	v_cmp_o_f32_e32 vcc, v8, v8
	v_cndmask_b32_e32 v9, v15, v9, vcc
	v_mov_b32_e32 v8, 0x80
	s_waitcnt vmcnt(0)
	v_div_scale_f32 v16, s[8:9], v3, v3, v9
	v_rcp_f32_e32 v17, v16
	v_div_scale_f32 v18, vcc, v9, v3, v9
	v_fma_f32 v19, -v16, v17, 1.0
	v_fmac_f32_e32 v17, v19, v17
	v_mul_f32_e32 v19, v18, v17
	v_fma_f32 v20, -v16, v19, v18
	v_fmac_f32_e32 v19, v20, v17
	v_fma_f32 v16, -v16, v19, v18
	v_div_fmas_f32 v16, v16, v17, v19
	v_div_fixup_f32 v9, v16, v3, v9
	v_min_f32_e32 v9, 0x43600000, v9
	v_max_f32_e32 v16, 0xc3600000, v9
	v_and_b32_e32 v17, 0x7fffffff, v16
	v_cmp_gt_u32_e32 vcc, s25, v17
	v_mov_b32_e32 v9, 0x80
	s_and_saveexec_b64 s[8:9], vcc
	s_cbranch_execz .LBB85_146
; %bb.141:                              ;   in Loop: Header=BB85_65 Depth=1
	v_cmp_lt_u32_e32 vcc, s26, v17
	s_mov_b64 s[10:11], 0
                                        ; implicit-def: $vgpr17
	s_and_saveexec_b64 s[12:13], vcc
	s_xor_b64 s[12:13], exec, s[12:13]
	s_cbranch_execnz .LBB85_186
; %bb.142:                              ;   in Loop: Header=BB85_65 Depth=1
	s_or_saveexec_b64 s[12:13], s[12:13]
                                        ; implicit-def: $sgpr31
	s_xor_b64 exec, exec, s[12:13]
	s_cbranch_execnz .LBB85_187
.LBB85_143:                             ;   in Loop: Header=BB85_65 Depth=1
	s_or_b64 exec, exec, s[12:13]
	v_mov_b32_e32 v9, s31
	s_and_saveexec_b64 s[12:13], s[10:11]
.LBB85_144:                             ;   in Loop: Header=BB85_65 Depth=1
	v_lshrrev_b32_e32 v9, 24, v16
	v_and_or_b32 v9, v9, s29, v17
.LBB85_145:                             ;   in Loop: Header=BB85_65 Depth=1
	s_or_b64 exec, exec, s[12:13]
.LBB85_146:                             ;   in Loop: Header=BB85_65 Depth=1
	s_or_b64 exec, exec, s[8:9]
	v_and_b32_e32 v16, 0xffff0000, v4
	v_mul_f32_e32 v16, v36, v16
	v_bfe_u32 v18, v16, 16, 1
	v_add3_u32 v18, v16, v18, s24
	v_and_b32_e32 v18, 0xffff0000, v18
	v_cmp_o_f32_e32 vcc, v16, v16
	v_and_b32_e32 v17, 0xffff0000, v6
	v_cndmask_b32_e32 v16, v15, v18, vcc
	v_mul_f32_e32 v16, v16, v17
	v_bfe_u32 v17, v16, 16, 1
	v_add3_u32 v17, v16, v17, s24
	v_and_b32_e32 v17, 0xffff0000, v17
	v_cmp_o_f32_e32 vcc, v16, v16
	v_cndmask_b32_e32 v16, v15, v17, vcc
	v_div_scale_f32 v17, s[8:9], v3, v3, v16
	v_rcp_f32_e32 v18, v17
	v_fma_f32 v19, -v17, v18, 1.0
	v_fmac_f32_e32 v18, v19, v18
	v_div_scale_f32 v19, vcc, v16, v3, v16
	v_mul_f32_e32 v20, v19, v18
	v_fma_f32 v21, -v17, v20, v19
	v_fmac_f32_e32 v20, v21, v18
	v_fma_f32 v17, -v17, v20, v19
	v_div_fmas_f32 v17, v17, v18, v20
	v_div_fixup_f32 v16, v17, v3, v16
	v_min_f32_e32 v16, 0x43600000, v16
	v_max_f32_e32 v16, 0xc3600000, v16
	v_and_b32_e32 v17, 0x7fffffff, v16
	v_cmp_gt_u32_e32 vcc, s25, v17
	s_and_saveexec_b64 s[8:9], vcc
	s_cbranch_execz .LBB85_152
; %bb.147:                              ;   in Loop: Header=BB85_65 Depth=1
	v_cmp_lt_u32_e32 vcc, s26, v17
	s_mov_b64 s[10:11], 0
                                        ; implicit-def: $vgpr17
	s_and_saveexec_b64 s[12:13], vcc
	s_xor_b64 s[12:13], exec, s[12:13]
	s_cbranch_execnz .LBB85_188
; %bb.148:                              ;   in Loop: Header=BB85_65 Depth=1
	s_or_saveexec_b64 s[12:13], s[12:13]
                                        ; implicit-def: $sgpr31
	s_xor_b64 exec, exec, s[12:13]
	s_cbranch_execnz .LBB85_189
.LBB85_149:                             ;   in Loop: Header=BB85_65 Depth=1
	s_or_b64 exec, exec, s[12:13]
	v_mov_b32_e32 v8, s31
	s_and_saveexec_b64 s[12:13], s[10:11]
.LBB85_150:                             ;   in Loop: Header=BB85_65 Depth=1
	v_lshrrev_b32_e32 v8, 24, v16
	v_and_or_b32 v8, v8, s29, v17
.LBB85_151:                             ;   in Loop: Header=BB85_65 Depth=1
	s_or_b64 exec, exec, s[12:13]
.LBB85_152:                             ;   in Loop: Header=BB85_65 Depth=1
	s_or_b64 exec, exec, s[8:9]
	v_alignbit_b32 v4, v5, v4, 16
	v_and_b32_e32 v4, 0xffff0000, v4
	v_mul_f32_e32 v4, v36, v4
	v_bfe_u32 v16, v4, 16, 1
	v_add3_u32 v16, v4, v16, s24
	v_and_b32_e32 v16, 0xffff0000, v16
	v_cmp_o_f32_e32 vcc, v4, v4
	v_alignbit_b32 v6, v7, v6, 16
	v_cndmask_b32_e32 v4, v15, v16, vcc
	v_and_b32_e32 v6, 0xffff0000, v6
	v_mul_f32_e32 v4, v4, v6
	v_bfe_u32 v6, v4, 16, 1
	v_add3_u32 v6, v4, v6, s24
	v_and_b32_e32 v6, 0xffff0000, v6
	v_cmp_o_f32_e32 vcc, v4, v4
	v_cndmask_b32_e32 v4, v15, v6, vcc
	v_div_scale_f32 v6, s[8:9], v3, v3, v4
	v_rcp_f32_e32 v16, v6
	v_fma_f32 v17, -v6, v16, 1.0
	v_fmac_f32_e32 v16, v17, v16
	v_div_scale_f32 v17, vcc, v4, v3, v4
	v_mul_f32_e32 v18, v17, v16
	v_fma_f32 v19, -v6, v18, v17
	v_fmac_f32_e32 v18, v19, v16
	v_fma_f32 v6, -v6, v18, v17
	v_div_fmas_f32 v6, v6, v16, v18
	v_div_fixup_f32 v4, v6, v3, v4
	v_min_f32_e32 v4, 0x43600000, v4
	v_max_f32_e32 v16, 0xc3600000, v4
	v_and_b32_e32 v17, 0x7fffffff, v16
	v_cmp_gt_u32_e32 vcc, s25, v17
	v_mov_b32_e32 v4, 0x80
	v_mov_b32_e32 v6, 0x80
	s_and_saveexec_b64 s[8:9], vcc
	s_cbranch_execz .LBB85_158
; %bb.153:                              ;   in Loop: Header=BB85_65 Depth=1
	v_cmp_lt_u32_e32 vcc, s26, v17
	s_mov_b64 s[10:11], 0
                                        ; implicit-def: $vgpr17
	s_and_saveexec_b64 s[12:13], vcc
	s_xor_b64 s[12:13], exec, s[12:13]
	s_cbranch_execnz .LBB85_190
; %bb.154:                              ;   in Loop: Header=BB85_65 Depth=1
	s_or_saveexec_b64 s[12:13], s[12:13]
                                        ; implicit-def: $sgpr31
	s_xor_b64 exec, exec, s[12:13]
	s_cbranch_execnz .LBB85_191
.LBB85_155:                             ;   in Loop: Header=BB85_65 Depth=1
	s_or_b64 exec, exec, s[12:13]
	v_mov_b32_e32 v6, s31
	s_and_saveexec_b64 s[12:13], s[10:11]
.LBB85_156:                             ;   in Loop: Header=BB85_65 Depth=1
	v_lshrrev_b32_e32 v6, 24, v16
	v_and_or_b32 v6, v6, s29, v17
.LBB85_157:                             ;   in Loop: Header=BB85_65 Depth=1
	s_or_b64 exec, exec, s[12:13]
.LBB85_158:                             ;   in Loop: Header=BB85_65 Depth=1
	s_or_b64 exec, exec, s[8:9]
	v_and_b32_e32 v5, 0xffff0000, v5
	v_mul_f32_e32 v5, v36, v5
	v_bfe_u32 v16, v5, 16, 1
	v_add3_u32 v16, v5, v16, s24
	v_and_b32_e32 v16, 0xffff0000, v16
	v_cmp_o_f32_e32 vcc, v5, v5
	v_cndmask_b32_e32 v5, v15, v16, vcc
	v_and_b32_e32 v7, 0xffff0000, v7
	v_mul_f32_e32 v5, v5, v7
	v_bfe_u32 v7, v5, 16, 1
	v_add3_u32 v7, v5, v7, s24
	v_and_b32_e32 v7, 0xffff0000, v7
	v_cmp_o_f32_e32 vcc, v5, v5
	v_cndmask_b32_e32 v5, v15, v7, vcc
	v_div_scale_f32 v7, s[8:9], v3, v3, v5
	v_rcp_f32_e32 v16, v7
	v_fma_f32 v17, -v7, v16, 1.0
	v_fmac_f32_e32 v16, v17, v16
	v_div_scale_f32 v17, vcc, v5, v3, v5
	v_mul_f32_e32 v18, v17, v16
	v_fma_f32 v19, -v7, v18, v17
	v_fmac_f32_e32 v18, v19, v16
	v_fma_f32 v7, -v7, v18, v17
	v_div_fmas_f32 v7, v7, v16, v18
	v_div_fixup_f32 v3, v7, v3, v5
	v_min_f32_e32 v3, 0x43600000, v3
	v_max_f32_e32 v3, 0xc3600000, v3
	v_and_b32_e32 v5, 0x7fffffff, v3
	v_cmp_gt_u32_e32 vcc, s25, v5
	s_and_saveexec_b64 s[8:9], vcc
	s_cbranch_execz .LBB85_61
; %bb.159:                              ;   in Loop: Header=BB85_65 Depth=1
	v_cmp_lt_u32_e32 vcc, s26, v5
	s_mov_b64 s[10:11], 0
                                        ; implicit-def: $vgpr5
	s_and_saveexec_b64 s[12:13], vcc
	s_xor_b64 s[12:13], exec, s[12:13]
	s_cbranch_execnz .LBB85_192
; %bb.160:                              ;   in Loop: Header=BB85_65 Depth=1
	s_or_saveexec_b64 s[12:13], s[12:13]
                                        ; implicit-def: $sgpr31
	s_xor_b64 exec, exec, s[12:13]
	s_cbranch_execnz .LBB85_193
.LBB85_161:                             ;   in Loop: Header=BB85_65 Depth=1
	s_or_b64 exec, exec, s[12:13]
	v_mov_b32_e32 v4, s31
	s_and_saveexec_b64 s[12:13], s[10:11]
	s_cbranch_execz .LBB85_60
	s_branch .LBB85_194
.LBB85_162:                             ;   in Loop: Header=BB85_65 Depth=1
	v_bfe_u32 v8, v9, 20, 1
	v_add3_u32 v8, v9, v8, s27
	s_mov_b64 s[4:5], exec
	v_lshrrev_b32_e32 v16, 20, v8
	s_or_saveexec_b64 s[6:7], s[6:7]
                                        ; implicit-def: $sgpr8
	s_xor_b64 exec, exec, s[6:7]
	s_cbranch_execz .LBB85_68
.LBB85_163:                             ;   in Loop: Header=BB85_65 Depth=1
	v_add_f32_e64 v8, |v9|, s28
	v_and_b32_e32 v16, 0xff, v8
	v_cmp_ne_u32_e32 vcc, 0, v16
	s_andn2_b64 s[4:5], s[4:5], exec
	s_and_b64 s[10:11], vcc, exec
	s_mov_b32 s8, 0
	s_or_b64 s[4:5], s[4:5], s[10:11]
	s_or_b64 exec, exec, s[6:7]
	v_mov_b32_e32 v8, s8
	s_and_saveexec_b64 s[6:7], s[4:5]
	s_cbranch_execnz .LBB85_69
	s_branch .LBB85_70
.LBB85_164:                             ;   in Loop: Header=BB85_65 Depth=1
	v_bfe_u32 v7, v9, 20, 1
	v_add3_u32 v7, v9, v7, s27
	s_mov_b64 s[4:5], exec
	v_lshrrev_b32_e32 v16, 20, v7
	s_or_saveexec_b64 s[6:7], s[6:7]
                                        ; implicit-def: $sgpr8
	s_xor_b64 exec, exec, s[6:7]
	s_cbranch_execz .LBB85_74
.LBB85_165:                             ;   in Loop: Header=BB85_65 Depth=1
	v_add_f32_e64 v7, |v9|, s28
	v_and_b32_e32 v16, 0xff, v7
	v_cmp_ne_u32_e32 vcc, 0, v16
	s_andn2_b64 s[4:5], s[4:5], exec
	s_and_b64 s[10:11], vcc, exec
	s_mov_b32 s8, 0
	s_or_b64 s[4:5], s[4:5], s[10:11]
	s_or_b64 exec, exec, s[6:7]
	v_mov_b32_e32 v7, s8
	s_and_saveexec_b64 s[6:7], s[4:5]
	s_cbranch_execnz .LBB85_75
	s_branch .LBB85_76
.LBB85_166:                             ;   in Loop: Header=BB85_65 Depth=1
	v_bfe_u32 v4, v9, 20, 1
	v_add3_u32 v4, v9, v4, s27
	s_mov_b64 s[4:5], exec
	v_lshrrev_b32_e32 v16, 20, v4
	s_or_saveexec_b64 s[6:7], s[6:7]
                                        ; implicit-def: $sgpr8
	s_xor_b64 exec, exec, s[6:7]
	s_cbranch_execz .LBB85_80
.LBB85_167:                             ;   in Loop: Header=BB85_65 Depth=1
	v_add_f32_e64 v4, |v9|, s28
	v_and_b32_e32 v16, 0xff, v4
	v_cmp_ne_u32_e32 vcc, 0, v16
	s_andn2_b64 s[4:5], s[4:5], exec
	s_and_b64 s[10:11], vcc, exec
	s_mov_b32 s8, 0
	s_or_b64 s[4:5], s[4:5], s[10:11]
	s_or_b64 exec, exec, s[6:7]
	v_mov_b32_e32 v4, s8
	s_and_saveexec_b64 s[6:7], s[4:5]
	s_cbranch_execnz .LBB85_81
	s_branch .LBB85_82
.LBB85_168:                             ;   in Loop: Header=BB85_65 Depth=1
	v_bfe_u32 v2, v3, 20, 1
	v_add3_u32 v2, v3, v2, s27
	s_mov_b64 s[4:5], exec
	v_lshrrev_b32_e32 v5, 20, v2
	s_or_saveexec_b64 s[6:7], s[6:7]
                                        ; implicit-def: $sgpr8
	s_xor_b64 exec, exec, s[6:7]
	s_cbranch_execz .LBB85_86
.LBB85_169:                             ;   in Loop: Header=BB85_65 Depth=1
	v_add_f32_e64 v2, |v3|, s28
	v_and_b32_e32 v5, 0xff, v2
	v_cmp_ne_u32_e32 vcc, 0, v5
	s_andn2_b64 s[4:5], s[4:5], exec
	s_and_b64 s[10:11], vcc, exec
	s_mov_b32 s8, 0
	s_or_b64 s[4:5], s[4:5], s[10:11]
	s_or_b64 exec, exec, s[6:7]
	v_mov_b32_e32 v2, s8
	s_and_saveexec_b64 s[6:7], s[4:5]
	s_cbranch_execnz .LBB85_87
	s_branch .LBB85_88
.LBB85_170:                             ;   in Loop: Header=BB85_65 Depth=1
	v_bfe_u32 v16, v17, 20, 1
	v_add3_u32 v16, v17, v16, s27
	s_mov_b64 s[6:7], exec
	v_lshrrev_b32_e32 v18, 20, v16
	s_or_saveexec_b64 s[8:9], s[8:9]
                                        ; implicit-def: $sgpr10
	s_xor_b64 exec, exec, s[8:9]
	s_cbranch_execz .LBB85_93
.LBB85_171:                             ;   in Loop: Header=BB85_65 Depth=1
	v_add_f32_e64 v16, |v17|, s28
	v_and_b32_e32 v18, 0xff, v16
	v_cmp_ne_u32_e32 vcc, 0, v18
	s_andn2_b64 s[6:7], s[6:7], exec
	s_and_b64 s[12:13], vcc, exec
	s_mov_b32 s10, 0
	s_or_b64 s[6:7], s[6:7], s[12:13]
	s_or_b64 exec, exec, s[8:9]
	v_mov_b32_e32 v16, s10
	s_and_saveexec_b64 s[8:9], s[6:7]
	s_cbranch_execnz .LBB85_94
	s_branch .LBB85_95
.LBB85_172:                             ;   in Loop: Header=BB85_65 Depth=1
	v_bfe_u32 v9, v17, 20, 1
	v_add3_u32 v9, v17, v9, s27
	s_mov_b64 s[6:7], exec
	v_lshrrev_b32_e32 v18, 20, v9
	s_or_saveexec_b64 s[8:9], s[8:9]
                                        ; implicit-def: $sgpr10
	s_xor_b64 exec, exec, s[8:9]
	s_cbranch_execz .LBB85_99
.LBB85_173:                             ;   in Loop: Header=BB85_65 Depth=1
	v_add_f32_e64 v9, |v17|, s28
	v_and_b32_e32 v18, 0xff, v9
	v_cmp_ne_u32_e32 vcc, 0, v18
	s_andn2_b64 s[6:7], s[6:7], exec
	s_and_b64 s[12:13], vcc, exec
	s_mov_b32 s10, 0
	s_or_b64 s[6:7], s[6:7], s[12:13]
	s_or_b64 exec, exec, s[8:9]
	v_mov_b32_e32 v9, s10
	s_and_saveexec_b64 s[8:9], s[6:7]
	s_cbranch_execnz .LBB85_100
	s_branch .LBB85_101
.LBB85_174:                             ;   in Loop: Header=BB85_65 Depth=1
	v_bfe_u32 v6, v17, 20, 1
	v_add3_u32 v6, v17, v6, s27
	s_mov_b64 s[6:7], exec
	v_lshrrev_b32_e32 v18, 20, v6
	s_or_saveexec_b64 s[8:9], s[8:9]
                                        ; implicit-def: $sgpr10
	s_xor_b64 exec, exec, s[8:9]
	s_cbranch_execz .LBB85_105
.LBB85_175:                             ;   in Loop: Header=BB85_65 Depth=1
	v_add_f32_e64 v6, |v17|, s28
	v_and_b32_e32 v18, 0xff, v6
	v_cmp_ne_u32_e32 vcc, 0, v18
	s_andn2_b64 s[6:7], s[6:7], exec
	s_and_b64 s[12:13], vcc, exec
	s_mov_b32 s10, 0
	s_or_b64 s[6:7], s[6:7], s[12:13]
	s_or_b64 exec, exec, s[8:9]
	v_mov_b32_e32 v6, s10
	s_and_saveexec_b64 s[8:9], s[6:7]
	s_cbranch_execnz .LBB85_106
	s_branch .LBB85_107
.LBB85_176:                             ;   in Loop: Header=BB85_65 Depth=1
	v_bfe_u32 v4, v5, 20, 1
	v_add3_u32 v4, v5, v4, s27
	s_mov_b64 s[6:7], exec
	v_lshrrev_b32_e32 v7, 20, v4
	s_or_saveexec_b64 s[8:9], s[8:9]
                                        ; implicit-def: $sgpr10
	s_xor_b64 exec, exec, s[8:9]
	s_cbranch_execz .LBB85_111
.LBB85_177:                             ;   in Loop: Header=BB85_65 Depth=1
	v_add_f32_e64 v4, |v5|, s28
	v_and_b32_e32 v7, 0xff, v4
	v_cmp_ne_u32_e32 vcc, 0, v7
	s_andn2_b64 s[6:7], s[6:7], exec
	s_and_b64 s[12:13], vcc, exec
	s_mov_b32 s10, 0
	s_or_b64 s[6:7], s[6:7], s[12:13]
	s_or_b64 exec, exec, s[8:9]
	v_mov_b32_e32 v4, s10
	s_and_saveexec_b64 s[8:9], s[6:7]
	s_cbranch_execnz .LBB85_112
	s_branch .LBB85_113
.LBB85_178:                             ;   in Loop: Header=BB85_65 Depth=1
	v_bfe_u32 v17, v18, 20, 1
	v_add3_u32 v17, v18, v17, s27
	s_mov_b64 s[8:9], exec
	v_lshrrev_b32_e32 v19, 20, v17
	s_or_saveexec_b64 s[10:11], s[10:11]
                                        ; implicit-def: $sgpr12
	s_xor_b64 exec, exec, s[10:11]
	s_cbranch_execz .LBB85_118
.LBB85_179:                             ;   in Loop: Header=BB85_65 Depth=1
	v_add_f32_e64 v17, |v18|, s28
	v_and_b32_e32 v19, 0xff, v17
	v_cmp_ne_u32_e32 vcc, 0, v19
	s_andn2_b64 s[8:9], s[8:9], exec
	s_and_b64 s[34:35], vcc, exec
	s_mov_b32 s12, 0
	s_or_b64 s[8:9], s[8:9], s[34:35]
	s_or_b64 exec, exec, s[10:11]
	v_mov_b32_e32 v17, s12
	s_and_saveexec_b64 s[10:11], s[8:9]
	s_cbranch_execnz .LBB85_119
	s_branch .LBB85_120
.LBB85_180:                             ;   in Loop: Header=BB85_65 Depth=1
	v_bfe_u32 v16, v18, 20, 1
	v_add3_u32 v16, v18, v16, s27
	s_mov_b64 s[8:9], exec
	v_lshrrev_b32_e32 v19, 20, v16
	s_or_saveexec_b64 s[10:11], s[10:11]
                                        ; implicit-def: $sgpr12
	s_xor_b64 exec, exec, s[10:11]
	s_cbranch_execz .LBB85_124
.LBB85_181:                             ;   in Loop: Header=BB85_65 Depth=1
	v_add_f32_e64 v16, |v18|, s28
	v_and_b32_e32 v19, 0xff, v16
	v_cmp_ne_u32_e32 vcc, 0, v19
	s_andn2_b64 s[8:9], s[8:9], exec
	s_and_b64 s[34:35], vcc, exec
	s_mov_b32 s12, 0
	s_or_b64 s[8:9], s[8:9], s[34:35]
	s_or_b64 exec, exec, s[10:11]
	v_mov_b32_e32 v16, s12
	s_and_saveexec_b64 s[10:11], s[8:9]
	s_cbranch_execnz .LBB85_125
	s_branch .LBB85_126
.LBB85_182:                             ;   in Loop: Header=BB85_65 Depth=1
	v_bfe_u32 v8, v18, 20, 1
	v_add3_u32 v8, v18, v8, s27
	s_mov_b64 s[8:9], exec
	v_lshrrev_b32_e32 v19, 20, v8
	s_or_saveexec_b64 s[10:11], s[10:11]
                                        ; implicit-def: $sgpr12
	s_xor_b64 exec, exec, s[10:11]
	s_cbranch_execz .LBB85_130
.LBB85_183:                             ;   in Loop: Header=BB85_65 Depth=1
	v_add_f32_e64 v8, |v18|, s28
	v_and_b32_e32 v19, 0xff, v8
	v_cmp_ne_u32_e32 vcc, 0, v19
	s_andn2_b64 s[8:9], s[8:9], exec
	s_and_b64 s[34:35], vcc, exec
	s_mov_b32 s12, 0
	s_or_b64 s[8:9], s[8:9], s[34:35]
	s_or_b64 exec, exec, s[10:11]
	v_mov_b32_e32 v8, s12
	s_and_saveexec_b64 s[10:11], s[8:9]
	s_cbranch_execnz .LBB85_131
	s_branch .LBB85_132
.LBB85_184:                             ;   in Loop: Header=BB85_65 Depth=1
	v_bfe_u32 v6, v3, 20, 1
	v_add3_u32 v6, v3, v6, s27
	s_mov_b64 s[8:9], exec
	v_lshrrev_b32_e32 v7, 20, v6
	s_or_saveexec_b64 s[10:11], s[10:11]
                                        ; implicit-def: $sgpr12
	s_xor_b64 exec, exec, s[10:11]
	s_cbranch_execz .LBB85_136
.LBB85_185:                             ;   in Loop: Header=BB85_65 Depth=1
	v_add_f32_e64 v6, |v3|, s28
	v_and_b32_e32 v7, 0xff, v6
	v_cmp_ne_u32_e32 vcc, 0, v7
	s_andn2_b64 s[8:9], s[8:9], exec
	s_and_b64 s[34:35], vcc, exec
	s_mov_b32 s12, 0
	s_or_b64 s[8:9], s[8:9], s[34:35]
	s_or_b64 exec, exec, s[10:11]
	v_mov_b32_e32 v6, s12
	s_and_saveexec_b64 s[10:11], s[8:9]
	s_cbranch_execnz .LBB85_137
	s_branch .LBB85_138
.LBB85_186:                             ;   in Loop: Header=BB85_65 Depth=1
	v_bfe_u32 v9, v16, 20, 1
	v_add3_u32 v9, v16, v9, s27
	s_mov_b64 s[10:11], exec
	v_lshrrev_b32_e32 v17, 20, v9
	s_or_saveexec_b64 s[12:13], s[12:13]
                                        ; implicit-def: $sgpr31
	s_xor_b64 exec, exec, s[12:13]
	s_cbranch_execz .LBB85_143
.LBB85_187:                             ;   in Loop: Header=BB85_65 Depth=1
	v_add_f32_e64 v9, |v16|, s28
	v_and_b32_e32 v17, 0xff, v9
	v_cmp_ne_u32_e32 vcc, 0, v17
	s_andn2_b64 s[10:11], s[10:11], exec
	s_and_b64 s[34:35], vcc, exec
	s_mov_b32 s31, 0
	s_or_b64 s[10:11], s[10:11], s[34:35]
	s_or_b64 exec, exec, s[12:13]
	v_mov_b32_e32 v9, s31
	s_and_saveexec_b64 s[12:13], s[10:11]
	s_cbranch_execnz .LBB85_144
	s_branch .LBB85_145
.LBB85_188:                             ;   in Loop: Header=BB85_65 Depth=1
	v_bfe_u32 v8, v16, 20, 1
	v_add3_u32 v8, v16, v8, s27
	s_mov_b64 s[10:11], exec
	v_lshrrev_b32_e32 v17, 20, v8
	s_or_saveexec_b64 s[12:13], s[12:13]
                                        ; implicit-def: $sgpr31
	s_xor_b64 exec, exec, s[12:13]
	s_cbranch_execz .LBB85_149
.LBB85_189:                             ;   in Loop: Header=BB85_65 Depth=1
	v_add_f32_e64 v8, |v16|, s28
	v_and_b32_e32 v17, 0xff, v8
	v_cmp_ne_u32_e32 vcc, 0, v17
	s_andn2_b64 s[10:11], s[10:11], exec
	s_and_b64 s[34:35], vcc, exec
	s_mov_b32 s31, 0
	s_or_b64 s[10:11], s[10:11], s[34:35]
	s_or_b64 exec, exec, s[12:13]
	v_mov_b32_e32 v8, s31
	s_and_saveexec_b64 s[12:13], s[10:11]
	s_cbranch_execnz .LBB85_150
	s_branch .LBB85_151
.LBB85_190:                             ;   in Loop: Header=BB85_65 Depth=1
	v_bfe_u32 v6, v16, 20, 1
	v_add3_u32 v6, v16, v6, s27
	s_mov_b64 s[10:11], exec
	v_lshrrev_b32_e32 v17, 20, v6
	s_or_saveexec_b64 s[12:13], s[12:13]
                                        ; implicit-def: $sgpr31
	s_xor_b64 exec, exec, s[12:13]
	s_cbranch_execz .LBB85_155
.LBB85_191:                             ;   in Loop: Header=BB85_65 Depth=1
	v_add_f32_e64 v6, |v16|, s28
	v_and_b32_e32 v17, 0xff, v6
	v_cmp_ne_u32_e32 vcc, 0, v17
	s_andn2_b64 s[10:11], s[10:11], exec
	s_and_b64 s[34:35], vcc, exec
	s_mov_b32 s31, 0
	s_or_b64 s[10:11], s[10:11], s[34:35]
	s_or_b64 exec, exec, s[12:13]
	v_mov_b32_e32 v6, s31
	s_and_saveexec_b64 s[12:13], s[10:11]
	s_cbranch_execnz .LBB85_156
	s_branch .LBB85_157
.LBB85_192:                             ;   in Loop: Header=BB85_65 Depth=1
	v_bfe_u32 v4, v3, 20, 1
	v_add3_u32 v4, v3, v4, s27
	s_mov_b64 s[10:11], exec
	v_lshrrev_b32_e32 v5, 20, v4
	s_or_saveexec_b64 s[12:13], s[12:13]
                                        ; implicit-def: $sgpr31
	s_xor_b64 exec, exec, s[12:13]
	s_cbranch_execz .LBB85_161
.LBB85_193:                             ;   in Loop: Header=BB85_65 Depth=1
	v_add_f32_e64 v4, |v3|, s28
	v_and_b32_e32 v5, 0xff, v4
	v_cmp_ne_u32_e32 vcc, 0, v5
	s_andn2_b64 s[10:11], s[10:11], exec
	s_and_b64 s[34:35], vcc, exec
	s_mov_b32 s31, 0
	s_or_b64 s[10:11], s[10:11], s[34:35]
	s_or_b64 exec, exec, s[12:13]
	v_mov_b32_e32 v4, s31
	s_and_saveexec_b64 s[12:13], s[10:11]
	s_cbranch_execz .LBB85_60
.LBB85_194:                             ;   in Loop: Header=BB85_65 Depth=1
	v_lshrrev_b32_e32 v3, 24, v3
	v_and_or_b32 v4, v3, s29, v5
	s_branch .LBB85_60
.LBB85_195:
	s_endpgm
.LBB85_196:
                                        ; implicit-def: $vgpr4_vgpr5
	s_andn2_b64 vcc, exec, s[26:27]
	s_cbranch_vccz .LBB85_53
	s_branch .LBB85_54
.LBB85_197:
                                        ; implicit-def: $vgpr2_vgpr3
	s_andn2_b64 vcc, exec, s[22:23]
	s_cbranch_vccz .LBB85_58
	s_branch .LBB85_59
	.section	.rodata,"a",@progbits
	.p2align	6, 0x0
	.amdhsa_kernel _ZN4vllm31rms_norm_per_block_quant_kernelIN3c108BFloat16ENS1_15Float8_e4m3fnuzELb0ELb1ELi64EEEvPT0_PfPKT_S9_PKffiiPS7_l
		.amdhsa_group_segment_fixed_size 4164
		.amdhsa_private_segment_fixed_size 0
		.amdhsa_kernarg_size 328
		.amdhsa_user_sgpr_count 6
		.amdhsa_user_sgpr_private_segment_buffer 1
		.amdhsa_user_sgpr_dispatch_ptr 0
		.amdhsa_user_sgpr_queue_ptr 0
		.amdhsa_user_sgpr_kernarg_segment_ptr 1
		.amdhsa_user_sgpr_dispatch_id 0
		.amdhsa_user_sgpr_flat_scratch_init 0
		.amdhsa_user_sgpr_kernarg_preload_length 0
		.amdhsa_user_sgpr_kernarg_preload_offset 0
		.amdhsa_user_sgpr_private_segment_size 0
		.amdhsa_uses_dynamic_stack 0
		.amdhsa_system_sgpr_private_segment_wavefront_offset 0
		.amdhsa_system_sgpr_workgroup_id_x 1
		.amdhsa_system_sgpr_workgroup_id_y 0
		.amdhsa_system_sgpr_workgroup_id_z 0
		.amdhsa_system_sgpr_workgroup_info 0
		.amdhsa_system_vgpr_workitem_id 0
		.amdhsa_next_free_vgpr 48
		.amdhsa_next_free_sgpr 45
		.amdhsa_accum_offset 48
		.amdhsa_reserve_vcc 1
		.amdhsa_reserve_flat_scratch 0
		.amdhsa_float_round_mode_32 0
		.amdhsa_float_round_mode_16_64 0
		.amdhsa_float_denorm_mode_32 3
		.amdhsa_float_denorm_mode_16_64 3
		.amdhsa_dx10_clamp 1
		.amdhsa_ieee_mode 1
		.amdhsa_fp16_overflow 0
		.amdhsa_tg_split 0
		.amdhsa_exception_fp_ieee_invalid_op 0
		.amdhsa_exception_fp_denorm_src 0
		.amdhsa_exception_fp_ieee_div_zero 0
		.amdhsa_exception_fp_ieee_overflow 0
		.amdhsa_exception_fp_ieee_underflow 0
		.amdhsa_exception_fp_ieee_inexact 0
		.amdhsa_exception_int_div_zero 0
	.end_amdhsa_kernel
	.section	.text._ZN4vllm31rms_norm_per_block_quant_kernelIN3c108BFloat16ENS1_15Float8_e4m3fnuzELb0ELb1ELi64EEEvPT0_PfPKT_S9_PKffiiPS7_l,"axG",@progbits,_ZN4vllm31rms_norm_per_block_quant_kernelIN3c108BFloat16ENS1_15Float8_e4m3fnuzELb0ELb1ELi64EEEvPT0_PfPKT_S9_PKffiiPS7_l,comdat
.Lfunc_end85:
	.size	_ZN4vllm31rms_norm_per_block_quant_kernelIN3c108BFloat16ENS1_15Float8_e4m3fnuzELb0ELb1ELi64EEEvPT0_PfPKT_S9_PKffiiPS7_l, .Lfunc_end85-_ZN4vllm31rms_norm_per_block_quant_kernelIN3c108BFloat16ENS1_15Float8_e4m3fnuzELb0ELb1ELi64EEEvPT0_PfPKT_S9_PKffiiPS7_l
                                        ; -- End function
	.section	.AMDGPU.csdata,"",@progbits
; Kernel info:
; codeLenInByte = 13884
; NumSgprs: 49
; NumVgprs: 48
; NumAgprs: 0
; TotalNumVgprs: 48
; ScratchSize: 0
; MemoryBound: 0
; FloatMode: 240
; IeeeMode: 1
; LDSByteSize: 4164 bytes/workgroup (compile time only)
; SGPRBlocks: 6
; VGPRBlocks: 5
; NumSGPRsForWavesPerEU: 49
; NumVGPRsForWavesPerEU: 48
; AccumOffset: 48
; Occupancy: 8
; WaveLimiterHint : 0
; COMPUTE_PGM_RSRC2:SCRATCH_EN: 0
; COMPUTE_PGM_RSRC2:USER_SGPR: 6
; COMPUTE_PGM_RSRC2:TRAP_HANDLER: 0
; COMPUTE_PGM_RSRC2:TGID_X_EN: 1
; COMPUTE_PGM_RSRC2:TGID_Y_EN: 0
; COMPUTE_PGM_RSRC2:TGID_Z_EN: 0
; COMPUTE_PGM_RSRC2:TIDIG_COMP_CNT: 0
; COMPUTE_PGM_RSRC3_GFX90A:ACCUM_OFFSET: 11
; COMPUTE_PGM_RSRC3_GFX90A:TG_SPLIT: 0
	.section	.text._ZN4vllm31rms_norm_per_block_quant_kernelIN3c108BFloat16EaLb0ELb1ELi64EEEvPT0_PfPKT_S8_PKffiiPS6_l,"axG",@progbits,_ZN4vllm31rms_norm_per_block_quant_kernelIN3c108BFloat16EaLb0ELb1ELi64EEEvPT0_PfPKT_S8_PKffiiPS6_l,comdat
	.protected	_ZN4vllm31rms_norm_per_block_quant_kernelIN3c108BFloat16EaLb0ELb1ELi64EEEvPT0_PfPKT_S8_PKffiiPS6_l ; -- Begin function _ZN4vllm31rms_norm_per_block_quant_kernelIN3c108BFloat16EaLb0ELb1ELi64EEEvPT0_PfPKT_S8_PKffiiPS6_l
	.globl	_ZN4vllm31rms_norm_per_block_quant_kernelIN3c108BFloat16EaLb0ELb1ELi64EEEvPT0_PfPKT_S8_PKffiiPS6_l
	.p2align	8
	.type	_ZN4vllm31rms_norm_per_block_quant_kernelIN3c108BFloat16EaLb0ELb1ELi64EEEvPT0_PfPKT_S8_PKffiiPS6_l,@function
_ZN4vllm31rms_norm_per_block_quant_kernelIN3c108BFloat16EaLb0ELb1ELi64EEEvPT0_PfPKT_S8_PKffiiPS6_l: ; @_ZN4vllm31rms_norm_per_block_quant_kernelIN3c108BFloat16EaLb0ELb1ELi64EEEvPT0_PfPKT_S8_PKffiiPS6_l
; %bb.0:
	s_load_dwordx4 s[16:19], s[4:5], 0x28
	s_load_dwordx8 s[8:15], s[4:5], 0x0
	s_load_dword s43, s[4:5], 0x48
	s_mov_b32 s7, 0
	v_mov_b32_e32 v1, 0
	s_waitcnt lgkmcnt(0)
	s_ashr_i32 s0, s18, 31
	s_mul_hi_u32 s1, s18, s6
	s_mul_i32 s0, s0, s6
	s_add_i32 s1, s1, s0
	s_mul_i32 s0, s18, s6
	s_lshl_b64 s[28:29], s[0:1], 1
	s_add_u32 s33, s12, s28
	s_addc_u32 s42, s13, s29
	s_ashr_i32 s18, s17, 2
	s_add_u32 s24, s4, 0x48
	s_mov_b32 s20, s17
	v_cmp_gt_u32_e64 s[0:1], s18, v0
	s_addc_u32 s25, s5, 0
	s_and_saveexec_b64 s[2:3], s[0:1]
	s_cbranch_execz .LBB86_10
; %bb.1:
	s_cmp_lt_u32 s6, s43
	s_cselect_b32 s19, 12, 18
	s_add_u32 s22, s24, s19
	s_addc_u32 s23, s25, 0
	v_mov_b32_e32 v3, 0
	global_load_ushort v8, v3, s[22:23]
	s_mov_b64 s[22:23], 0
	v_mov_b32_e32 v9, s42
	v_mov_b32_e32 v2, v0
                                        ; implicit-def: $sgpr26_sgpr27
	s_waitcnt vmcnt(0)
	v_add_u32_e32 v1, v8, v8
	v_mul_lo_u32 v10, v8, 3
	v_lshlrev_b32_e32 v11, 1, v8
	v_add_u32_e32 v12, v1, v8
	v_mov_b32_e32 v1, v3
	s_branch .LBB86_5
.LBB86_2:                               ;   in Loop: Header=BB86_5 Depth=1
	s_or_b64 exec, exec, s[36:37]
	s_orn2_b64 s[36:37], s[38:39], exec
.LBB86_3:                               ;   in Loop: Header=BB86_5 Depth=1
	s_or_b64 exec, exec, s[34:35]
	s_andn2_b64 s[26:27], s[26:27], exec
	s_and_b64 s[34:35], s[36:37], exec
	s_or_b64 s[26:27], s[26:27], s[34:35]
.LBB86_4:                               ;   in Loop: Header=BB86_5 Depth=1
	s_or_b64 exec, exec, s[30:31]
	s_and_b64 s[30:31], exec, s[26:27]
	s_or_b64 s[22:23], s[30:31], s[22:23]
	s_andn2_b64 exec, exec, s[22:23]
	s_cbranch_execz .LBB86_9
.LBB86_5:                               ; =>This Inner Loop Header: Depth=1
	v_lshlrev_b64 v[4:5], 3, v[2:3]
	v_add_co_u32_e32 v4, vcc, s33, v4
	v_addc_co_u32_e32 v5, vcc, v9, v5, vcc
	global_load_dwordx2 v[6:7], v[4:5], off
	v_add_u32_e32 v4, v2, v8
	v_cmp_gt_u32_e32 vcc, s18, v4
	s_or_b64 s[26:27], s[26:27], exec
	s_waitcnt vmcnt(0)
	v_lshlrev_b32_e32 v13, 16, v6
	v_and_b32_e32 v5, 0xffff0000, v6
	v_alignbit_b32 v6, v7, v6, 16
	v_fmac_f32_e32 v1, v13, v13
	v_and_b32_e32 v6, 0xffff0000, v6
	v_fmac_f32_e32 v1, v5, v5
	v_and_b32_e32 v7, 0xffff0000, v7
	v_fmac_f32_e32 v1, v6, v6
	v_fmac_f32_e32 v1, v7, v7
	s_and_saveexec_b64 s[30:31], vcc
	s_cbranch_execz .LBB86_4
; %bb.6:                                ;   in Loop: Header=BB86_5 Depth=1
	v_mov_b32_e32 v5, v3
	v_lshlrev_b64 v[6:7], 3, v[4:5]
	v_add_co_u32_e32 v6, vcc, s33, v6
	v_addc_co_u32_e32 v7, vcc, v9, v7, vcc
	global_load_dwordx2 v[14:15], v[6:7], off
	v_add_u32_e32 v6, v11, v2
	v_cmp_gt_u32_e32 vcc, s18, v6
	s_mov_b64 s[36:37], -1
	s_waitcnt vmcnt(0)
	v_lshlrev_b32_e32 v7, 16, v14
	v_and_b32_e32 v5, 0xffff0000, v14
	v_alignbit_b32 v13, v15, v14, 16
	v_fmac_f32_e32 v1, v7, v7
	v_and_b32_e32 v13, 0xffff0000, v13
	v_fmac_f32_e32 v1, v5, v5
	v_and_b32_e32 v14, 0xffff0000, v15
	v_fmac_f32_e32 v1, v13, v13
	v_fmac_f32_e32 v1, v14, v14
	s_and_saveexec_b64 s[34:35], vcc
	s_cbranch_execz .LBB86_3
; %bb.7:                                ;   in Loop: Header=BB86_5 Depth=1
	v_mov_b32_e32 v7, v3
	v_lshlrev_b64 v[6:7], 3, v[6:7]
	v_add_co_u32_e32 v6, vcc, s33, v6
	v_addc_co_u32_e32 v7, vcc, v9, v7, vcc
	global_load_dwordx2 v[6:7], v[6:7], off
	v_add_u32_e32 v2, v10, v2
	v_cmp_gt_u32_e32 vcc, s18, v2
	s_mov_b64 s[38:39], -1
	s_waitcnt vmcnt(0)
	v_lshlrev_b32_e32 v13, 16, v6
	v_and_b32_e32 v5, 0xffff0000, v6
	v_alignbit_b32 v6, v7, v6, 16
	v_fmac_f32_e32 v1, v13, v13
	v_and_b32_e32 v6, 0xffff0000, v6
	v_fmac_f32_e32 v1, v5, v5
	v_and_b32_e32 v7, 0xffff0000, v7
	v_fmac_f32_e32 v1, v6, v6
	v_fmac_f32_e32 v1, v7, v7
	s_and_saveexec_b64 s[36:37], vcc
	s_xor_b64 s[36:37], exec, s[36:37]
	s_cbranch_execz .LBB86_2
; %bb.8:                                ;   in Loop: Header=BB86_5 Depth=1
	v_lshlrev_b64 v[6:7], 3, v[2:3]
	v_add_co_u32_e32 v6, vcc, s33, v6
	v_addc_co_u32_e32 v7, vcc, v9, v7, vcc
	global_load_dwordx2 v[6:7], v[6:7], off
	v_add_u32_e32 v2, v12, v4
	v_cmp_le_u32_e32 vcc, s18, v2
	s_orn2_b64 s[38:39], vcc, exec
	s_waitcnt vmcnt(0)
	v_lshlrev_b32_e32 v5, 16, v6
	v_and_b32_e32 v4, 0xffff0000, v6
	v_alignbit_b32 v6, v7, v6, 16
	v_fmac_f32_e32 v1, v5, v5
	v_and_b32_e32 v6, 0xffff0000, v6
	v_fmac_f32_e32 v1, v4, v4
	v_and_b32_e32 v7, 0xffff0000, v7
	v_fmac_f32_e32 v1, v6, v6
	v_fmac_f32_e32 v1, v7, v7
	s_branch .LBB86_2
.LBB86_9:
	s_or_b64 exec, exec, s[22:23]
.LBB86_10:
	s_or_b64 exec, exec, s[2:3]
	v_mbcnt_lo_u32_b32 v2, -1, 0
	v_mbcnt_hi_u32_b32 v2, -1, v2
	v_and_b32_e32 v3, 63, v2
	v_cmp_ne_u32_e32 vcc, 63, v3
	s_load_dword s2, s[24:25], 0xc
	v_addc_co_u32_e32 v4, vcc, 0, v2, vcc
	v_lshlrev_b32_e32 v4, 2, v4
	ds_bpermute_b32 v4, v4, v1
	s_waitcnt lgkmcnt(0)
	s_and_b32 s19, s2, 0xffff
	v_and_b32_e32 v5, 0x3c0, v0
	v_sub_u32_e64 v5, s19, v5 clamp
	v_add_u32_e32 v6, 1, v2
	v_add_f32_e32 v4, v1, v4
	v_cmp_lt_u32_e32 vcc, v6, v5
	v_cndmask_b32_e32 v1, v1, v4, vcc
	v_cmp_gt_u32_e32 vcc, 62, v3
	v_cndmask_b32_e64 v4, 0, 1, vcc
	v_lshlrev_b32_e32 v4, 1, v4
	v_add_lshl_u32 v4, v4, v2, 2
	ds_bpermute_b32 v4, v4, v1
	v_add_u32_e32 v6, 2, v2
	v_cmp_lt_u32_e32 vcc, v6, v5
	v_add_u32_e32 v6, 4, v2
	s_waitcnt lgkmcnt(0)
	v_add_f32_e32 v4, v1, v4
	v_cndmask_b32_e32 v1, v1, v4, vcc
	v_cmp_gt_u32_e32 vcc, 60, v3
	v_cndmask_b32_e64 v4, 0, 1, vcc
	v_lshlrev_b32_e32 v4, 2, v4
	v_add_lshl_u32 v4, v4, v2, 2
	ds_bpermute_b32 v4, v4, v1
	v_cmp_lt_u32_e32 vcc, v6, v5
	v_add_u32_e32 v6, 8, v2
	s_waitcnt lgkmcnt(0)
	v_add_f32_e32 v4, v1, v4
	v_cndmask_b32_e32 v1, v1, v4, vcc
	v_cmp_gt_u32_e32 vcc, 56, v3
	v_cndmask_b32_e64 v4, 0, 1, vcc
	v_lshlrev_b32_e32 v4, 3, v4
	v_add_lshl_u32 v4, v4, v2, 2
	ds_bpermute_b32 v4, v4, v1
	;; [unrolled: 10-line block ×3, first 2 shown]
	v_cmp_lt_u32_e32 vcc, v6, v5
	s_waitcnt lgkmcnt(0)
	v_add_f32_e32 v4, v1, v4
	v_cndmask_b32_e32 v1, v1, v4, vcc
	v_cmp_gt_u32_e32 vcc, 32, v3
	v_cndmask_b32_e64 v3, 0, 1, vcc
	v_lshlrev_b32_e32 v3, 5, v3
	v_add_lshl_u32 v3, v3, v2, 2
	ds_bpermute_b32 v3, v3, v1
	v_add_u32_e32 v4, 32, v2
	v_cmp_lt_u32_e32 vcc, v4, v5
	s_waitcnt lgkmcnt(0)
	v_add_f32_e32 v3, v1, v3
	v_cndmask_b32_e32 v1, v1, v3, vcc
	v_cmp_eq_u32_e32 vcc, 0, v2
	s_and_saveexec_b64 s[2:3], vcc
	s_cbranch_execz .LBB86_12
; %bb.11:
	v_lshrrev_b32_e32 v3, 4, v0
	v_and_b32_e32 v3, 60, v3
	ds_write_b32 v3, v1 offset:4096
.LBB86_12:
	s_or_b64 exec, exec, s[2:3]
	v_cmp_gt_u32_e32 vcc, 16, v0
	s_waitcnt lgkmcnt(0)
	s_barrier
	s_and_saveexec_b64 s[22:23], vcc
	s_cbranch_execz .LBB86_14
; %bb.13:
	v_lshlrev_b32_e32 v1, 2, v2
	ds_read_b32 v1, v1 offset:4096
	v_and_b32_e32 v3, 15, v2
	v_cmp_ne_u32_e32 vcc, 15, v3
	v_addc_co_u32_e32 v4, vcc, 0, v2, vcc
	v_lshlrev_b32_e32 v4, 2, v4
	s_waitcnt lgkmcnt(0)
	ds_bpermute_b32 v4, v4, v1
	s_add_i32 s19, s19, 63
	s_lshr_b32 s19, s19, 6
	v_add_u32_e32 v5, 1, v3
	v_cmp_gt_u32_e64 s[2:3], 14, v3
	v_cmp_gt_u32_e32 vcc, s19, v5
	v_cndmask_b32_e64 v5, 0, 1, s[2:3]
	s_waitcnt lgkmcnt(0)
	v_add_f32_e32 v4, v1, v4
	v_lshlrev_b32_e32 v5, 1, v5
	v_cndmask_b32_e32 v4, v1, v4, vcc
	v_add_lshl_u32 v5, v5, v2, 2
	ds_bpermute_b32 v5, v5, v4
	v_add_u32_e32 v6, 2, v3
	v_cmp_gt_u32_e64 s[2:3], s19, v6
	v_add_u32_e32 v6, 4, v3
	s_waitcnt lgkmcnt(0)
	v_add_f32_e32 v5, v4, v5
	v_cndmask_b32_e64 v4, v4, v5, s[2:3]
	v_cmp_gt_u32_e64 s[2:3], 12, v3
	v_cndmask_b32_e64 v5, 0, 1, s[2:3]
	v_lshlrev_b32_e32 v5, 2, v5
	v_add_lshl_u32 v5, v5, v2, 2
	ds_bpermute_b32 v5, v5, v4
	v_cmp_gt_u32_e64 s[2:3], s19, v6
	s_waitcnt lgkmcnt(0)
	v_add_f32_e32 v5, v4, v5
	v_cndmask_b32_e64 v4, v4, v5, s[2:3]
	v_cmp_gt_u32_e64 s[2:3], 8, v3
	v_cndmask_b32_e64 v5, 0, 1, s[2:3]
	v_lshlrev_b32_e32 v5, 3, v5
	v_add_lshl_u32 v2, v5, v2, 2
	ds_bpermute_b32 v2, v2, v4
	v_add_u32_e32 v3, 8, v3
	v_cmp_gt_u32_e64 s[2:3], s19, v3
	s_waitcnt lgkmcnt(0)
	v_add_f32_e32 v2, v4, v2
	v_cndmask_b32_e64 v2, v4, v2, s[2:3]
	v_cndmask_b32_e32 v1, v1, v2, vcc
.LBB86_14:
	s_or_b64 exec, exec, s[22:23]
	v_cmp_eq_u32_e32 vcc, 0, v0
	s_and_saveexec_b64 s[2:3], vcc
	s_cbranch_execz .LBB86_16
; %bb.15:
	v_cvt_f32_i32_e32 v2, s17
	s_mov_b32 s19, 0x800000
	v_div_scale_f32 v3, s[22:23], v2, v2, v1
	v_rcp_f32_e32 v4, v3
	v_div_scale_f32 v5, vcc, v1, v2, v1
	v_fma_f32 v6, -v3, v4, 1.0
	v_fmac_f32_e32 v4, v6, v4
	v_mul_f32_e32 v6, v5, v4
	v_fma_f32 v7, -v3, v6, v5
	v_fmac_f32_e32 v6, v7, v4
	v_fma_f32 v3, -v3, v6, v5
	v_div_fmas_f32 v3, v3, v4, v6
	v_div_fixup_f32 v1, v3, v2, v1
	v_add_f32_e32 v1, s16, v1
	v_mul_f32_e32 v2, 0x4b800000, v1
	v_cmp_gt_f32_e32 vcc, s19, v1
	v_cndmask_b32_e32 v1, v1, v2, vcc
	v_rsq_f32_e32 v1, v1
	v_mul_f32_e32 v2, 0x45800000, v1
	v_cndmask_b32_e32 v1, v1, v2, vcc
	v_mov_b32_e32 v2, 0
	ds_write_b32 v2, v1 offset:4160
.LBB86_16:
	s_or_b64 exec, exec, s[2:3]
	s_ashr_i32 s21, s17, 31
	s_lshr_b32 s2, s21, 26
	s_add_i32 s16, s17, s2
	s_ashr_i32 s22, s16, 6
	s_cmp_lt_u32 s6, s43
	s_cselect_b32 s2, 12, 18
	s_add_u32 s2, s24, s2
	v_mov_b32_e32 v5, 0
	s_addc_u32 s3, s25, 0
	s_waitcnt lgkmcnt(0)
	s_barrier
	global_load_ushort v1, v5, s[2:3]
	ds_read_b32 v36, v5 offset:4160
	s_abs_i32 s2, s22
	v_cvt_f32_u32_e32 v2, s2
	s_ashr_i32 s3, s16, 31
	s_sub_i32 s16, 0, s2
	v_mov_b32_e32 v10, s18
	v_rcp_iflag_f32_e32 v2, v2
	v_mul_f32_e32 v2, 0x4f7ffffe, v2
	v_cvt_u32_f32_e32 v2, v2
	v_readfirstlane_b32 s19, v2
	s_mul_i32 s16, s16, s19
	s_mul_hi_u32 s16, s19, s16
	s_add_i32 s19, s19, s16
	s_waitcnt vmcnt(0)
	v_readfirstlane_b32 s16, v1
	s_mul_hi_u32 s19, s16, s19
	s_mul_i32 s23, s19, s2
	s_sub_i32 s23, s16, s23
	s_add_i32 s24, s19, 1
	s_sub_i32 s25, s23, s2
	s_cmp_ge_u32 s23, s2
	s_cselect_b32 s19, s24, s19
	s_cselect_b32 s23, s25, s23
	s_add_i32 s24, s19, 1
	s_cmp_ge_u32 s23, s2
	s_cselect_b32 s2, s24, s19
	s_xor_b32 s2, s2, s3
	s_sub_i32 s24, s2, s3
	s_abs_i32 s2, s24
	v_cvt_f32_u32_e32 v1, s2
	s_sub_i32 s3, 0, s2
	s_ashr_i32 s25, s24, 31
	s_ashr_i32 s19, s18, 31
	v_rcp_iflag_f32_e32 v1, v1
	v_mov_b32_e32 v11, s19
	v_mul_f32_e32 v1, 0x4f7ffffe, v1
	v_cvt_u32_f32_e32 v1, v1
	v_mul_lo_u32 v2, s3, v1
	v_mul_hi_u32 v2, v1, v2
	v_add_u32_e32 v1, v1, v2
	v_mul_hi_u32 v1, v0, v1
	v_mul_lo_u32 v2, v1, s2
	v_sub_u32_e32 v2, v0, v2
	v_add_u32_e32 v3, 1, v1
	v_cmp_le_u32_e32 vcc, s2, v2
	v_cndmask_b32_e32 v1, v1, v3, vcc
	v_subrev_u32_e32 v3, s2, v2
	v_cndmask_b32_e32 v2, v2, v3, vcc
	v_add_u32_e32 v3, 1, v1
	v_cmp_le_u32_e32 vcc, s2, v2
	v_cndmask_b32_e32 v1, v1, v3, vcc
	v_xor_b32_e32 v1, s25, v1
	v_subrev_u32_e32 v2, s25, v1
	v_mul_lo_u32 v1, v2, s24
	v_ashrrev_i32_e32 v3, 31, v2
	v_sub_u32_e32 v4, v0, v1
	v_lshlrev_b64 v[8:9], 4, v[2:3]
	v_add_co_u32_e32 v6, vcc, v8, v4
	v_addc_co_u32_e32 v7, vcc, 0, v9, vcc
	v_add_co_u32_e32 v8, vcc, 16, v8
	v_addc_co_u32_e32 v9, vcc, 0, v9, vcc
	v_cmp_gt_i64_e32 vcc, s[18:19], v[8:9]
	v_cndmask_b32_e32 v8, v10, v8, vcc
	v_cndmask_b32_e32 v9, v11, v9, vcc
	v_ashrrev_i32_e32 v11, 31, v8
	v_mov_b32_e32 v10, v8
	v_cmp_lt_i64_e32 vcc, v[6:7], v[10:11]
	s_and_saveexec_b64 s[26:27], vcc
	s_cbranch_execz .LBB86_26
; %bb.17:
	v_lshlrev_b64 v[28:29], 7, v[2:3]
	s_mul_i32 s23, s24, 24
	v_lshlrev_b64 v[12:13], 3, v[4:5]
	v_mov_b32_e32 v1, s29
	v_add_co_u32_e32 v5, vcc, s28, v28
	s_mul_hi_i32 s19, s24, 24
	s_add_u32 s2, s12, s23
	v_addc_co_u32_e32 v19, vcc, v1, v29, vcc
	s_addc_u32 s3, s13, s19
	v_mov_b32_e32 v1, s3
	v_add_co_u32_e32 v14, vcc, s2, v5
	s_lshl_b64 s[28:29], s[24:25], 5
	s_lshl_b64 s[2:3], s[24:25], 4
	s_add_u32 s30, s12, s2
	v_addc_co_u32_e32 v1, vcc, v1, v19, vcc
	s_addc_u32 s31, s13, s3
	v_mov_b32_e32 v15, s31
	v_add_co_u32_e32 v16, vcc, s30, v5
	s_lshl_b64 s[30:31], s[24:25], 3
	s_add_u32 s34, s12, s30
	v_addc_co_u32_e32 v15, vcc, v15, v19, vcc
	s_addc_u32 s35, s13, s31
	v_mov_b32_e32 v17, s35
	v_add_co_u32_e32 v18, vcc, s34, v5
	v_addc_co_u32_e32 v17, vcc, v17, v19, vcc
	v_mov_b32_e32 v21, s13
	v_add_co_u32_e32 v20, vcc, s12, v5
	s_add_u32 s12, s14, s23
	v_addc_co_u32_e32 v19, vcc, v21, v19, vcc
	s_addc_u32 s13, s15, s19
	v_mov_b32_e32 v5, s13
	v_add_co_u32_e32 v22, vcc, s12, v28
	s_add_u32 s2, s14, s2
	v_addc_co_u32_e32 v21, vcc, v5, v29, vcc
	s_addc_u32 s3, s15, s3
	v_mov_b32_e32 v5, s3
	v_add_co_u32_e32 v24, vcc, s2, v28
	s_add_u32 s2, s14, s30
	v_addc_co_u32_e32 v23, vcc, v5, v29, vcc
	s_addc_u32 s3, s15, s31
	v_mov_b32_e32 v5, s3
	v_add_co_u32_e32 v26, vcc, s2, v28
	v_addc_co_u32_e32 v25, vcc, v5, v29, vcc
	v_mov_b32_e32 v5, s15
	v_add_co_u32_e32 v28, vcc, s14, v28
	v_addc_co_u32_e32 v27, vcc, v5, v29, vcc
	s_mul_hi_i32 s19, s24, 3
	s_mul_i32 s23, s24, 3
	s_lshl_b64 s[30:31], s[24:25], 1
	s_mov_b64 s[12:13], 0
	v_mov_b32_e32 v5, 0
	s_movk_i32 s44, 0x7fff
	v_mov_b32_e32 v29, 0x7fc00000
	v_mov_b32_e32 v34, s25
	v_pk_mov_b32 v[30:31], v[6:7], v[6:7] op_sel:[0,1]
                                        ; implicit-def: $sgpr34_sgpr35
	s_branch .LBB86_21
.LBB86_18:                              ;   in Loop: Header=BB86_21 Depth=1
	s_or_b64 exec, exec, s[2:3]
	s_orn2_b64 s[2:3], s[40:41], exec
.LBB86_19:                              ;   in Loop: Header=BB86_21 Depth=1
	s_or_b64 exec, exec, s[38:39]
	s_andn2_b64 s[34:35], s[34:35], exec
	s_and_b64 s[2:3], s[2:3], exec
	s_or_b64 s[34:35], s[34:35], s[2:3]
.LBB86_20:                              ;   in Loop: Header=BB86_21 Depth=1
	s_or_b64 exec, exec, s[36:37]
	s_and_b64 s[2:3], exec, s[34:35]
	s_or_b64 s[12:13], s[2:3], s[12:13]
	s_andn2_b64 exec, exec, s[12:13]
	s_cbranch_execz .LBB86_25
.LBB86_21:                              ; =>This Inner Loop Header: Depth=1
	v_add_co_u32_e32 v32, vcc, v20, v12
	v_addc_co_u32_e32 v33, vcc, v19, v13, vcc
	global_load_dwordx2 v[38:39], v[32:33], off
	v_add_co_u32_e32 v32, vcc, v28, v12
	v_addc_co_u32_e32 v33, vcc, v27, v13, vcc
	global_load_dwordx2 v[40:41], v[32:33], off
	v_add_co_u32_e32 v32, vcc, s24, v30
	v_addc_co_u32_e32 v33, vcc, v31, v34, vcc
	v_cmp_lt_i64_e32 vcc, v[32:33], v[10:11]
	s_or_b64 s[34:35], s[34:35], exec
	s_waitcnt vmcnt(1)
	v_lshlrev_b32_e32 v42, 16, v38
	v_and_b32_e32 v35, 0xffff0000, v38
	s_waitcnt lgkmcnt(0)
	v_mul_f32_e32 v42, v36, v42
	v_alignbit_b32 v38, v39, v38, 16
	v_and_b32_e32 v39, 0xffff0000, v39
	v_mul_f32_e32 v35, v36, v35
	v_bfe_u32 v44, v42, 16, 1
	v_mul_f32_e32 v39, v36, v39
	v_bfe_u32 v45, v35, 16, 1
	v_add3_u32 v44, v42, v44, s44
	v_and_b32_e32 v38, 0xffff0000, v38
	v_bfe_u32 v46, v39, 16, 1
	v_add3_u32 v45, v35, v45, s44
	v_and_b32_e32 v44, 0xffff0000, v44
	v_cmp_o_f32_e64 s[2:3], v42, v42
	v_mul_f32_e32 v38, v36, v38
	v_add3_u32 v46, v39, v46, s44
	v_and_b32_e32 v45, 0xffff0000, v45
	v_cndmask_b32_e64 v42, v29, v44, s[2:3]
	v_cmp_o_f32_e64 s[2:3], v35, v35
	s_waitcnt vmcnt(0)
	v_lshlrev_b32_e32 v43, 16, v40
	v_bfe_u32 v47, v38, 16, 1
	v_and_b32_e32 v46, 0xffff0000, v46
	v_cndmask_b32_e64 v35, v29, v45, s[2:3]
	v_cmp_o_f32_e64 s[2:3], v39, v39
	v_and_b32_e32 v37, 0xffff0000, v40
	v_alignbit_b32 v40, v41, v40, 16
	v_and_b32_e32 v41, 0xffff0000, v41
	v_add3_u32 v47, v38, v47, s44
	v_cndmask_b32_e64 v39, v29, v46, s[2:3]
	v_mul_f32_e32 v42, v42, v43
	v_and_b32_e32 v44, 0xffff0000, v47
	v_mul_f32_e32 v35, v35, v37
	v_cmp_o_f32_e64 s[2:3], v38, v38
	v_mul_f32_e32 v38, v39, v41
	v_bfe_u32 v39, v42, 16, 1
	v_and_b32_e32 v40, 0xffff0000, v40
	v_cndmask_b32_e64 v37, v29, v44, s[2:3]
	v_bfe_u32 v41, v35, 16, 1
	v_add3_u32 v39, v42, v39, s44
	v_mul_f32_e32 v37, v37, v40
	v_bfe_u32 v40, v38, 16, 1
	v_add3_u32 v41, v35, v41, s44
	v_and_b32_e32 v39, 0xffff0000, v39
	v_cmp_o_f32_e64 s[2:3], v42, v42
	v_bfe_u32 v43, v37, 16, 1
	v_add3_u32 v40, v38, v40, s44
	v_and_b32_e32 v41, 0xffff0000, v41
	v_cndmask_b32_e64 v39, v29, |v39|, s[2:3]
	v_cmp_o_f32_e64 s[2:3], v35, v35
	v_add3_u32 v43, v37, v43, s44
	v_and_b32_e32 v40, 0xffff0000, v40
	v_cndmask_b32_e64 v35, v29, |v41|, s[2:3]
	v_cmp_o_f32_e64 s[2:3], v38, v38
	v_and_b32_e32 v41, 0xffff0000, v43
	v_cndmask_b32_e64 v38, v29, |v40|, s[2:3]
	v_cmp_o_f32_e64 s[2:3], v37, v37
	v_max3_f32 v5, v5, v39, v35
	v_cndmask_b32_e64 v35, v29, |v41|, s[2:3]
	v_max3_f32 v5, v5, v35, v38
	s_and_saveexec_b64 s[36:37], vcc
	s_cbranch_execz .LBB86_20
; %bb.22:                               ;   in Loop: Header=BB86_21 Depth=1
	v_add_co_u32_e32 v38, vcc, v18, v12
	v_addc_co_u32_e32 v39, vcc, v17, v13, vcc
	global_load_dwordx2 v[38:39], v[38:39], off
	v_add_co_u32_e32 v40, vcc, v26, v12
	v_addc_co_u32_e32 v41, vcc, v25, v13, vcc
	global_load_dwordx2 v[40:41], v[40:41], off
	v_mov_b32_e32 v35, s31
	v_add_co_u32_e32 v42, vcc, s30, v30
	v_addc_co_u32_e32 v43, vcc, v35, v31, vcc
	v_cmp_lt_i64_e32 vcc, v[42:43], v[10:11]
	s_waitcnt vmcnt(1)
	v_lshlrev_b32_e32 v42, 16, v38
	v_and_b32_e32 v35, 0xffff0000, v38
	v_mul_f32_e32 v42, v36, v42
	v_alignbit_b32 v38, v39, v38, 16
	v_and_b32_e32 v39, 0xffff0000, v39
	v_mul_f32_e32 v35, v36, v35
	v_bfe_u32 v44, v42, 16, 1
	v_mul_f32_e32 v39, v36, v39
	v_bfe_u32 v45, v35, 16, 1
	v_add3_u32 v44, v42, v44, s44
	v_and_b32_e32 v38, 0xffff0000, v38
	v_bfe_u32 v46, v39, 16, 1
	v_add3_u32 v45, v35, v45, s44
	v_and_b32_e32 v44, 0xffff0000, v44
	v_cmp_o_f32_e64 s[2:3], v42, v42
	v_mul_f32_e32 v38, v36, v38
	v_add3_u32 v46, v39, v46, s44
	v_and_b32_e32 v45, 0xffff0000, v45
	v_cndmask_b32_e64 v42, v29, v44, s[2:3]
	v_cmp_o_f32_e64 s[2:3], v35, v35
	s_waitcnt vmcnt(0)
	v_lshlrev_b32_e32 v43, 16, v40
	v_bfe_u32 v47, v38, 16, 1
	v_and_b32_e32 v46, 0xffff0000, v46
	v_cndmask_b32_e64 v35, v29, v45, s[2:3]
	v_cmp_o_f32_e64 s[2:3], v39, v39
	v_and_b32_e32 v37, 0xffff0000, v40
	v_alignbit_b32 v40, v41, v40, 16
	v_and_b32_e32 v41, 0xffff0000, v41
	v_add3_u32 v47, v38, v47, s44
	v_cndmask_b32_e64 v39, v29, v46, s[2:3]
	v_mul_f32_e32 v42, v42, v43
	v_and_b32_e32 v44, 0xffff0000, v47
	v_mul_f32_e32 v35, v35, v37
	v_cmp_o_f32_e64 s[2:3], v38, v38
	v_mul_f32_e32 v38, v39, v41
	v_bfe_u32 v39, v42, 16, 1
	v_and_b32_e32 v40, 0xffff0000, v40
	v_cndmask_b32_e64 v37, v29, v44, s[2:3]
	v_bfe_u32 v41, v35, 16, 1
	v_add3_u32 v39, v42, v39, s44
	v_mul_f32_e32 v37, v37, v40
	v_bfe_u32 v40, v38, 16, 1
	v_add3_u32 v41, v35, v41, s44
	v_and_b32_e32 v39, 0xffff0000, v39
	v_cmp_o_f32_e64 s[2:3], v42, v42
	v_bfe_u32 v43, v37, 16, 1
	v_add3_u32 v40, v38, v40, s44
	v_and_b32_e32 v41, 0xffff0000, v41
	v_cndmask_b32_e64 v39, v29, |v39|, s[2:3]
	v_cmp_o_f32_e64 s[2:3], v35, v35
	v_add3_u32 v43, v37, v43, s44
	v_and_b32_e32 v40, 0xffff0000, v40
	v_cndmask_b32_e64 v35, v29, |v41|, s[2:3]
	v_cmp_o_f32_e64 s[2:3], v38, v38
	v_and_b32_e32 v41, 0xffff0000, v43
	v_cndmask_b32_e64 v38, v29, |v40|, s[2:3]
	v_cmp_o_f32_e64 s[2:3], v37, v37
	v_max3_f32 v5, v5, v39, v35
	v_cndmask_b32_e64 v35, v29, |v41|, s[2:3]
	v_max3_f32 v5, v5, v35, v38
	s_mov_b64 s[2:3], -1
	s_and_saveexec_b64 s[38:39], vcc
	s_cbranch_execz .LBB86_19
; %bb.23:                               ;   in Loop: Header=BB86_21 Depth=1
	v_add_co_u32_e32 v38, vcc, v16, v12
	v_addc_co_u32_e32 v39, vcc, v15, v13, vcc
	global_load_dwordx2 v[38:39], v[38:39], off
	v_add_co_u32_e32 v40, vcc, v24, v12
	v_addc_co_u32_e32 v41, vcc, v23, v13, vcc
	global_load_dwordx2 v[40:41], v[40:41], off
	v_mov_b32_e32 v35, s19
	v_add_co_u32_e32 v30, vcc, s23, v30
	v_addc_co_u32_e32 v31, vcc, v35, v31, vcc
	v_cmp_lt_i64_e32 vcc, v[30:31], v[10:11]
	s_mov_b64 s[40:41], -1
	s_waitcnt vmcnt(1)
	v_lshlrev_b32_e32 v35, 16, v38
	v_and_b32_e32 v30, 0xffff0000, v38
	v_mul_f32_e32 v35, v36, v35
	v_alignbit_b32 v37, v39, v38, 16
	v_and_b32_e32 v38, 0xffff0000, v39
	v_mul_f32_e32 v30, v36, v30
	v_bfe_u32 v42, v35, 16, 1
	v_mul_f32_e32 v38, v36, v38
	v_bfe_u32 v43, v30, 16, 1
	v_add3_u32 v42, v35, v42, s44
	v_and_b32_e32 v37, 0xffff0000, v37
	v_bfe_u32 v44, v38, 16, 1
	v_add3_u32 v43, v30, v43, s44
	v_and_b32_e32 v42, 0xffff0000, v42
	v_cmp_o_f32_e64 s[2:3], v35, v35
	v_mul_f32_e32 v37, v36, v37
	v_add3_u32 v44, v38, v44, s44
	v_and_b32_e32 v43, 0xffff0000, v43
	v_cndmask_b32_e64 v35, v29, v42, s[2:3]
	v_cmp_o_f32_e64 s[2:3], v30, v30
	s_waitcnt vmcnt(0)
	v_lshlrev_b32_e32 v39, 16, v40
	v_bfe_u32 v45, v37, 16, 1
	v_and_b32_e32 v44, 0xffff0000, v44
	v_cndmask_b32_e64 v30, v29, v43, s[2:3]
	v_cmp_o_f32_e64 s[2:3], v38, v38
	v_and_b32_e32 v31, 0xffff0000, v40
	v_alignbit_b32 v40, v41, v40, 16
	v_and_b32_e32 v41, 0xffff0000, v41
	v_add3_u32 v45, v37, v45, s44
	v_cndmask_b32_e64 v38, v29, v44, s[2:3]
	v_mul_f32_e32 v35, v35, v39
	v_and_b32_e32 v42, 0xffff0000, v45
	v_mul_f32_e32 v30, v30, v31
	v_cmp_o_f32_e64 s[2:3], v37, v37
	v_mul_f32_e32 v37, v38, v41
	v_bfe_u32 v38, v35, 16, 1
	v_and_b32_e32 v40, 0xffff0000, v40
	v_cndmask_b32_e64 v31, v29, v42, s[2:3]
	v_bfe_u32 v39, v30, 16, 1
	v_add3_u32 v38, v35, v38, s44
	v_mul_f32_e32 v31, v31, v40
	v_bfe_u32 v40, v37, 16, 1
	v_add3_u32 v39, v30, v39, s44
	v_and_b32_e32 v38, 0xffff0000, v38
	v_cmp_o_f32_e64 s[2:3], v35, v35
	v_bfe_u32 v41, v31, 16, 1
	v_add3_u32 v40, v37, v40, s44
	v_and_b32_e32 v39, 0xffff0000, v39
	v_cndmask_b32_e64 v35, v29, |v38|, s[2:3]
	v_cmp_o_f32_e64 s[2:3], v30, v30
	v_add3_u32 v41, v31, v41, s44
	v_and_b32_e32 v40, 0xffff0000, v40
	v_cndmask_b32_e64 v30, v29, |v39|, s[2:3]
	v_cmp_o_f32_e64 s[2:3], v37, v37
	v_and_b32_e32 v38, 0xffff0000, v41
	v_cndmask_b32_e64 v37, v29, |v40|, s[2:3]
	v_cmp_o_f32_e64 s[2:3], v31, v31
	v_max3_f32 v5, v5, v35, v30
	v_cndmask_b32_e64 v30, v29, |v38|, s[2:3]
	v_max3_f32 v5, v5, v30, v37
                                        ; implicit-def: $vgpr30_vgpr31
	s_and_saveexec_b64 s[2:3], vcc
	s_xor_b64 s[2:3], exec, s[2:3]
	s_cbranch_execz .LBB86_18
; %bb.24:                               ;   in Loop: Header=BB86_21 Depth=1
	v_add_co_u32_e32 v30, vcc, v14, v12
	v_addc_co_u32_e32 v31, vcc, v1, v13, vcc
	global_load_dwordx2 v[38:39], v[30:31], off
	v_add_co_u32_e32 v30, vcc, v22, v12
	v_addc_co_u32_e32 v31, vcc, v21, v13, vcc
	global_load_dwordx2 v[40:41], v[30:31], off
	v_mov_b32_e32 v35, s29
	v_add_co_u32_e32 v14, vcc, s28, v14
	v_addc_co_u32_e32 v1, vcc, v1, v35, vcc
	v_add_co_u32_e32 v16, vcc, s28, v16
	s_add_u32 s40, s24, s24
	v_addc_co_u32_e32 v15, vcc, v15, v35, vcc
	s_addc_u32 s41, s25, s25
	v_add_co_u32_e32 v18, vcc, s28, v18
	v_addc_co_u32_e32 v17, vcc, v17, v35, vcc
	s_add_u32 s40, s40, s24
	s_addc_u32 s41, s41, s25
	v_add_co_u32_e32 v30, vcc, s40, v32
	v_mov_b32_e32 v31, s41
	v_addc_co_u32_e32 v31, vcc, v31, v33, vcc
	s_waitcnt vmcnt(1)
	v_lshlrev_b32_e32 v37, 16, v38
	v_and_b32_e32 v32, 0xffff0000, v38
	v_mul_f32_e32 v37, v36, v37
	v_alignbit_b32 v38, v39, v38, 16
	v_and_b32_e32 v39, 0xffff0000, v39
	v_mul_f32_e32 v32, v36, v32
	v_bfe_u32 v43, v37, 16, 1
	v_mul_f32_e32 v39, v36, v39
	v_bfe_u32 v44, v32, 16, 1
	v_add3_u32 v43, v37, v43, s44
	v_and_b32_e32 v38, 0xffff0000, v38
	v_bfe_u32 v45, v39, 16, 1
	v_add3_u32 v44, v32, v44, s44
	v_and_b32_e32 v43, 0xffff0000, v43
	v_cmp_o_f32_e32 vcc, v37, v37
	v_mul_f32_e32 v38, v36, v38
	v_add3_u32 v45, v39, v45, s44
	v_and_b32_e32 v44, 0xffff0000, v44
	v_cndmask_b32_e32 v37, v29, v43, vcc
	v_cmp_o_f32_e32 vcc, v32, v32
	s_waitcnt vmcnt(0)
	v_lshlrev_b32_e32 v42, 16, v40
	v_bfe_u32 v46, v38, 16, 1
	v_and_b32_e32 v45, 0xffff0000, v45
	v_cndmask_b32_e32 v32, v29, v44, vcc
	v_cmp_o_f32_e32 vcc, v39, v39
	v_and_b32_e32 v33, 0xffff0000, v40
	v_alignbit_b32 v40, v41, v40, 16
	v_and_b32_e32 v41, 0xffff0000, v41
	v_add3_u32 v46, v38, v46, s44
	v_cndmask_b32_e32 v39, v29, v45, vcc
	v_mul_f32_e32 v37, v37, v42
	v_and_b32_e32 v43, 0xffff0000, v46
	v_mul_f32_e32 v32, v32, v33
	v_cmp_o_f32_e32 vcc, v38, v38
	v_mul_f32_e32 v38, v39, v41
	v_bfe_u32 v39, v37, 16, 1
	v_and_b32_e32 v40, 0xffff0000, v40
	v_cndmask_b32_e32 v33, v29, v43, vcc
	v_bfe_u32 v41, v32, 16, 1
	v_add3_u32 v39, v37, v39, s44
	v_mul_f32_e32 v33, v33, v40
	v_bfe_u32 v40, v38, 16, 1
	v_add3_u32 v41, v32, v41, s44
	v_and_b32_e32 v39, 0xffff0000, v39
	v_cmp_o_f32_e32 vcc, v37, v37
	v_bfe_u32 v42, v33, 16, 1
	v_add3_u32 v40, v38, v40, s44
	v_and_b32_e32 v41, 0xffff0000, v41
	v_cndmask_b32_e64 v37, v29, |v39|, vcc
	v_cmp_o_f32_e32 vcc, v32, v32
	v_add3_u32 v42, v33, v42, s44
	v_and_b32_e32 v40, 0xffff0000, v40
	v_cndmask_b32_e64 v32, v29, |v41|, vcc
	v_cmp_o_f32_e32 vcc, v38, v38
	v_and_b32_e32 v39, 0xffff0000, v42
	v_cndmask_b32_e64 v38, v29, |v40|, vcc
	v_cmp_o_f32_e32 vcc, v33, v33
	v_max3_f32 v5, v5, v37, v32
	v_cndmask_b32_e64 v32, v29, |v39|, vcc
	v_add_co_u32_e32 v20, vcc, s28, v20
	v_addc_co_u32_e32 v19, vcc, v19, v35, vcc
	v_add_co_u32_e32 v22, vcc, s28, v22
	v_addc_co_u32_e32 v21, vcc, v21, v35, vcc
	;; [unrolled: 2-line block ×5, first 2 shown]
	v_cmp_ge_i64_e32 vcc, v[30:31], v[10:11]
	v_max3_f32 v5, v5, v32, v38
	s_orn2_b64 s[40:41], vcc, exec
	s_branch .LBB86_18
.LBB86_25:
	s_or_b64 exec, exec, s[12:13]
.LBB86_26:
	s_or_b64 exec, exec, s[26:27]
	s_lshr_b32 s19, s16, 6
	v_cvt_f32_u32_e32 v10, s19
	v_lshlrev_b32_e32 v1, 2, v0
	ds_write_b32 v1, v5
	s_sub_i32 s12, 0, s19
	v_rcp_iflag_f32_e32 v5, v10
	s_add_i32 s2, s22, s19
	s_add_i32 s2, s2, -1
	s_ashr_i32 s3, s2, 31
	v_mul_f32_e32 v5, 0x4f7ffffe, v5
	v_cvt_u32_f32_e32 v5, v5
	s_abs_i32 s2, s2
	s_waitcnt lgkmcnt(0)
	s_barrier
	v_readfirstlane_b32 s13, v5
	s_mul_i32 s12, s12, s13
	s_mul_hi_u32 s12, s13, s12
	s_add_i32 s13, s13, s12
	s_mul_hi_u32 s12, s2, s13
	s_mul_i32 s13, s12, s19
	s_sub_i32 s2, s2, s13
	s_add_i32 s13, s12, 1
	s_sub_i32 s23, s2, s19
	s_cmp_ge_u32 s2, s19
	s_cselect_b32 s12, s13, s12
	s_cselect_b32 s2, s23, s2
	s_add_i32 s13, s12, 1
	s_cmp_ge_u32 s2, s19
	s_cselect_b32 s2, s13, s12
	s_xor_b32 s2, s2, s3
	s_sub_i32 s2, s2, s3
	s_ashr_i32 s3, s2, 31
	v_cmp_lt_i64_e64 s[12:13], s[2:3], 1
	s_and_b64 vcc, exec, s[12:13]
	s_cbranch_vccnz .LBB86_48
; %bb.27:
	v_and_b32_e32 v12, 63, v0
	v_add_co_u32_e32 v14, vcc, 32, v12
	v_addc_co_u32_e64 v15, s[12:13], 0, 0, vcc
	v_add_co_u32_e32 v16, vcc, 16, v12
	v_addc_co_u32_e64 v17, s[12:13], 0, 0, vcc
	;; [unrolled: 2-line block ×4, first 2 shown]
	v_add_co_u32_e32 v22, vcc, 2, v12
	v_lshrrev_b32_e32 v10, 6, v0
	v_addc_co_u32_e64 v23, s[12:13], 0, 0, vcc
	v_add_co_u32_e32 v24, vcc, 1, v12
	v_addc_co_u32_e64 v25, s[12:13], 0, 0, vcc
	v_mul_lo_u32 v5, s24, v10
	v_lshlrev_b32_e32 v5, 2, v5
	v_lshlrev_b32_e32 v26, 2, v12
	s_movk_i32 s12, 0x100
	v_mov_b32_e32 v11, 0
	v_add3_u32 v5, v5, v26, s12
	s_mul_i32 s12, s24, s19
	s_ashr_i32 s23, s22, 31
	v_mov_b32_e32 v13, v11
	s_lshl_b32 s36, s12, 2
	s_mov_b64 s[12:13], 0
	v_mov_b32_e32 v37, s19
	s_mov_b64 s[26:27], src_shared_base
	s_branch .LBB86_30
.LBB86_28:                              ;   in Loop: Header=BB86_30 Depth=1
	s_or_b64 exec, exec, s[30:31]
	v_mov_b32_e32 v27, s27
	flat_load_dword v26, v[26:27] glc
	s_waitcnt vmcnt(0)
.LBB86_29:                              ;   in Loop: Header=BB86_30 Depth=1
	s_or_b64 exec, exec, s[28:29]
	s_add_u32 s12, s12, 1
	s_addc_u32 s13, s13, 0
	s_cmp_eq_u64 s[12:13], s[2:3]
	v_add_u32_e32 v5, s36, v5
	s_cbranch_scc1 .LBB86_48
.LBB86_30:                              ; =>This Loop Header: Depth=1
                                        ;     Child Loop BB86_33 Depth 2
	v_mad_u64_u32 v[30:31], s[28:29], s12, v37, v[10:11]
	s_mul_i32 s26, s13, s19
	v_add_u32_e32 v31, s26, v31
	v_cmp_gt_i64_e32 vcc, s[22:23], v[30:31]
	s_and_saveexec_b64 s[28:29], vcc
	s_cbranch_execz .LBB86_29
; %bb.31:                               ;   in Loop: Header=BB86_30 Depth=1
	v_pk_mov_b32 v[32:33], s[24:25], s[24:25] op_sel:[0,1]
	v_mul_lo_u32 v29, v31, s24
	v_mul_lo_u32 v38, v30, s25
	v_mad_u64_u32 v[32:33], s[30:31], v30, s24, v[32:33]
	v_add3_u32 v33, v29, v33, v38
	v_mov_b32_e32 v28, s21
	v_cmp_gt_i64_e32 vcc, s[20:21], v[32:33]
	s_waitcnt lgkmcnt(0)
	v_mad_u64_u32 v[26:27], s[30:31], v30, s24, v[12:13]
	v_cndmask_b32_e32 v33, v28, v33, vcc
	v_mov_b32_e32 v28, s17
	v_add3_u32 v27, v29, v27, v38
	v_cndmask_b32_e32 v32, v28, v32, vcc
	v_add_co_u32_e32 v34, vcc, 64, v26
	v_addc_co_u32_e32 v35, vcc, 0, v27, vcc
	v_cmp_lt_i64_e32 vcc, v[34:35], v[32:33]
	v_lshlrev_b32_e32 v28, 2, v26
	s_and_saveexec_b64 s[30:31], vcc
	s_cbranch_execz .LBB86_34
; %bb.32:                               ;   in Loop: Header=BB86_30 Depth=1
	ds_read_b32 v31, v28
	s_mov_b64 s[34:35], 0
	v_mov_b32_e32 v27, v5
.LBB86_33:                              ;   Parent Loop BB86_30 Depth=1
                                        ; =>  This Inner Loop Header: Depth=2
	ds_read_b32 v39, v27
	v_add_co_u32_e32 v34, vcc, 64, v34
	v_addc_co_u32_e32 v35, vcc, 0, v35, vcc
	s_waitcnt lgkmcnt(1)
	v_max_f32_e32 v31, v31, v31
	v_cmp_ge_i64_e32 vcc, v[34:35], v[32:33]
	s_waitcnt lgkmcnt(0)
	v_max_f32_e32 v39, v39, v39
	v_add_u32_e32 v27, 0x100, v27
	s_or_b64 s[34:35], vcc, s[34:35]
	v_max_f32_e32 v31, v31, v39
	ds_write_b32 v28, v31
	s_andn2_b64 exec, exec, s[34:35]
	s_cbranch_execnz .LBB86_33
.LBB86_34:                              ;   in Loop: Header=BB86_30 Depth=1
	s_or_b64 exec, exec, s[30:31]
	v_mad_u64_u32 v[30:31], s[30:31], v30, s24, 0
	v_add3_u32 v27, v31, v38, v29
	v_sub_co_u32_e32 v30, vcc, v32, v30
	v_subb_co_u32_e32 v31, vcc, v33, v27, vcc
	v_cmp_gt_i64_e32 vcc, 64, v[30:31]
	v_cndmask_b32_e32 v31, 0, v31, vcc
	v_cndmask_b32_e32 v30, 64, v30, vcc
	v_cmp_lt_i64_e32 vcc, v[14:15], v[30:31]
	s_and_saveexec_b64 s[30:31], vcc
	s_cbranch_execnz .LBB86_46
; %bb.35:                               ;   in Loop: Header=BB86_30 Depth=1
	s_or_b64 exec, exec, s[30:31]
	v_cmp_lt_i64_e32 vcc, v[16:17], v[30:31]
	s_and_saveexec_b64 s[30:31], vcc
	s_cbranch_execnz .LBB86_47
.LBB86_36:                              ;   in Loop: Header=BB86_30 Depth=1
	s_or_b64 exec, exec, s[30:31]
	v_cmp_lt_i64_e32 vcc, v[18:19], v[30:31]
	s_and_saveexec_b64 s[30:31], vcc
	s_cbranch_execz .LBB86_38
.LBB86_37:                              ;   in Loop: Header=BB86_30 Depth=1
	v_mov_b32_e32 v29, s27
	v_add_u32_e32 v32, 32, v28
	v_mov_b32_e32 v33, s27
	flat_load_dword v27, v[28:29] glc
	s_waitcnt vmcnt(0)
	flat_load_dword v34, v[32:33] glc
	s_waitcnt vmcnt(0) lgkmcnt(0)
	v_max_f32_e32 v27, v27, v27
	v_max_f32_e32 v32, v34, v34
	;; [unrolled: 1-line block ×3, first 2 shown]
	flat_store_dword v[28:29], v27
	s_waitcnt vmcnt(0)
.LBB86_38:                              ;   in Loop: Header=BB86_30 Depth=1
	s_or_b64 exec, exec, s[30:31]
	v_cmp_ge_i64_e32 vcc, v[20:21], v[30:31]
	s_and_saveexec_b64 s[30:31], vcc
	s_xor_b64 s[30:31], exec, s[30:31]
; %bb.39:                               ;   in Loop: Header=BB86_30 Depth=1
                                        ; implicit-def: $vgpr28
; %bb.40:                               ;   in Loop: Header=BB86_30 Depth=1
	s_andn2_saveexec_b64 s[30:31], s[30:31]
	s_cbranch_execz .LBB86_42
; %bb.41:                               ;   in Loop: Header=BB86_30 Depth=1
	v_mov_b32_e32 v29, s27
	v_add_u32_e32 v32, 16, v28
	v_mov_b32_e32 v33, s27
	flat_load_dword v27, v[28:29] glc
	s_waitcnt vmcnt(0)
	flat_load_dword v34, v[32:33] glc
	s_waitcnt vmcnt(0) lgkmcnt(0)
	v_max_f32_e32 v27, v27, v27
	v_max_f32_e32 v32, v34, v34
	;; [unrolled: 1-line block ×3, first 2 shown]
	flat_store_dword v[28:29], v27
	s_waitcnt vmcnt(0)
.LBB86_42:                              ;   in Loop: Header=BB86_30 Depth=1
	s_or_b64 exec, exec, s[30:31]
	v_cmp_lt_i64_e32 vcc, v[22:23], v[30:31]
	v_lshlrev_b32_e32 v26, 2, v26
	s_and_saveexec_b64 s[30:31], vcc
	s_cbranch_execz .LBB86_44
; %bb.43:                               ;   in Loop: Header=BB86_30 Depth=1
	v_mov_b32_e32 v27, s27
	v_add_u32_e32 v28, 8, v26
	v_mov_b32_e32 v29, s27
	flat_load_dword v32, v[26:27] glc
	s_waitcnt vmcnt(0)
	flat_load_dword v33, v[28:29] glc
	s_waitcnt vmcnt(0) lgkmcnt(0)
	v_max_f32_e32 v28, v32, v32
	v_max_f32_e32 v29, v33, v33
	;; [unrolled: 1-line block ×3, first 2 shown]
	flat_store_dword v[26:27], v28
	s_waitcnt vmcnt(0)
.LBB86_44:                              ;   in Loop: Header=BB86_30 Depth=1
	s_or_b64 exec, exec, s[30:31]
	v_cmp_lt_i64_e32 vcc, v[24:25], v[30:31]
	s_and_saveexec_b64 s[30:31], vcc
	s_cbranch_execz .LBB86_28
; %bb.45:                               ;   in Loop: Header=BB86_30 Depth=1
	v_mov_b32_e32 v27, s27
	v_add_u32_e32 v28, 4, v26
	v_mov_b32_e32 v29, s27
	flat_load_dword v30, v[26:27] glc
	s_waitcnt vmcnt(0)
	flat_load_dword v31, v[28:29] glc
	s_waitcnt vmcnt(0) lgkmcnt(0)
	v_max_f32_e32 v28, v30, v30
	v_max_f32_e32 v29, v31, v31
	;; [unrolled: 1-line block ×3, first 2 shown]
	flat_store_dword v[26:27], v28
	s_waitcnt vmcnt(0)
	s_branch .LBB86_28
.LBB86_46:                              ;   in Loop: Header=BB86_30 Depth=1
	v_mov_b32_e32 v29, s27
	v_add_u32_e32 v32, 0x80, v28
	v_mov_b32_e32 v33, s27
	flat_load_dword v27, v[28:29] glc
	s_waitcnt vmcnt(0)
	flat_load_dword v34, v[32:33] glc
	s_waitcnt vmcnt(0) lgkmcnt(0)
	v_max_f32_e32 v27, v27, v27
	v_max_f32_e32 v32, v34, v34
	;; [unrolled: 1-line block ×3, first 2 shown]
	flat_store_dword v[28:29], v27
	s_waitcnt vmcnt(0)
	s_or_b64 exec, exec, s[30:31]
	v_cmp_lt_i64_e32 vcc, v[16:17], v[30:31]
	s_and_saveexec_b64 s[30:31], vcc
	s_cbranch_execz .LBB86_36
.LBB86_47:                              ;   in Loop: Header=BB86_30 Depth=1
	v_mov_b32_e32 v29, s27
	v_add_u32_e32 v32, 64, v28
	v_mov_b32_e32 v33, s27
	flat_load_dword v27, v[28:29] glc
	s_waitcnt vmcnt(0)
	flat_load_dword v34, v[32:33] glc
	s_waitcnt vmcnt(0) lgkmcnt(0)
	v_max_f32_e32 v27, v27, v27
	v_max_f32_e32 v32, v34, v34
	;; [unrolled: 1-line block ×3, first 2 shown]
	flat_store_dword v[28:29], v27
	s_waitcnt vmcnt(0)
	s_or_b64 exec, exec, s[30:31]
	v_cmp_lt_i64_e32 vcc, v[18:19], v[30:31]
	s_and_saveexec_b64 s[30:31], vcc
	s_cbranch_execnz .LBB86_37
	s_branch .LBB86_38
.LBB86_48:
	s_load_dwordx2 s[12:13], s[4:5], 0x40
	v_cmp_eq_u32_e32 vcc, 0, v4
	v_cmp_lt_i64_e64 s[2:3], v[6:7], v[8:9]
	s_and_b64 s[2:3], vcc, s[2:3]
	s_waitcnt lgkmcnt(0)
	s_barrier
	s_and_saveexec_b64 s[22:23], s[2:3]
	s_cbranch_execz .LBB86_55
; %bb.49:
	s_load_dwordx2 s[2:3], s[4:5], 0x20
	ds_read_b32 v1, v1
	s_waitcnt lgkmcnt(0)
	s_cmp_eq_u64 s[2:3], 0
	s_cbranch_scc1 .LBB86_51
; %bb.50:
	s_load_dword s2, s[2:3], 0x0
	v_max_f32_e32 v1, v1, v1
	s_waitcnt lgkmcnt(0)
	v_max_f32_e64 v4, s2, s2
	v_min_f32_e32 v1, v1, v4
.LBB86_51:
	s_add_u32 s3, s12, s43
	s_addc_u32 s4, s13, 0
	s_add_u32 s24, s3, -1
	s_addc_u32 s25, s4, -1
	s_or_b64 s[4:5], s[24:25], s[12:13]
	s_mov_b32 s2, 0
	s_mov_b32 s3, s5
	s_cmp_lg_u64 s[2:3], 0
	s_mov_b64 s[26:27], -1
	s_cbranch_scc0 .LBB86_68
; %bb.52:
	s_ashr_i32 s2, s13, 31
	s_add_u32 s4, s12, s2
	s_mov_b32 s3, s2
	s_addc_u32 s5, s13, s2
	s_xor_b64 s[28:29], s[4:5], s[2:3]
	v_cvt_f32_u32_e32 v4, s28
	v_cvt_f32_u32_e32 v5, s29
	s_sub_u32 s2, 0, s28
	s_subb_u32 s3, 0, s29
	v_madmk_f32 v4, v5, 0x4f800000, v4
	v_rcp_f32_e32 v4, v4
	v_mul_f32_e32 v4, 0x5f7ffffc, v4
	v_mul_f32_e32 v5, 0x2f800000, v4
	v_trunc_f32_e32 v5, v5
	v_madmk_f32 v4, v5, 0xcf800000, v4
	v_cvt_u32_f32_e32 v5, v5
	v_cvt_u32_f32_e32 v4, v4
	v_readfirstlane_b32 s4, v5
	v_readfirstlane_b32 s5, v4
	s_mul_i32 s19, s2, s4
	s_mul_hi_u32 s30, s2, s5
	s_mul_i32 s20, s3, s5
	s_add_i32 s19, s30, s19
	s_add_i32 s19, s19, s20
	s_mul_i32 s31, s2, s5
	s_mul_hi_u32 s20, s5, s19
	s_mul_i32 s30, s5, s19
	s_mul_hi_u32 s5, s5, s31
	s_add_u32 s5, s5, s30
	s_addc_u32 s20, 0, s20
	s_mul_hi_u32 s34, s4, s31
	s_mul_i32 s31, s4, s31
	s_add_u32 s5, s5, s31
	s_mul_hi_u32 s30, s4, s19
	s_addc_u32 s5, s20, s34
	s_addc_u32 s20, s30, 0
	s_mul_i32 s19, s4, s19
	s_add_u32 s5, s5, s19
	s_addc_u32 s19, 0, s20
	v_add_co_u32_e32 v4, vcc, s5, v4
	s_cmp_lg_u64 vcc, 0
	s_addc_u32 s4, s4, s19
	v_readfirstlane_b32 s19, v4
	s_mul_i32 s5, s2, s4
	s_mul_hi_u32 s20, s2, s19
	s_add_i32 s5, s20, s5
	s_mul_i32 s3, s3, s19
	s_add_i32 s5, s5, s3
	s_mul_i32 s2, s2, s19
	s_mul_hi_u32 s20, s4, s2
	s_mul_i32 s30, s4, s2
	s_mul_i32 s34, s19, s5
	s_mul_hi_u32 s2, s19, s2
	s_mul_hi_u32 s31, s19, s5
	s_add_u32 s2, s2, s34
	s_addc_u32 s19, 0, s31
	s_add_u32 s2, s2, s30
	s_mul_hi_u32 s3, s4, s5
	s_addc_u32 s2, s19, s20
	s_addc_u32 s3, s3, 0
	s_mul_i32 s5, s4, s5
	s_add_u32 s2, s2, s5
	s_addc_u32 s3, 0, s3
	v_add_co_u32_e32 v4, vcc, s2, v4
	s_cmp_lg_u64 vcc, 0
	s_addc_u32 s4, s4, s3
	s_ashr_i32 s30, s25, 31
	s_add_u32 s2, s24, s30
	s_mov_b32 s31, s30
	s_addc_u32 s3, s25, s30
	s_xor_b64 s[34:35], s[2:3], s[30:31]
	v_readfirstlane_b32 s5, v4
	s_mul_i32 s3, s34, s4
	s_mul_hi_u32 s19, s34, s5
	s_mul_hi_u32 s2, s34, s4
	s_add_u32 s3, s19, s3
	s_addc_u32 s2, 0, s2
	s_mul_hi_u32 s20, s35, s5
	s_mul_i32 s5, s35, s5
	s_add_u32 s3, s3, s5
	s_mul_hi_u32 s19, s35, s4
	s_addc_u32 s2, s2, s20
	s_addc_u32 s3, s19, 0
	s_mul_i32 s4, s35, s4
	s_add_u32 s2, s2, s4
	s_addc_u32 s3, 0, s3
	s_mul_i32 s3, s28, s3
	s_mul_hi_u32 s4, s28, s2
	s_add_i32 s3, s4, s3
	s_mul_i32 s4, s29, s2
	s_mul_i32 s2, s28, s2
	s_add_i32 s19, s3, s4
	v_mov_b32_e32 v4, s2
	s_sub_i32 s3, s35, s19
	v_sub_co_u32_e32 v4, vcc, s34, v4
	s_cmp_lg_u64 vcc, 0
	s_subb_u32 s20, s3, s29
	v_subrev_co_u32_e64 v5, s[2:3], s28, v4
	s_cmp_lg_u64 s[2:3], 0
	s_subb_u32 s31, s20, 0
	s_cmp_ge_u32 s31, s29
	s_cselect_b32 s34, -1, 0
	v_cmp_le_u32_e64 s[4:5], s28, v5
	s_cmp_eq_u32 s31, s29
	v_cndmask_b32_e64 v6, 0, -1, s[4:5]
	v_mov_b32_e32 v7, s34
	s_cselect_b64 s[4:5], -1, 0
	s_cmp_lg_u64 s[2:3], 0
	v_cndmask_b32_e64 v6, v7, v6, s[4:5]
	s_subb_u32 s4, s20, s29
	v_subrev_co_u32_e64 v7, s[2:3], s28, v5
	s_cmp_lg_u64 s[2:3], 0
	s_subb_u32 s4, s4, 0
	v_cmp_ne_u32_e64 s[2:3], 0, v6
	v_cndmask_b32_e64 v5, v5, v7, s[2:3]
	v_mov_b32_e32 v6, s31
	v_mov_b32_e32 v7, s4
	s_cmp_lg_u64 vcc, 0
	v_cndmask_b32_e64 v6, v6, v7, s[2:3]
	s_subb_u32 s2, s35, s19
	s_cmp_ge_u32 s2, s29
	s_cselect_b32 s3, -1, 0
	v_cmp_le_u32_e32 vcc, s28, v4
	s_cmp_eq_u32 s2, s29
	v_cndmask_b32_e64 v7, 0, -1, vcc
	v_mov_b32_e32 v8, s3
	s_cselect_b64 vcc, -1, 0
	v_cndmask_b32_e32 v7, v8, v7, vcc
	v_cmp_ne_u32_e32 vcc, 0, v7
	v_mov_b32_e32 v8, s2
	v_cndmask_b32_e32 v4, v4, v5, vcc
	v_cndmask_b32_e32 v6, v8, v6, vcc
	v_xor_b32_e32 v4, s30, v4
	v_xor_b32_e32 v5, s30, v6
	v_mov_b32_e32 v6, s30
	v_subrev_co_u32_e32 v4, vcc, s30, v4
	v_subb_co_u32_e32 v5, vcc, v5, v6, vcc
	s_cbranch_execnz .LBB86_54
.LBB86_53:
	v_cvt_f32_u32_e32 v4, s12
	s_sub_i32 s2, 0, s12
	v_rcp_iflag_f32_e32 v4, v4
	v_mul_f32_e32 v4, 0x4f7ffffe, v4
	v_cvt_u32_f32_e32 v4, v4
	v_mul_lo_u32 v5, s2, v4
	v_mul_hi_u32 v5, v4, v5
	v_add_u32_e32 v4, v4, v5
	v_mul_hi_u32 v4, s24, v4
	v_mul_lo_u32 v4, v4, s12
	v_sub_u32_e32 v4, s24, v4
	v_subrev_u32_e32 v5, s12, v4
	v_cmp_le_u32_e32 vcc, s12, v4
	v_cndmask_b32_e32 v4, v4, v5, vcc
	v_subrev_u32_e32 v5, s12, v4
	v_cmp_le_u32_e32 vcc, s12, v4
	v_cndmask_b32_e32 v4, v4, v5, vcc
	v_mov_b32_e32 v5, 0
.LBB86_54:
	s_mov_b32 s4, 0x42fe0000
	v_div_scale_f32 v6, s[2:3], s4, s4, v1
	v_rcp_f32_e32 v7, v6
	v_div_scale_f32 v8, vcc, v1, s4, v1
	v_fma_f32 v9, -v6, v7, 1.0
	v_fmac_f32_e32 v7, v9, v7
	v_mul_f32_e32 v9, v8, v7
	v_fma_f32 v10, -v6, v9, v8
	v_fmac_f32_e32 v9, v10, v7
	v_fma_f32 v6, -v6, v9, v8
	v_div_fmas_f32 v6, v6, v7, v9
	v_div_fixup_f32 v1, v6, s4, v1
	v_mov_b32_e32 v6, s25
	v_sub_co_u32_e32 v4, vcc, s24, v4
	v_subb_co_u32_e32 v5, vcc, v6, v5, vcc
	v_mul_lo_u32 v5, v5, v2
	v_mul_lo_u32 v6, v4, v3
	v_mad_u64_u32 v[2:3], s[2:3], v4, v2, 0
	s_lshl_b64 s[2:3], s[6:7], 2
	v_add3_u32 v3, v3, v6, v5
	s_add_u32 s2, s2, s10
	v_lshlrev_b64 v[2:3], 2, v[2:3]
	s_addc_u32 s3, s3, s11
	v_mov_b32_e32 v4, s3
	v_add_co_u32_e32 v2, vcc, s2, v2
	v_max_f32_e32 v1, 0x34000000, v1
	v_addc_co_u32_e32 v3, vcc, v4, v3, vcc
	global_store_dword v[2:3], v1, off
.LBB86_55:
	s_or_b64 exec, exec, s[22:23]
	s_barrier
	s_and_saveexec_b64 s[2:3], s[0:1]
	s_cbranch_execz .LBB86_67
; %bb.56:
	s_add_u32 s1, s12, s43
	s_addc_u32 s2, s13, 0
	s_add_u32 s4, s1, -1
	s_addc_u32 s5, s2, -1
	s_or_b64 s[2:3], s[4:5], s[12:13]
	s_mov_b32 s0, 0
	s_mov_b32 s1, s3
	s_cmp_lg_u64 s[0:1], 0
	s_mov_b64 s[22:23], -1
	s_cbranch_scc0 .LBB86_69
; %bb.57:
	s_ashr_i32 s0, s13, 31
	s_add_u32 s2, s12, s0
	s_mov_b32 s1, s0
	s_addc_u32 s3, s13, s0
	s_xor_b64 s[24:25], s[2:3], s[0:1]
	v_cvt_f32_u32_e32 v1, s24
	v_cvt_f32_u32_e32 v2, s25
	s_sub_u32 s0, 0, s24
	s_subb_u32 s1, 0, s25
	v_madmk_f32 v1, v2, 0x4f800000, v1
	v_rcp_f32_e32 v1, v1
	v_mul_f32_e32 v1, 0x5f7ffffc, v1
	v_mul_f32_e32 v2, 0x2f800000, v1
	v_trunc_f32_e32 v2, v2
	v_madmk_f32 v1, v2, 0xcf800000, v1
	v_cvt_u32_f32_e32 v2, v2
	v_cvt_u32_f32_e32 v1, v1
	v_readfirstlane_b32 s2, v2
	v_readfirstlane_b32 s3, v1
	s_mul_i32 s13, s0, s2
	s_mul_hi_u32 s20, s0, s3
	s_mul_i32 s19, s1, s3
	s_add_i32 s13, s20, s13
	s_add_i32 s13, s13, s19
	s_mul_i32 s26, s0, s3
	s_mul_hi_u32 s19, s3, s13
	s_mul_i32 s20, s3, s13
	s_mul_hi_u32 s3, s3, s26
	s_add_u32 s3, s3, s20
	s_addc_u32 s19, 0, s19
	s_mul_hi_u32 s27, s2, s26
	s_mul_i32 s26, s2, s26
	s_add_u32 s3, s3, s26
	s_mul_hi_u32 s20, s2, s13
	s_addc_u32 s3, s19, s27
	s_addc_u32 s19, s20, 0
	s_mul_i32 s13, s2, s13
	s_add_u32 s3, s3, s13
	s_addc_u32 s13, 0, s19
	v_add_co_u32_e32 v1, vcc, s3, v1
	s_cmp_lg_u64 vcc, 0
	s_addc_u32 s2, s2, s13
	v_readfirstlane_b32 s13, v1
	s_mul_i32 s3, s0, s2
	s_mul_hi_u32 s19, s0, s13
	s_add_i32 s3, s19, s3
	s_mul_i32 s1, s1, s13
	s_add_i32 s3, s3, s1
	s_mul_i32 s0, s0, s13
	s_mul_hi_u32 s19, s2, s0
	s_mul_i32 s20, s2, s0
	s_mul_i32 s27, s13, s3
	s_mul_hi_u32 s0, s13, s0
	s_mul_hi_u32 s26, s13, s3
	s_add_u32 s0, s0, s27
	s_addc_u32 s13, 0, s26
	s_add_u32 s0, s0, s20
	s_mul_hi_u32 s1, s2, s3
	s_addc_u32 s0, s13, s19
	s_addc_u32 s1, s1, 0
	s_mul_i32 s3, s2, s3
	s_add_u32 s0, s0, s3
	s_addc_u32 s1, 0, s1
	v_add_co_u32_e32 v1, vcc, s0, v1
	s_cmp_lg_u64 vcc, 0
	s_addc_u32 s2, s2, s1
	s_ashr_i32 s26, s5, 31
	s_add_u32 s0, s4, s26
	s_mov_b32 s27, s26
	s_addc_u32 s1, s5, s26
	s_xor_b64 s[28:29], s[0:1], s[26:27]
	v_readfirstlane_b32 s3, v1
	s_mul_i32 s1, s28, s2
	s_mul_hi_u32 s13, s28, s3
	s_mul_hi_u32 s0, s28, s2
	s_add_u32 s1, s13, s1
	s_addc_u32 s0, 0, s0
	s_mul_hi_u32 s19, s29, s3
	s_mul_i32 s3, s29, s3
	s_add_u32 s1, s1, s3
	s_mul_hi_u32 s13, s29, s2
	s_addc_u32 s0, s0, s19
	s_addc_u32 s1, s13, 0
	s_mul_i32 s2, s29, s2
	s_add_u32 s0, s0, s2
	s_addc_u32 s1, 0, s1
	s_mul_i32 s1, s24, s1
	s_mul_hi_u32 s2, s24, s0
	s_add_i32 s1, s2, s1
	s_mul_i32 s2, s25, s0
	s_mul_i32 s0, s24, s0
	s_add_i32 s13, s1, s2
	v_mov_b32_e32 v1, s0
	s_sub_i32 s1, s29, s13
	v_sub_co_u32_e32 v1, vcc, s28, v1
	s_cmp_lg_u64 vcc, 0
	s_subb_u32 s19, s1, s25
	v_subrev_co_u32_e64 v2, s[0:1], s24, v1
	s_cmp_lg_u64 s[0:1], 0
	s_subb_u32 s20, s19, 0
	s_cmp_ge_u32 s20, s25
	s_cselect_b32 s27, -1, 0
	v_cmp_le_u32_e64 s[2:3], s24, v2
	s_cmp_eq_u32 s20, s25
	v_cndmask_b32_e64 v3, 0, -1, s[2:3]
	v_mov_b32_e32 v4, s27
	s_cselect_b64 s[2:3], -1, 0
	s_cmp_lg_u64 s[0:1], 0
	v_cndmask_b32_e64 v3, v4, v3, s[2:3]
	s_subb_u32 s2, s19, s25
	v_subrev_co_u32_e64 v4, s[0:1], s24, v2
	s_cmp_lg_u64 s[0:1], 0
	s_subb_u32 s2, s2, 0
	v_cmp_ne_u32_e64 s[0:1], 0, v3
	v_cndmask_b32_e64 v2, v2, v4, s[0:1]
	v_mov_b32_e32 v3, s20
	v_mov_b32_e32 v4, s2
	s_cmp_lg_u64 vcc, 0
	v_cndmask_b32_e64 v3, v3, v4, s[0:1]
	s_subb_u32 s0, s29, s13
	s_cmp_ge_u32 s0, s25
	s_cselect_b32 s1, -1, 0
	v_cmp_le_u32_e32 vcc, s24, v1
	s_cmp_eq_u32 s0, s25
	v_cndmask_b32_e64 v4, 0, -1, vcc
	v_mov_b32_e32 v5, s1
	s_cselect_b64 vcc, -1, 0
	v_cndmask_b32_e32 v4, v5, v4, vcc
	v_cmp_ne_u32_e32 vcc, 0, v4
	v_mov_b32_e32 v5, s0
	v_cndmask_b32_e32 v1, v1, v2, vcc
	v_cndmask_b32_e32 v3, v5, v3, vcc
	v_xor_b32_e32 v1, s26, v1
	v_xor_b32_e32 v3, s26, v3
	v_mov_b32_e32 v4, s26
	v_subrev_co_u32_e32 v2, vcc, s26, v1
	v_subb_co_u32_e32 v3, vcc, v3, v4, vcc
	s_cbranch_execnz .LBB86_59
.LBB86_58:
	v_cvt_f32_u32_e32 v1, s12
	s_sub_i32 s0, 0, s12
	v_mov_b32_e32 v3, 0
	v_rcp_iflag_f32_e32 v1, v1
	v_mul_f32_e32 v1, 0x4f7ffffe, v1
	v_cvt_u32_f32_e32 v1, v1
	v_mul_lo_u32 v2, s0, v1
	v_mul_hi_u32 v2, v1, v2
	v_add_u32_e32 v1, v1, v2
	v_mul_hi_u32 v1, s4, v1
	v_mul_lo_u32 v1, v1, s12
	v_sub_u32_e32 v1, s4, v1
	v_subrev_u32_e32 v2, s12, v1
	v_cmp_le_u32_e32 vcc, s12, v1
	v_cndmask_b32_e32 v1, v1, v2, vcc
	v_subrev_u32_e32 v2, s12, v1
	v_cmp_le_u32_e32 vcc, s12, v1
	v_cndmask_b32_e32 v2, v1, v2, vcc
.LBB86_59:
	s_mul_i32 s0, s21, s6
	s_mul_hi_u32 s1, s17, s6
	s_add_i32 s1, s1, s0
	s_mul_i32 s0, s17, s6
	s_add_u32 s12, s8, s0
	s_addc_u32 s13, s9, s1
	s_lshl_b64 s[0:1], s[6:7], 2
	s_add_u32 s17, s10, s0
	s_addc_u32 s19, s11, s1
	v_mov_b32_e32 v1, s5
	v_sub_co_u32_e32 v8, vcc, s4, v2
	v_subb_co_u32_e32 v9, vcc, v1, v3, vcc
	s_mul_i32 s20, s16, 3
	s_lshl_b32 s21, s16, 1
	s_mov_b64 s[2:3], 0
	v_mov_b32_e32 v1, 0
	v_mov_b32_e32 v10, s42
	;; [unrolled: 1-line block ×4, first 2 shown]
	s_movk_i32 s22, 0x7fff
	v_mov_b32_e32 v13, 0x7fc00000
	s_mov_b32 s23, 0x42fe0000
	v_mov_b32_e32 v14, 0x42fe0000
	s_mov_b32 s24, 0xc3000000
	v_mov_b32_e32 v15, 0xc3000000
	v_mov_b32_e32 v16, s13
	;; [unrolled: 1-line block ×3, first 2 shown]
                                        ; implicit-def: $sgpr4_sgpr5
	s_branch .LBB86_63
.LBB86_60:                              ;   in Loop: Header=BB86_63 Depth=1
	s_or_b64 exec, exec, s[10:11]
	s_orn2_b64 s[0:1], s[0:1], exec
.LBB86_61:                              ;   in Loop: Header=BB86_63 Depth=1
	s_or_b64 exec, exec, s[8:9]
	s_andn2_b64 s[4:5], s[4:5], exec
	s_and_b64 s[0:1], s[0:1], exec
	s_or_b64 s[4:5], s[4:5], s[0:1]
.LBB86_62:                              ;   in Loop: Header=BB86_63 Depth=1
	s_or_b64 exec, exec, s[6:7]
	s_and_b64 s[0:1], exec, s[4:5]
	s_or_b64 s[2:3], s[0:1], s[2:3]
	s_andn2_b64 exec, exec, s[2:3]
	s_cbranch_execz .LBB86_67
.LBB86_63:                              ; =>This Inner Loop Header: Depth=1
	v_bfe_u32 v19, v0, 4, 26
	v_lshlrev_b64 v[2:3], 3, v[0:1]
	v_mad_u64_u32 v[6:7], s[0:1], v8, v19, 0
	v_add_co_u32_e32 v4, vcc, s33, v2
	v_mov_b32_e32 v18, v7
	v_addc_co_u32_e32 v5, vcc, v10, v3, vcc
	v_mad_u64_u32 v[18:19], s[0:1], v9, v19, v[18:19]
	v_add_co_u32_e32 v2, vcc, s14, v2
	v_mov_b32_e32 v7, v18
	global_load_dwordx2 v[4:5], v[4:5], off
	v_addc_co_u32_e32 v3, vcc, v11, v3, vcc
	v_lshlrev_b64 v[6:7], 2, v[6:7]
	global_load_dwordx2 v[2:3], v[2:3], off
	v_add_co_u32_e32 v6, vcc, s17, v6
	v_addc_co_u32_e32 v7, vcc, v12, v7, vcc
	global_load_dword v18, v[6:7], off
	v_lshlrev_b64 v[6:7], 2, v[0:1]
	v_add_co_u32_e32 v6, vcc, s12, v6
	v_addc_co_u32_e32 v7, vcc, v16, v7, vcc
	s_or_b64 s[4:5], s[4:5], exec
	s_waitcnt vmcnt(2)
	v_lshlrev_b32_e32 v20, 16, v4
	v_and_b32_e32 v19, 0xffff0000, v4
	v_alignbit_b32 v21, v5, v4, 16
	v_and_b32_e32 v22, 0xffff0000, v5
	s_waitcnt vmcnt(1)
	v_alignbit_b32 v24, v3, v2, 16
	v_and_b32_e32 v4, 0xffff0000, v3
	v_mul_f32_e32 v3, v36, v20
	v_lshlrev_b32_e32 v23, 16, v2
	v_and_b32_e32 v5, 0xffff0000, v2
	v_and_b32_e32 v2, 0xffff0000, v21
	v_mul_f32_e32 v19, v36, v19
	v_mul_f32_e32 v21, v36, v22
	v_bfe_u32 v22, v3, 16, 1
	v_and_b32_e32 v20, 0xffff0000, v24
	v_bfe_u32 v24, v19, 16, 1
	v_add3_u32 v22, v3, v22, s22
	s_waitcnt vmcnt(0)
	v_div_scale_f32 v27, s[0:1], v18, v18, 1.0
	v_mul_f32_e32 v25, v36, v2
	v_bfe_u32 v2, v21, 16, 1
	v_add3_u32 v24, v19, v24, s22
	v_and_b32_e32 v22, 0xffff0000, v22
	v_cmp_o_f32_e64 s[0:1], v3, v3
	v_bfe_u32 v26, v25, 16, 1
	v_add3_u32 v2, v21, v2, s22
	v_and_b32_e32 v24, 0xffff0000, v24
	v_cndmask_b32_e64 v22, v13, v22, s[0:1]
	v_cmp_o_f32_e64 s[0:1], v19, v19
	v_add3_u32 v26, v25, v26, s22
	v_and_b32_e32 v2, 0xffff0000, v2
	v_cndmask_b32_e64 v3, v13, v24, s[0:1]
	v_cmp_o_f32_e64 s[0:1], v21, v21
	v_and_b32_e32 v26, 0xffff0000, v26
	v_cndmask_b32_e64 v2, v13, v2, s[0:1]
	v_rcp_f32_e32 v19, v27
	v_cmp_o_f32_e64 s[0:1], v25, v25
	v_mul_f32_e32 v21, v22, v23
	v_cndmask_b32_e64 v22, v13, v26, s[0:1]
	v_pk_mul_f32 v[2:3], v[2:3], v[4:5]
	v_bfe_u32 v4, v21, 16, 1
	v_mul_f32_e32 v5, v22, v20
	v_add3_u32 v4, v21, v4, s22
	v_bfe_u32 v22, v5, 16, 1
	v_and_b32_e32 v4, 0xffff0000, v4
	v_add3_u32 v22, v5, v22, s22
	v_fma_f32 v23, -v27, v19, 1.0
	v_cmp_o_f32_e64 s[0:1], v21, v21
	v_div_scale_f32 v28, vcc, 1.0, v18, 1.0
	v_cndmask_b32_e64 v21, v13, v4, s[0:1]
	v_and_b32_e32 v4, 0xffff0000, v22
	v_fmac_f32_e32 v19, v23, v19
	v_cmp_o_f32_e64 s[0:1], v5, v5
	v_cndmask_b32_e64 v5, v13, v4, s[0:1]
	v_mul_f32_e32 v4, v28, v19
	v_fma_f32 v22, -v27, v4, v28
	v_fmac_f32_e32 v4, v22, v19
	v_fma_f32 v22, -v27, v4, v28
	v_div_fmas_f32 v4, v22, v19, v4
	v_div_fixup_f32 v4, v4, v18, 1.0
	v_mul_f32_e32 v18, v4, v21
	v_mul_f32_e32 v5, v4, v5
	v_rndne_f32_e32 v18, v18
	v_rndne_f32_e32 v5, v5
	v_cmp_nlt_f32_e32 vcc, s23, v18
	v_cndmask_b32_e32 v19, v14, v18, vcc
	v_cmp_nlt_f32_e32 vcc, s23, v5
	v_cndmask_b32_e32 v21, v14, v5, vcc
	v_cmp_ngt_f32_e32 vcc, s24, v18
	v_cndmask_b32_e32 v18, v15, v19, vcc
	v_cmp_ngt_f32_e32 vcc, s24, v5
	v_cndmask_b32_e32 v5, v15, v21, vcc
	v_bfe_u32 v19, v3, 16, 1
	v_bfe_u32 v20, v2, 16, 1
	v_cvt_i32_f32_e32 v5, v5
	v_add3_u32 v19, v3, v19, s22
	v_add3_u32 v20, v2, v20, s22
	v_and_b32_e32 v19, 0xffff0000, v19
	v_cmp_o_f32_e32 vcc, v3, v3
	v_and_b32_e32 v20, 0xffff0000, v20
	v_cndmask_b32_e32 v3, v13, v19, vcc
	v_cmp_o_f32_e32 vcc, v2, v2
	v_cndmask_b32_e32 v2, v13, v20, vcc
	v_pk_mul_f32 v[2:3], v[4:5], v[2:3] op_sel_hi:[0,1]
	v_rndne_f32_e32 v2, v2
	v_rndne_f32_e32 v3, v3
	v_cmp_nlt_f32_e32 vcc, s23, v2
	v_cndmask_b32_e32 v4, v14, v2, vcc
	v_cmp_nlt_f32_e32 vcc, s23, v3
	v_cndmask_b32_e32 v19, v14, v3, vcc
	v_cmp_ngt_f32_e32 vcc, s24, v3
	v_cndmask_b32_e32 v3, v15, v19, vcc
	v_cmp_ngt_f32_e32 vcc, s24, v2
	v_cndmask_b32_e32 v2, v15, v4, vcc
	v_cvt_i32_f32_e32 v18, v18
	v_cvt_i32_f32_e32 v3, v3
	v_cvt_i32_f32_e32 v2, v2
	v_and_b32_e32 v4, 0xff, v5
	v_lshlrev_b32_e32 v4, 16, v4
	v_lshlrev_b32_sdwa v3, v17, v3 dst_sel:DWORD dst_unused:UNUSED_PAD src0_sel:DWORD src1_sel:BYTE_0
	v_lshl_or_b32 v2, v2, 24, v4
	v_and_b32_e32 v4, 0xff, v18
	v_or3_b32 v2, v2, v3, v4
	global_store_dword v[6:7], v2, off
	v_add_u32_e32 v2, s16, v0
	v_cmp_gt_u32_e32 vcc, s18, v2
	s_and_saveexec_b64 s[6:7], vcc
	s_cbranch_execz .LBB86_62
; %bb.64:                               ;   in Loop: Header=BB86_63 Depth=1
	v_mov_b32_e32 v3, v1
	v_bfe_u32 v21, v2, 4, 26
	v_lshlrev_b64 v[4:5], 3, v[2:3]
	v_mad_u64_u32 v[18:19], s[0:1], v8, v21, 0
	v_add_co_u32_e32 v6, vcc, s33, v4
	v_mov_b32_e32 v20, v19
	v_addc_co_u32_e32 v7, vcc, v10, v5, vcc
	v_mad_u64_u32 v[20:21], s[0:1], v9, v21, v[20:21]
	v_add_co_u32_e32 v4, vcc, s14, v4
	v_mov_b32_e32 v19, v20
	global_load_dwordx2 v[6:7], v[6:7], off
	v_addc_co_u32_e32 v5, vcc, v11, v5, vcc
	v_lshlrev_b64 v[18:19], 2, v[18:19]
	global_load_dwordx2 v[4:5], v[4:5], off
	v_add_co_u32_e32 v18, vcc, s17, v18
	v_addc_co_u32_e32 v19, vcc, v12, v19, vcc
	global_load_dword v20, v[18:19], off
	v_lshlrev_b64 v[18:19], 2, v[2:3]
	v_add_co_u32_e32 v18, vcc, s12, v18
	v_addc_co_u32_e32 v19, vcc, v16, v19, vcc
	s_waitcnt vmcnt(2)
	v_lshlrev_b32_e32 v21, 16, v6
	v_and_b32_e32 v3, 0xffff0000, v6
	v_alignbit_b32 v22, v7, v6, 16
	v_and_b32_e32 v23, 0xffff0000, v7
	s_waitcnt vmcnt(1)
	v_alignbit_b32 v25, v5, v4, 16
	v_and_b32_e32 v6, 0xffff0000, v5
	v_mul_f32_e32 v5, v36, v21
	v_lshlrev_b32_e32 v24, 16, v4
	v_and_b32_e32 v7, 0xffff0000, v4
	v_and_b32_e32 v4, 0xffff0000, v22
	v_mul_f32_e32 v3, v36, v3
	v_mul_f32_e32 v22, v36, v23
	v_bfe_u32 v23, v5, 16, 1
	v_and_b32_e32 v21, 0xffff0000, v25
	v_bfe_u32 v25, v3, 16, 1
	v_add3_u32 v23, v5, v23, s22
	s_waitcnt vmcnt(0)
	v_div_scale_f32 v28, s[0:1], v20, v20, 1.0
	v_mul_f32_e32 v26, v36, v4
	v_bfe_u32 v4, v22, 16, 1
	v_add3_u32 v25, v3, v25, s22
	v_and_b32_e32 v23, 0xffff0000, v23
	v_cmp_o_f32_e64 s[0:1], v5, v5
	v_bfe_u32 v27, v26, 16, 1
	v_add3_u32 v4, v22, v4, s22
	v_and_b32_e32 v25, 0xffff0000, v25
	v_cndmask_b32_e64 v23, v13, v23, s[0:1]
	v_cmp_o_f32_e64 s[0:1], v3, v3
	v_add3_u32 v27, v26, v27, s22
	v_and_b32_e32 v4, 0xffff0000, v4
	v_rcp_f32_e32 v30, v28
	v_cndmask_b32_e64 v5, v13, v25, s[0:1]
	v_cmp_o_f32_e64 s[0:1], v22, v22
	v_and_b32_e32 v27, 0xffff0000, v27
	v_cndmask_b32_e64 v4, v13, v4, s[0:1]
	v_cmp_o_f32_e64 s[0:1], v26, v26
	v_mul_f32_e32 v3, v23, v24
	v_cndmask_b32_e64 v22, v13, v27, s[0:1]
	v_pk_mul_f32 v[4:5], v[4:5], v[6:7]
	v_bfe_u32 v6, v3, 16, 1
	v_mul_f32_e32 v7, v22, v21
	v_add3_u32 v6, v3, v6, s22
	v_bfe_u32 v21, v7, 16, 1
	v_fma_f32 v22, -v28, v30, 1.0
	v_div_scale_f32 v29, vcc, 1.0, v20, 1.0
	v_and_b32_e32 v6, 0xffff0000, v6
	v_add3_u32 v21, v7, v21, s22
	v_fmac_f32_e32 v30, v22, v30
	v_cmp_o_f32_e64 s[0:1], v3, v3
	v_cndmask_b32_e64 v3, v13, v6, s[0:1]
	v_and_b32_e32 v6, 0xffff0000, v21
	v_mul_f32_e32 v21, v29, v30
	v_cmp_o_f32_e64 s[0:1], v7, v7
	v_cndmask_b32_e64 v7, v13, v6, s[0:1]
	v_fma_f32 v6, -v28, v21, v29
	v_fmac_f32_e32 v21, v6, v30
	v_fma_f32 v6, -v28, v21, v29
	v_div_fmas_f32 v6, v6, v30, v21
	v_div_fixup_f32 v6, v6, v20, 1.0
	v_mul_f32_e32 v3, v6, v3
	v_mul_f32_e32 v7, v6, v7
	v_rndne_f32_e32 v3, v3
	v_rndne_f32_e32 v7, v7
	v_cmp_nlt_f32_e32 vcc, s23, v3
	v_cndmask_b32_e32 v20, v14, v3, vcc
	v_cmp_nlt_f32_e32 vcc, s23, v7
	v_cndmask_b32_e32 v21, v14, v7, vcc
	v_cmp_ngt_f32_e32 vcc, s24, v3
	v_cndmask_b32_e32 v3, v15, v20, vcc
	v_cmp_ngt_f32_e32 vcc, s24, v7
	v_cndmask_b32_e32 v7, v15, v21, vcc
	v_bfe_u32 v21, v5, 16, 1
	v_cvt_i32_f32_e32 v7, v7
	v_bfe_u32 v20, v4, 16, 1
	v_add3_u32 v21, v5, v21, s22
	v_add3_u32 v20, v4, v20, s22
	v_and_b32_e32 v21, 0xffff0000, v21
	v_cmp_o_f32_e32 vcc, v5, v5
	v_and_b32_e32 v20, 0xffff0000, v20
	v_cndmask_b32_e32 v5, v13, v21, vcc
	v_cmp_o_f32_e32 vcc, v4, v4
	v_cndmask_b32_e32 v4, v13, v20, vcc
	v_pk_mul_f32 v[4:5], v[6:7], v[4:5] op_sel_hi:[0,1]
	v_rndne_f32_e32 v4, v4
	v_rndne_f32_e32 v5, v5
	v_cmp_nlt_f32_e32 vcc, s23, v4
	v_cndmask_b32_e32 v6, v14, v4, vcc
	v_cmp_nlt_f32_e32 vcc, s23, v5
	v_cndmask_b32_e32 v20, v14, v5, vcc
	v_cmp_ngt_f32_e32 vcc, s24, v5
	v_cndmask_b32_e32 v5, v15, v20, vcc
	v_cmp_ngt_f32_e32 vcc, s24, v4
	v_cndmask_b32_e32 v4, v15, v6, vcc
	v_cvt_i32_f32_e32 v3, v3
	v_cvt_i32_f32_e32 v5, v5
	;; [unrolled: 1-line block ×3, first 2 shown]
	v_and_b32_e32 v6, 0xff, v7
	v_lshlrev_b32_e32 v6, 16, v6
	v_lshlrev_b32_sdwa v5, v17, v5 dst_sel:DWORD dst_unused:UNUSED_PAD src0_sel:DWORD src1_sel:BYTE_0
	v_lshl_or_b32 v4, v4, 24, v6
	v_and_b32_e32 v3, 0xff, v3
	v_add_u32_e32 v6, s21, v0
	v_or3_b32 v3, v4, v5, v3
	v_cmp_gt_u32_e32 vcc, s18, v6
	s_mov_b64 s[0:1], -1
	global_store_dword v[18:19], v3, off
	s_and_saveexec_b64 s[8:9], vcc
	s_cbranch_execz .LBB86_61
; %bb.65:                               ;   in Loop: Header=BB86_63 Depth=1
	v_mov_b32_e32 v7, v1
	v_lshlrev_b64 v[4:5], 3, v[6:7]
	v_mov_b32_e32 v3, s42
	v_add_co_u32_e32 v18, vcc, s33, v4
	v_addc_co_u32_e32 v19, vcc, v3, v5, vcc
	v_mov_b32_e32 v3, s15
	v_add_co_u32_e32 v4, vcc, s14, v4
	v_addc_co_u32_e32 v5, vcc, v3, v5, vcc
	v_bfe_u32 v3, v6, 4, 26
	v_mad_u64_u32 v[20:21], s[0:1], v8, v3, 0
	v_mov_b32_e32 v22, v21
	v_mad_u64_u32 v[22:23], s[0:1], v9, v3, v[22:23]
	v_mov_b32_e32 v21, v22
	global_load_dwordx2 v[18:19], v[18:19], off
	v_lshlrev_b64 v[20:21], 2, v[20:21]
	v_mov_b32_e32 v3, s19
	v_add_co_u32_e32 v20, vcc, s17, v20
	v_addc_co_u32_e32 v21, vcc, v3, v21, vcc
	global_load_dword v3, v[20:21], off
	v_lshlrev_b64 v[6:7], 2, v[6:7]
	global_load_dwordx2 v[4:5], v[4:5], off
	v_mov_b32_e32 v20, s13
	v_add_co_u32_e32 v6, vcc, s12, v6
	v_addc_co_u32_e32 v7, vcc, v20, v7, vcc
	v_add_u32_e32 v0, s20, v0
	s_waitcnt vmcnt(2)
	v_lshlrev_b32_e32 v21, 16, v18
	v_and_b32_e32 v20, 0xffff0000, v18
	v_alignbit_b32 v18, v19, v18, 16
	v_and_b32_e32 v19, 0xffff0000, v19
	v_mul_f32_e32 v21, v36, v21
	v_and_b32_e32 v18, 0xffff0000, v18
	v_mul_f32_e32 v20, v36, v20
	v_mul_f32_e32 v24, v36, v19
	v_bfe_u32 v19, v21, 16, 1
	v_bfe_u32 v25, v20, 16, 1
	v_mul_f32_e32 v18, v36, v18
	v_add3_u32 v19, v21, v19, s22
	s_waitcnt vmcnt(1)
	v_div_scale_f32 v28, s[0:1], v3, v3, 1.0
	v_add3_u32 v25, v20, v25, s22
	v_bfe_u32 v27, v18, 16, 1
	v_and_b32_e32 v19, 0xffff0000, v19
	v_cmp_o_f32_e64 s[0:1], v21, v21
	v_and_b32_e32 v25, 0xffff0000, v25
	v_add3_u32 v27, v18, v27, s22
	v_rcp_f32_e32 v30, v28
	v_cndmask_b32_e64 v21, v13, v19, s[0:1]
	v_cmp_o_f32_e64 s[0:1], v20, v20
	s_waitcnt vmcnt(0)
	v_lshlrev_b32_e32 v22, 16, v4
	v_alignbit_b32 v23, v5, v4, 16
	v_and_b32_e32 v27, 0xffff0000, v27
	v_cndmask_b32_e64 v19, v13, v25, s[0:1]
	v_cmp_o_f32_e64 s[0:1], v18, v18
	v_and_b32_e32 v23, 0xffff0000, v23
	v_mul_f32_e32 v20, v21, v22
	v_cndmask_b32_e64 v18, v13, v27, s[0:1]
	v_bfe_u32 v21, v20, 16, 1
	v_mul_f32_e32 v18, v18, v23
	v_add3_u32 v21, v20, v21, s22
	v_bfe_u32 v22, v18, 16, 1
	v_fma_f32 v23, -v28, v30, 1.0
	v_div_scale_f32 v29, vcc, 1.0, v3, 1.0
	v_and_b32_e32 v21, 0xffff0000, v21
	v_add3_u32 v22, v18, v22, s22
	v_fmac_f32_e32 v30, v23, v30
	v_cmp_o_f32_e64 s[0:1], v20, v20
	v_cndmask_b32_e64 v21, v13, v21, s[0:1]
	v_and_b32_e32 v20, 0xffff0000, v22
	v_mul_f32_e32 v22, v29, v30
	v_cmp_o_f32_e64 s[0:1], v18, v18
	v_cndmask_b32_e64 v18, v13, v20, s[0:1]
	v_fma_f32 v20, -v28, v22, v29
	v_fmac_f32_e32 v22, v20, v30
	v_fma_f32 v20, -v28, v22, v29
	v_div_fmas_f32 v20, v20, v30, v22
	v_div_fixup_f32 v20, v20, v3, 1.0
	v_mul_f32_e32 v3, v20, v21
	v_mul_f32_e32 v18, v20, v18
	v_rndne_f32_e32 v3, v3
	v_rndne_f32_e32 v18, v18
	v_cmp_nlt_f32_e32 vcc, s23, v3
	v_cndmask_b32_e32 v21, v14, v3, vcc
	v_cmp_nlt_f32_e32 vcc, s23, v18
	v_bfe_u32 v26, v24, 16, 1
	v_cndmask_b32_e32 v22, v14, v18, vcc
	v_cmp_ngt_f32_e32 vcc, s24, v3
	v_add3_u32 v26, v24, v26, s22
	v_cndmask_b32_e32 v3, v15, v21, vcc
	v_cmp_ngt_f32_e32 vcc, s24, v18
	v_and_b32_e32 v26, 0xffff0000, v26
	v_cndmask_b32_e32 v18, v15, v22, vcc
	v_cmp_o_f32_e32 vcc, v24, v24
	v_cvt_i32_f32_e32 v21, v18
	v_cndmask_b32_e32 v18, v13, v26, vcc
	v_and_b32_e32 v23, 0xffff0000, v4
	v_and_b32_e32 v22, 0xffff0000, v5
	v_pk_mul_f32 v[4:5], v[18:19], v[22:23]
	v_bfe_u32 v19, v5, 16, 1
	v_bfe_u32 v18, v4, 16, 1
	v_add3_u32 v19, v5, v19, s22
	v_add3_u32 v18, v4, v18, s22
	v_and_b32_e32 v19, 0xffff0000, v19
	v_cmp_o_f32_e32 vcc, v5, v5
	v_and_b32_e32 v18, 0xffff0000, v18
	v_cndmask_b32_e32 v5, v13, v19, vcc
	v_cmp_o_f32_e32 vcc, v4, v4
	v_cndmask_b32_e32 v4, v13, v18, vcc
	v_pk_mul_f32 v[4:5], v[20:21], v[4:5] op_sel_hi:[0,1]
	v_rndne_f32_e32 v4, v4
	v_rndne_f32_e32 v5, v5
	v_cmp_nlt_f32_e32 vcc, s23, v4
	v_cndmask_b32_e32 v18, v14, v4, vcc
	v_cmp_nlt_f32_e32 vcc, s23, v5
	v_cndmask_b32_e32 v19, v14, v5, vcc
	v_cmp_ngt_f32_e32 vcc, s24, v5
	v_cndmask_b32_e32 v5, v15, v19, vcc
	v_cmp_ngt_f32_e32 vcc, s24, v4
	v_cndmask_b32_e32 v4, v15, v18, vcc
	v_cvt_i32_f32_e32 v3, v3
	v_cvt_i32_f32_e32 v5, v5
	;; [unrolled: 1-line block ×3, first 2 shown]
	v_and_b32_e32 v18, 0xff, v21
	v_lshlrev_b32_e32 v18, 16, v18
	v_lshlrev_b32_sdwa v5, v17, v5 dst_sel:DWORD dst_unused:UNUSED_PAD src0_sel:DWORD src1_sel:BYTE_0
	v_lshl_or_b32 v4, v4, 24, v18
	v_and_b32_e32 v3, 0xff, v3
	v_or3_b32 v3, v4, v5, v3
	v_cmp_gt_u32_e32 vcc, s18, v0
	s_mov_b64 s[0:1], -1
	global_store_dword v[6:7], v3, off
	s_and_saveexec_b64 s[10:11], vcc
	s_cbranch_execz .LBB86_60
; %bb.66:                               ;   in Loop: Header=BB86_63 Depth=1
	v_lshlrev_b64 v[4:5], 3, v[0:1]
	v_mov_b32_e32 v3, s42
	v_add_co_u32_e32 v6, vcc, s33, v4
	v_addc_co_u32_e32 v7, vcc, v3, v5, vcc
	v_mov_b32_e32 v3, s15
	v_add_co_u32_e32 v4, vcc, s14, v4
	v_addc_co_u32_e32 v5, vcc, v3, v5, vcc
	v_bfe_u32 v3, v0, 4, 26
	v_mad_u64_u32 v[18:19], s[0:1], v8, v3, 0
	v_mov_b32_e32 v20, v19
	v_mad_u64_u32 v[20:21], s[0:1], v9, v3, v[20:21]
	v_mov_b32_e32 v19, v20
	global_load_dwordx2 v[6:7], v[6:7], off
	v_lshlrev_b64 v[18:19], 2, v[18:19]
	v_mov_b32_e32 v22, s19
	v_add_co_u32_e32 v18, vcc, s17, v18
	v_addc_co_u32_e32 v19, vcc, v22, v19, vcc
	global_load_dword v3, v[18:19], off
	v_lshlrev_b64 v[18:19], 2, v[0:1]
	global_load_dwordx2 v[4:5], v[4:5], off
	v_mov_b32_e32 v0, s13
	v_add_co_u32_e32 v18, vcc, s12, v18
	v_addc_co_u32_e32 v19, vcc, v0, v19, vcc
	s_waitcnt vmcnt(2)
	v_lshlrev_b32_e32 v20, 16, v6
	v_and_b32_e32 v0, 0xffff0000, v6
	v_alignbit_b32 v6, v7, v6, 16
	v_and_b32_e32 v7, 0xffff0000, v7
	v_mul_f32_e32 v20, v36, v20
	v_mul_f32_e32 v0, v36, v0
	;; [unrolled: 1-line block ×3, first 2 shown]
	v_bfe_u32 v7, v20, 16, 1
	v_and_b32_e32 v6, 0xffff0000, v6
	v_bfe_u32 v24, v0, 16, 1
	v_add3_u32 v7, v20, v7, s22
	s_waitcnt vmcnt(1)
	v_div_scale_f32 v27, s[0:1], v3, v3, 1.0
	v_mul_f32_e32 v25, v36, v6
	v_bfe_u32 v6, v23, 16, 1
	v_add3_u32 v24, v0, v24, s22
	v_and_b32_e32 v7, 0xffff0000, v7
	v_cmp_o_f32_e64 s[0:1], v20, v20
	v_bfe_u32 v26, v25, 16, 1
	v_add3_u32 v6, v23, v6, s22
	v_and_b32_e32 v24, 0xffff0000, v24
	v_cndmask_b32_e64 v20, v13, v7, s[0:1]
	v_cmp_o_f32_e64 s[0:1], v0, v0
	v_add3_u32 v26, v25, v26, s22
	v_and_b32_e32 v6, 0xffff0000, v6
	v_cndmask_b32_e64 v7, v13, v24, s[0:1]
	v_cmp_o_f32_e64 s[0:1], v23, v23
	s_waitcnt vmcnt(0)
	v_lshlrev_b32_e32 v21, 16, v4
	v_alignbit_b32 v22, v5, v4, 16
	v_and_b32_e32 v26, 0xffff0000, v26
	v_cndmask_b32_e64 v6, v13, v6, s[0:1]
	v_rcp_f32_e32 v0, v27
	v_cmp_o_f32_e64 s[0:1], v25, v25
	v_and_b32_e32 v22, 0xffff0000, v22
	v_mul_f32_e32 v20, v20, v21
	v_cndmask_b32_e64 v21, v13, v26, s[0:1]
	v_bfe_u32 v23, v20, 16, 1
	v_mul_f32_e32 v21, v21, v22
	v_add3_u32 v22, v20, v23, s22
	v_bfe_u32 v23, v21, 16, 1
	v_and_b32_e32 v22, 0xffff0000, v22
	v_add3_u32 v23, v21, v23, s22
	v_fma_f32 v24, -v27, v0, 1.0
	v_cmp_o_f32_e64 s[0:1], v20, v20
	v_div_scale_f32 v28, vcc, 1.0, v3, 1.0
	v_cndmask_b32_e64 v20, v13, v22, s[0:1]
	v_and_b32_e32 v22, 0xffff0000, v23
	v_fmac_f32_e32 v0, v24, v0
	v_cmp_o_f32_e64 s[0:1], v21, v21
	v_cndmask_b32_e64 v21, v13, v22, s[0:1]
	v_mul_f32_e32 v22, v28, v0
	v_fma_f32 v23, -v27, v22, v28
	v_fmac_f32_e32 v22, v23, v0
	v_fma_f32 v23, -v27, v22, v28
	v_div_fmas_f32 v0, v23, v0, v22
	v_div_fixup_f32 v0, v0, v3, 1.0
	v_mul_f32_e32 v3, v0, v20
	v_mul_f32_e32 v20, v0, v21
	v_rndne_f32_e32 v3, v3
	v_rndne_f32_e32 v20, v20
	v_cmp_nlt_f32_e32 vcc, s23, v3
	v_cndmask_b32_e32 v21, v14, v3, vcc
	v_cmp_nlt_f32_e32 vcc, s23, v20
	v_cndmask_b32_e32 v22, v14, v20, vcc
	v_cmp_ngt_f32_e32 vcc, s24, v3
	v_cndmask_b32_e32 v3, v15, v21, vcc
	v_cmp_ngt_f32_e32 vcc, s24, v20
	v_cndmask_b32_e32 v20, v15, v22, vcc
	v_cvt_i32_f32_e32 v22, v20
	v_and_b32_e32 v21, 0xffff0000, v4
	v_and_b32_e32 v20, 0xffff0000, v5
	v_pk_mul_f32 v[4:5], v[6:7], v[20:21]
	v_bfe_u32 v7, v5, 16, 1
	v_bfe_u32 v6, v4, 16, 1
	v_add3_u32 v7, v5, v7, s22
	v_add3_u32 v6, v4, v6, s22
	v_and_b32_e32 v7, 0xffff0000, v7
	v_cmp_o_f32_e32 vcc, v5, v5
	v_and_b32_e32 v6, 0xffff0000, v6
	v_cndmask_b32_e32 v5, v13, v7, vcc
	v_cmp_o_f32_e32 vcc, v4, v4
	v_cndmask_b32_e32 v4, v13, v6, vcc
	v_pk_mul_f32 v[4:5], v[0:1], v[4:5] op_sel_hi:[0,1]
	v_rndne_f32_e32 v4, v4
	v_rndne_f32_e32 v0, v5
	v_cmp_nlt_f32_e32 vcc, s23, v4
	v_cndmask_b32_e32 v5, v14, v4, vcc
	v_cmp_nlt_f32_e32 vcc, s23, v0
	v_cndmask_b32_e32 v6, v14, v0, vcc
	v_cmp_ngt_f32_e32 vcc, s24, v0
	v_cndmask_b32_e32 v0, v15, v6, vcc
	v_cmp_ngt_f32_e32 vcc, s24, v4
	v_cndmask_b32_e32 v4, v15, v5, vcc
	v_cvt_i32_f32_e32 v3, v3
	v_cvt_i32_f32_e32 v0, v0
	;; [unrolled: 1-line block ×3, first 2 shown]
	v_and_b32_e32 v5, 0xff, v22
	v_lshlrev_b32_e32 v5, 16, v5
	v_lshlrev_b32_sdwa v0, v17, v0 dst_sel:DWORD dst_unused:UNUSED_PAD src0_sel:DWORD src1_sel:BYTE_0
	v_lshl_or_b32 v4, v4, 24, v5
	v_and_b32_e32 v3, 0xff, v3
	s_add_i32 s0, s16, s16
	v_or3_b32 v0, v4, v0, v3
	s_add_i32 s0, s0, s16
	global_store_dword v[18:19], v0, off
	v_add_u32_e32 v0, s0, v2
	v_cmp_le_u32_e32 vcc, s18, v0
	s_orn2_b64 s[0:1], vcc, exec
	s_branch .LBB86_60
.LBB86_67:
	s_endpgm
.LBB86_68:
                                        ; implicit-def: $vgpr4_vgpr5
	s_andn2_b64 vcc, exec, s[26:27]
	s_cbranch_vccz .LBB86_53
	s_branch .LBB86_54
.LBB86_69:
                                        ; implicit-def: $vgpr2_vgpr3
	s_andn2_b64 vcc, exec, s[22:23]
	s_cbranch_vccz .LBB86_58
	s_branch .LBB86_59
	.section	.rodata,"a",@progbits
	.p2align	6, 0x0
	.amdhsa_kernel _ZN4vllm31rms_norm_per_block_quant_kernelIN3c108BFloat16EaLb0ELb1ELi64EEEvPT0_PfPKT_S8_PKffiiPS6_l
		.amdhsa_group_segment_fixed_size 4164
		.amdhsa_private_segment_fixed_size 0
		.amdhsa_kernarg_size 328
		.amdhsa_user_sgpr_count 6
		.amdhsa_user_sgpr_private_segment_buffer 1
		.amdhsa_user_sgpr_dispatch_ptr 0
		.amdhsa_user_sgpr_queue_ptr 0
		.amdhsa_user_sgpr_kernarg_segment_ptr 1
		.amdhsa_user_sgpr_dispatch_id 0
		.amdhsa_user_sgpr_flat_scratch_init 0
		.amdhsa_user_sgpr_kernarg_preload_length 0
		.amdhsa_user_sgpr_kernarg_preload_offset 0
		.amdhsa_user_sgpr_private_segment_size 0
		.amdhsa_uses_dynamic_stack 0
		.amdhsa_system_sgpr_private_segment_wavefront_offset 0
		.amdhsa_system_sgpr_workgroup_id_x 1
		.amdhsa_system_sgpr_workgroup_id_y 0
		.amdhsa_system_sgpr_workgroup_id_z 0
		.amdhsa_system_sgpr_workgroup_info 0
		.amdhsa_system_vgpr_workitem_id 0
		.amdhsa_next_free_vgpr 48
		.amdhsa_next_free_sgpr 45
		.amdhsa_accum_offset 48
		.amdhsa_reserve_vcc 1
		.amdhsa_reserve_flat_scratch 0
		.amdhsa_float_round_mode_32 0
		.amdhsa_float_round_mode_16_64 0
		.amdhsa_float_denorm_mode_32 3
		.amdhsa_float_denorm_mode_16_64 3
		.amdhsa_dx10_clamp 1
		.amdhsa_ieee_mode 1
		.amdhsa_fp16_overflow 0
		.amdhsa_tg_split 0
		.amdhsa_exception_fp_ieee_invalid_op 0
		.amdhsa_exception_fp_denorm_src 0
		.amdhsa_exception_fp_ieee_div_zero 0
		.amdhsa_exception_fp_ieee_overflow 0
		.amdhsa_exception_fp_ieee_underflow 0
		.amdhsa_exception_fp_ieee_inexact 0
		.amdhsa_exception_int_div_zero 0
	.end_amdhsa_kernel
	.section	.text._ZN4vllm31rms_norm_per_block_quant_kernelIN3c108BFloat16EaLb0ELb1ELi64EEEvPT0_PfPKT_S8_PKffiiPS6_l,"axG",@progbits,_ZN4vllm31rms_norm_per_block_quant_kernelIN3c108BFloat16EaLb0ELb1ELi64EEEvPT0_PfPKT_S8_PKffiiPS6_l,comdat
.Lfunc_end86:
	.size	_ZN4vllm31rms_norm_per_block_quant_kernelIN3c108BFloat16EaLb0ELb1ELi64EEEvPT0_PfPKT_S8_PKffiiPS6_l, .Lfunc_end86-_ZN4vllm31rms_norm_per_block_quant_kernelIN3c108BFloat16EaLb0ELb1ELi64EEEvPT0_PfPKT_S8_PKffiiPS6_l
                                        ; -- End function
	.section	.AMDGPU.csdata,"",@progbits
; Kernel info:
; codeLenInByte = 10448
; NumSgprs: 49
; NumVgprs: 48
; NumAgprs: 0
; TotalNumVgprs: 48
; ScratchSize: 0
; MemoryBound: 0
; FloatMode: 240
; IeeeMode: 1
; LDSByteSize: 4164 bytes/workgroup (compile time only)
; SGPRBlocks: 6
; VGPRBlocks: 5
; NumSGPRsForWavesPerEU: 49
; NumVGPRsForWavesPerEU: 48
; AccumOffset: 48
; Occupancy: 8
; WaveLimiterHint : 0
; COMPUTE_PGM_RSRC2:SCRATCH_EN: 0
; COMPUTE_PGM_RSRC2:USER_SGPR: 6
; COMPUTE_PGM_RSRC2:TRAP_HANDLER: 0
; COMPUTE_PGM_RSRC2:TGID_X_EN: 1
; COMPUTE_PGM_RSRC2:TGID_Y_EN: 0
; COMPUTE_PGM_RSRC2:TGID_Z_EN: 0
; COMPUTE_PGM_RSRC2:TIDIG_COMP_CNT: 0
; COMPUTE_PGM_RSRC3_GFX90A:ACCUM_OFFSET: 11
; COMPUTE_PGM_RSRC3_GFX90A:TG_SPLIT: 0
	.section	.text._ZN4vllm31rms_norm_per_block_quant_kernelIN3c108BFloat16ENS1_13Float8_e4m3fnELb0ELb0ELi64EEEvPT0_PfPKT_S9_PKffiiPS7_l,"axG",@progbits,_ZN4vllm31rms_norm_per_block_quant_kernelIN3c108BFloat16ENS1_13Float8_e4m3fnELb0ELb0ELi64EEEvPT0_PfPKT_S9_PKffiiPS7_l,comdat
	.protected	_ZN4vllm31rms_norm_per_block_quant_kernelIN3c108BFloat16ENS1_13Float8_e4m3fnELb0ELb0ELi64EEEvPT0_PfPKT_S9_PKffiiPS7_l ; -- Begin function _ZN4vllm31rms_norm_per_block_quant_kernelIN3c108BFloat16ENS1_13Float8_e4m3fnELb0ELb0ELi64EEEvPT0_PfPKT_S9_PKffiiPS7_l
	.globl	_ZN4vllm31rms_norm_per_block_quant_kernelIN3c108BFloat16ENS1_13Float8_e4m3fnELb0ELb0ELi64EEEvPT0_PfPKT_S9_PKffiiPS7_l
	.p2align	8
	.type	_ZN4vllm31rms_norm_per_block_quant_kernelIN3c108BFloat16ENS1_13Float8_e4m3fnELb0ELb0ELi64EEEvPT0_PfPKT_S9_PKffiiPS7_l,@function
_ZN4vllm31rms_norm_per_block_quant_kernelIN3c108BFloat16ENS1_13Float8_e4m3fnELb0ELb0ELi64EEEvPT0_PfPKT_S9_PKffiiPS7_l: ; @_ZN4vllm31rms_norm_per_block_quant_kernelIN3c108BFloat16ENS1_13Float8_e4m3fnELb0ELb0ELi64EEEvPT0_PfPKT_S9_PKffiiPS7_l
; %bb.0:
	s_load_dwordx4 s[16:19], s[4:5], 0x28
	s_load_dwordx8 s[8:15], s[4:5], 0x0
	v_mov_b32_e32 v1, 0
	s_waitcnt lgkmcnt(0)
	s_ashr_i32 s0, s18, 31
	s_mul_hi_u32 s1, s18, s6
	s_mul_i32 s0, s0, s6
	s_add_i32 s1, s1, s0
	s_mul_i32 s0, s18, s6
	s_lshl_b64 s[28:29], s[0:1], 1
	s_add_u32 s33, s12, s28
	s_addc_u32 s42, s13, s29
	s_ashr_i32 s18, s17, 2
	s_add_u32 s2, s4, 0x48
	s_mov_b32 s20, s17
	v_cmp_gt_u32_e64 s[0:1], s18, v0
	s_addc_u32 s3, s5, 0
	s_and_saveexec_b64 s[22:23], s[0:1]
	s_cbranch_execz .LBB87_10
; %bb.1:
	s_load_dword s7, s[2:3], 0x0
	v_mov_b32_e32 v3, 0
	v_mov_b32_e32 v9, s42
	;; [unrolled: 1-line block ×3, first 2 shown]
                                        ; implicit-def: $sgpr26_sgpr27
	s_waitcnt lgkmcnt(0)
	s_cmp_lt_u32 s6, s7
	s_cselect_b32 s7, 12, 18
	s_add_u32 s24, s2, s7
	s_addc_u32 s25, s3, 0
	global_load_ushort v8, v3, s[24:25]
	s_mov_b64 s[24:25], 0
	s_waitcnt vmcnt(0)
	v_add_u32_e32 v1, v8, v8
	v_mul_lo_u32 v10, v8, 3
	v_lshlrev_b32_e32 v11, 1, v8
	v_add_u32_e32 v12, v1, v8
	v_mov_b32_e32 v1, v3
	s_branch .LBB87_5
.LBB87_2:                               ;   in Loop: Header=BB87_5 Depth=1
	s_or_b64 exec, exec, s[36:37]
	s_orn2_b64 s[36:37], s[38:39], exec
.LBB87_3:                               ;   in Loop: Header=BB87_5 Depth=1
	s_or_b64 exec, exec, s[34:35]
	s_andn2_b64 s[26:27], s[26:27], exec
	s_and_b64 s[34:35], s[36:37], exec
	s_or_b64 s[26:27], s[26:27], s[34:35]
.LBB87_4:                               ;   in Loop: Header=BB87_5 Depth=1
	s_or_b64 exec, exec, s[30:31]
	s_and_b64 s[30:31], exec, s[26:27]
	s_or_b64 s[24:25], s[30:31], s[24:25]
	s_andn2_b64 exec, exec, s[24:25]
	s_cbranch_execz .LBB87_9
.LBB87_5:                               ; =>This Inner Loop Header: Depth=1
	v_lshlrev_b64 v[4:5], 3, v[2:3]
	v_add_co_u32_e32 v4, vcc, s33, v4
	v_addc_co_u32_e32 v5, vcc, v9, v5, vcc
	global_load_dwordx2 v[6:7], v[4:5], off
	v_add_u32_e32 v4, v2, v8
	v_cmp_gt_u32_e32 vcc, s18, v4
	s_or_b64 s[26:27], s[26:27], exec
	s_waitcnt vmcnt(0)
	v_lshlrev_b32_e32 v13, 16, v6
	v_and_b32_e32 v5, 0xffff0000, v6
	v_alignbit_b32 v6, v7, v6, 16
	v_fmac_f32_e32 v1, v13, v13
	v_and_b32_e32 v6, 0xffff0000, v6
	v_fmac_f32_e32 v1, v5, v5
	v_and_b32_e32 v7, 0xffff0000, v7
	v_fmac_f32_e32 v1, v6, v6
	v_fmac_f32_e32 v1, v7, v7
	s_and_saveexec_b64 s[30:31], vcc
	s_cbranch_execz .LBB87_4
; %bb.6:                                ;   in Loop: Header=BB87_5 Depth=1
	v_mov_b32_e32 v5, v3
	v_lshlrev_b64 v[6:7], 3, v[4:5]
	v_add_co_u32_e32 v6, vcc, s33, v6
	v_addc_co_u32_e32 v7, vcc, v9, v7, vcc
	global_load_dwordx2 v[14:15], v[6:7], off
	v_add_u32_e32 v6, v11, v2
	v_cmp_gt_u32_e32 vcc, s18, v6
	s_mov_b64 s[36:37], -1
	s_waitcnt vmcnt(0)
	v_lshlrev_b32_e32 v7, 16, v14
	v_and_b32_e32 v5, 0xffff0000, v14
	v_alignbit_b32 v13, v15, v14, 16
	v_fmac_f32_e32 v1, v7, v7
	v_and_b32_e32 v13, 0xffff0000, v13
	v_fmac_f32_e32 v1, v5, v5
	v_and_b32_e32 v14, 0xffff0000, v15
	v_fmac_f32_e32 v1, v13, v13
	v_fmac_f32_e32 v1, v14, v14
	s_and_saveexec_b64 s[34:35], vcc
	s_cbranch_execz .LBB87_3
; %bb.7:                                ;   in Loop: Header=BB87_5 Depth=1
	v_mov_b32_e32 v7, v3
	v_lshlrev_b64 v[6:7], 3, v[6:7]
	v_add_co_u32_e32 v6, vcc, s33, v6
	v_addc_co_u32_e32 v7, vcc, v9, v7, vcc
	global_load_dwordx2 v[6:7], v[6:7], off
	v_add_u32_e32 v2, v10, v2
	v_cmp_gt_u32_e32 vcc, s18, v2
	s_mov_b64 s[38:39], -1
	s_waitcnt vmcnt(0)
	v_lshlrev_b32_e32 v13, 16, v6
	v_and_b32_e32 v5, 0xffff0000, v6
	v_alignbit_b32 v6, v7, v6, 16
	v_fmac_f32_e32 v1, v13, v13
	v_and_b32_e32 v6, 0xffff0000, v6
	v_fmac_f32_e32 v1, v5, v5
	v_and_b32_e32 v7, 0xffff0000, v7
	v_fmac_f32_e32 v1, v6, v6
	v_fmac_f32_e32 v1, v7, v7
	s_and_saveexec_b64 s[36:37], vcc
	s_xor_b64 s[36:37], exec, s[36:37]
	s_cbranch_execz .LBB87_2
; %bb.8:                                ;   in Loop: Header=BB87_5 Depth=1
	v_lshlrev_b64 v[6:7], 3, v[2:3]
	v_add_co_u32_e32 v6, vcc, s33, v6
	v_addc_co_u32_e32 v7, vcc, v9, v7, vcc
	global_load_dwordx2 v[6:7], v[6:7], off
	v_add_u32_e32 v2, v12, v4
	v_cmp_le_u32_e32 vcc, s18, v2
	s_orn2_b64 s[38:39], vcc, exec
	s_waitcnt vmcnt(0)
	v_lshlrev_b32_e32 v5, 16, v6
	v_and_b32_e32 v4, 0xffff0000, v6
	v_alignbit_b32 v6, v7, v6, 16
	v_fmac_f32_e32 v1, v5, v5
	v_and_b32_e32 v6, 0xffff0000, v6
	v_fmac_f32_e32 v1, v4, v4
	v_and_b32_e32 v7, 0xffff0000, v7
	v_fmac_f32_e32 v1, v6, v6
	v_fmac_f32_e32 v1, v7, v7
	s_branch .LBB87_2
.LBB87_9:
	s_or_b64 exec, exec, s[24:25]
.LBB87_10:
	s_or_b64 exec, exec, s[22:23]
	v_mbcnt_lo_u32_b32 v2, -1, 0
	v_mbcnt_hi_u32_b32 v2, -1, v2
	v_and_b32_e32 v3, 63, v2
	v_cmp_ne_u32_e32 vcc, 63, v3
	s_load_dword s2, s[2:3], 0xc
	v_addc_co_u32_e32 v4, vcc, 0, v2, vcc
	v_lshlrev_b32_e32 v4, 2, v4
	ds_bpermute_b32 v4, v4, v1
	s_waitcnt lgkmcnt(0)
	s_and_b32 s43, s2, 0xffff
	v_and_b32_e32 v5, 0x3c0, v0
	v_sub_u32_e64 v5, s43, v5 clamp
	v_add_u32_e32 v6, 1, v2
	v_add_f32_e32 v4, v1, v4
	v_cmp_lt_u32_e32 vcc, v6, v5
	v_cndmask_b32_e32 v1, v1, v4, vcc
	v_cmp_gt_u32_e32 vcc, 62, v3
	v_cndmask_b32_e64 v4, 0, 1, vcc
	v_lshlrev_b32_e32 v4, 1, v4
	v_add_lshl_u32 v4, v4, v2, 2
	ds_bpermute_b32 v4, v4, v1
	v_add_u32_e32 v6, 2, v2
	v_cmp_lt_u32_e32 vcc, v6, v5
	v_add_u32_e32 v6, 4, v2
	s_waitcnt lgkmcnt(0)
	v_add_f32_e32 v4, v1, v4
	v_cndmask_b32_e32 v1, v1, v4, vcc
	v_cmp_gt_u32_e32 vcc, 60, v3
	v_cndmask_b32_e64 v4, 0, 1, vcc
	v_lshlrev_b32_e32 v4, 2, v4
	v_add_lshl_u32 v4, v4, v2, 2
	ds_bpermute_b32 v4, v4, v1
	v_cmp_lt_u32_e32 vcc, v6, v5
	v_add_u32_e32 v6, 8, v2
	s_waitcnt lgkmcnt(0)
	v_add_f32_e32 v4, v1, v4
	v_cndmask_b32_e32 v1, v1, v4, vcc
	v_cmp_gt_u32_e32 vcc, 56, v3
	v_cndmask_b32_e64 v4, 0, 1, vcc
	v_lshlrev_b32_e32 v4, 3, v4
	v_add_lshl_u32 v4, v4, v2, 2
	ds_bpermute_b32 v4, v4, v1
	;; [unrolled: 10-line block ×3, first 2 shown]
	v_cmp_lt_u32_e32 vcc, v6, v5
	s_waitcnt lgkmcnt(0)
	v_add_f32_e32 v4, v1, v4
	v_cndmask_b32_e32 v1, v1, v4, vcc
	v_cmp_gt_u32_e32 vcc, 32, v3
	v_cndmask_b32_e64 v3, 0, 1, vcc
	v_lshlrev_b32_e32 v3, 5, v3
	v_add_lshl_u32 v3, v3, v2, 2
	ds_bpermute_b32 v3, v3, v1
	v_add_u32_e32 v4, 32, v2
	v_cmp_lt_u32_e32 vcc, v4, v5
	s_waitcnt lgkmcnt(0)
	v_add_f32_e32 v3, v1, v3
	v_cndmask_b32_e32 v1, v1, v3, vcc
	v_cmp_eq_u32_e32 vcc, 0, v2
	s_and_saveexec_b64 s[2:3], vcc
	s_cbranch_execz .LBB87_12
; %bb.11:
	v_lshrrev_b32_e32 v3, 4, v0
	v_and_b32_e32 v3, 60, v3
	ds_write_b32 v3, v1 offset:4096
.LBB87_12:
	s_or_b64 exec, exec, s[2:3]
	v_cmp_gt_u32_e32 vcc, 16, v0
	s_waitcnt lgkmcnt(0)
	s_barrier
	s_and_saveexec_b64 s[22:23], vcc
	s_cbranch_execz .LBB87_14
; %bb.13:
	v_lshlrev_b32_e32 v1, 2, v2
	ds_read_b32 v1, v1 offset:4096
	v_and_b32_e32 v3, 15, v2
	v_cmp_ne_u32_e32 vcc, 15, v3
	v_addc_co_u32_e32 v4, vcc, 0, v2, vcc
	v_lshlrev_b32_e32 v4, 2, v4
	s_waitcnt lgkmcnt(0)
	ds_bpermute_b32 v4, v4, v1
	s_add_i32 s2, s43, 63
	s_lshr_b32 s7, s2, 6
	v_add_u32_e32 v5, 1, v3
	v_cmp_gt_u32_e64 s[2:3], 14, v3
	v_cmp_gt_u32_e32 vcc, s7, v5
	v_cndmask_b32_e64 v5, 0, 1, s[2:3]
	s_waitcnt lgkmcnt(0)
	v_add_f32_e32 v4, v1, v4
	v_lshlrev_b32_e32 v5, 1, v5
	v_cndmask_b32_e32 v4, v1, v4, vcc
	v_add_lshl_u32 v5, v5, v2, 2
	ds_bpermute_b32 v5, v5, v4
	v_add_u32_e32 v6, 2, v3
	v_cmp_gt_u32_e64 s[2:3], s7, v6
	v_add_u32_e32 v6, 4, v3
	s_waitcnt lgkmcnt(0)
	v_add_f32_e32 v5, v4, v5
	v_cndmask_b32_e64 v4, v4, v5, s[2:3]
	v_cmp_gt_u32_e64 s[2:3], 12, v3
	v_cndmask_b32_e64 v5, 0, 1, s[2:3]
	v_lshlrev_b32_e32 v5, 2, v5
	v_add_lshl_u32 v5, v5, v2, 2
	ds_bpermute_b32 v5, v5, v4
	v_cmp_gt_u32_e64 s[2:3], s7, v6
	s_waitcnt lgkmcnt(0)
	v_add_f32_e32 v5, v4, v5
	v_cndmask_b32_e64 v4, v4, v5, s[2:3]
	v_cmp_gt_u32_e64 s[2:3], 8, v3
	v_cndmask_b32_e64 v5, 0, 1, s[2:3]
	v_lshlrev_b32_e32 v5, 3, v5
	v_add_lshl_u32 v2, v5, v2, 2
	ds_bpermute_b32 v2, v2, v4
	v_add_u32_e32 v3, 8, v3
	v_cmp_gt_u32_e64 s[2:3], s7, v3
	s_waitcnt lgkmcnt(0)
	v_add_f32_e32 v2, v4, v2
	v_cndmask_b32_e64 v2, v4, v2, s[2:3]
	v_cndmask_b32_e32 v1, v1, v2, vcc
.LBB87_14:
	s_or_b64 exec, exec, s[22:23]
	v_cmp_eq_u32_e32 vcc, 0, v0
	s_and_saveexec_b64 s[2:3], vcc
	s_cbranch_execz .LBB87_16
; %bb.15:
	v_cvt_f32_i32_e32 v2, s17
	s_mov_b32 s7, 0x800000
	v_div_scale_f32 v3, s[22:23], v2, v2, v1
	v_rcp_f32_e32 v4, v3
	v_div_scale_f32 v5, vcc, v1, v2, v1
	v_fma_f32 v6, -v3, v4, 1.0
	v_fmac_f32_e32 v4, v6, v4
	v_mul_f32_e32 v6, v5, v4
	v_fma_f32 v7, -v3, v6, v5
	v_fmac_f32_e32 v6, v7, v4
	v_fma_f32 v3, -v3, v6, v5
	v_div_fmas_f32 v3, v3, v4, v6
	v_div_fixup_f32 v1, v3, v2, v1
	v_add_f32_e32 v1, s16, v1
	v_mul_f32_e32 v2, 0x4b800000, v1
	v_cmp_gt_f32_e32 vcc, s7, v1
	v_cndmask_b32_e32 v1, v1, v2, vcc
	v_rsq_f32_e32 v1, v1
	v_mul_f32_e32 v2, 0x45800000, v1
	v_cndmask_b32_e32 v1, v1, v2, vcc
	v_mov_b32_e32 v2, 0
	ds_write_b32 v2, v1 offset:4160
.LBB87_16:
	s_or_b64 exec, exec, s[2:3]
	s_ashr_i32 s21, s17, 31
	s_lshr_b32 s2, s21, 26
	s_add_i32 s2, s17, s2
	s_ashr_i32 s22, s2, 6
	s_abs_i32 s3, s22
	v_cvt_f32_u32_e32 v1, s3
	s_sub_i32 s7, 0, s3
	s_ashr_i32 s2, s2, 31
	v_mov_b32_e32 v5, 0
	v_rcp_iflag_f32_e32 v1, v1
	s_waitcnt lgkmcnt(0)
	s_barrier
	v_mul_f32_e32 v1, 0x4f7ffffe, v1
	v_cvt_u32_f32_e32 v1, v1
	ds_read_b32 v36, v5 offset:4160
	v_readfirstlane_b32 s16, v1
	s_mul_i32 s7, s7, s16
	s_mul_hi_u32 s7, s16, s7
	s_add_i32 s16, s16, s7
	s_mul_hi_u32 s7, s43, s16
	s_mul_i32 s16, s7, s3
	s_sub_i32 s16, s43, s16
	s_add_i32 s19, s7, 1
	s_sub_i32 s23, s16, s3
	s_cmp_ge_u32 s16, s3
	s_cselect_b32 s7, s19, s7
	s_cselect_b32 s16, s23, s16
	s_add_i32 s19, s7, 1
	s_cmp_ge_u32 s16, s3
	s_cselect_b32 s3, s19, s7
	s_xor_b32 s3, s3, s2
	s_sub_i32 s24, s3, s2
	s_abs_i32 s2, s24
	v_cvt_f32_u32_e32 v1, s2
	s_sub_i32 s3, 0, s2
	s_ashr_i32 s25, s24, 31
	s_ashr_i32 s19, s18, 31
	v_rcp_iflag_f32_e32 v1, v1
	v_mul_f32_e32 v1, 0x4f7ffffe, v1
	v_cvt_u32_f32_e32 v1, v1
	v_mul_lo_u32 v2, s3, v1
	v_mul_hi_u32 v2, v1, v2
	v_add_u32_e32 v1, v1, v2
	v_mul_hi_u32 v1, v0, v1
	v_mul_lo_u32 v2, v1, s2
	v_sub_u32_e32 v2, v0, v2
	v_add_u32_e32 v3, 1, v1
	v_cmp_le_u32_e32 vcc, s2, v2
	v_cndmask_b32_e32 v1, v1, v3, vcc
	v_subrev_u32_e32 v3, s2, v2
	v_cndmask_b32_e32 v2, v2, v3, vcc
	v_add_u32_e32 v3, 1, v1
	v_cmp_le_u32_e32 vcc, s2, v2
	v_cndmask_b32_e32 v1, v1, v3, vcc
	v_xor_b32_e32 v1, s25, v1
	v_subrev_u32_e32 v2, s25, v1
	v_mul_lo_u32 v1, v2, s24
	v_ashrrev_i32_e32 v3, 31, v2
	v_sub_u32_e32 v4, v0, v1
	v_lshlrev_b64 v[8:9], 4, v[2:3]
	v_add_co_u32_e32 v6, vcc, v8, v4
	v_addc_co_u32_e32 v7, vcc, 0, v9, vcc
	v_add_co_u32_e32 v8, vcc, 16, v8
	v_addc_co_u32_e32 v9, vcc, 0, v9, vcc
	v_mov_b32_e32 v1, s19
	v_cmp_gt_i64_e32 vcc, s[18:19], v[8:9]
	v_cndmask_b32_e32 v9, v1, v9, vcc
	v_mov_b32_e32 v1, s18
	v_cndmask_b32_e32 v8, v1, v8, vcc
	v_ashrrev_i32_e32 v11, 31, v8
	v_mov_b32_e32 v10, v8
	v_cmp_lt_i64_e32 vcc, v[6:7], v[10:11]
	s_and_saveexec_b64 s[26:27], vcc
	s_cbranch_execz .LBB87_26
; %bb.17:
	v_lshlrev_b64 v[28:29], 7, v[2:3]
	s_mul_i32 s16, s24, 24
	v_lshlrev_b64 v[12:13], 3, v[4:5]
	v_mov_b32_e32 v1, s29
	v_add_co_u32_e32 v5, vcc, s28, v28
	s_mul_hi_i32 s7, s24, 24
	s_add_u32 s2, s12, s16
	v_addc_co_u32_e32 v19, vcc, v1, v29, vcc
	s_addc_u32 s3, s13, s7
	v_mov_b32_e32 v1, s3
	v_add_co_u32_e32 v14, vcc, s2, v5
	s_lshl_b64 s[28:29], s[24:25], 5
	s_lshl_b64 s[2:3], s[24:25], 4
	s_add_u32 s19, s12, s2
	v_addc_co_u32_e32 v1, vcc, v1, v19, vcc
	s_addc_u32 s23, s13, s3
	s_lshl_b64 s[30:31], s[24:25], 3
	v_mov_b32_e32 v15, s23
	v_add_co_u32_e32 v16, vcc, s19, v5
	s_add_u32 s19, s12, s30
	v_addc_co_u32_e32 v15, vcc, v15, v19, vcc
	s_addc_u32 s23, s13, s31
	v_mov_b32_e32 v17, s23
	v_add_co_u32_e32 v18, vcc, s19, v5
	v_addc_co_u32_e32 v17, vcc, v17, v19, vcc
	v_mov_b32_e32 v21, s13
	v_add_co_u32_e32 v20, vcc, s12, v5
	s_add_u32 s12, s14, s16
	v_addc_co_u32_e32 v19, vcc, v21, v19, vcc
	s_addc_u32 s7, s15, s7
	v_mov_b32_e32 v5, s7
	v_add_co_u32_e32 v22, vcc, s12, v28
	s_add_u32 s2, s14, s2
	v_addc_co_u32_e32 v21, vcc, v5, v29, vcc
	s_addc_u32 s3, s15, s3
	;; [unrolled: 5-line block ×3, first 2 shown]
	v_mov_b32_e32 v5, s3
	v_add_co_u32_e32 v26, vcc, s2, v28
	v_addc_co_u32_e32 v25, vcc, v5, v29, vcc
	v_mov_b32_e32 v5, s15
	v_add_co_u32_e32 v28, vcc, s14, v28
	v_addc_co_u32_e32 v27, vcc, v5, v29, vcc
	s_mul_hi_i32 s7, s24, 3
	s_mul_i32 s16, s24, 3
	s_lshl_b64 s[30:31], s[24:25], 1
	s_mov_b64 s[12:13], 0
	v_mov_b32_e32 v5, 0
	s_movk_i32 s19, 0x7fff
	v_mov_b32_e32 v29, 0x7fc00000
	v_mov_b32_e32 v34, s25
	v_pk_mov_b32 v[30:31], v[6:7], v[6:7] op_sel:[0,1]
                                        ; implicit-def: $sgpr34_sgpr35
	s_branch .LBB87_21
.LBB87_18:                              ;   in Loop: Header=BB87_21 Depth=1
	s_or_b64 exec, exec, s[2:3]
	s_orn2_b64 s[2:3], s[40:41], exec
.LBB87_19:                              ;   in Loop: Header=BB87_21 Depth=1
	s_or_b64 exec, exec, s[38:39]
	s_andn2_b64 s[34:35], s[34:35], exec
	s_and_b64 s[2:3], s[2:3], exec
	s_or_b64 s[34:35], s[34:35], s[2:3]
.LBB87_20:                              ;   in Loop: Header=BB87_21 Depth=1
	s_or_b64 exec, exec, s[36:37]
	s_and_b64 s[2:3], exec, s[34:35]
	s_or_b64 s[12:13], s[2:3], s[12:13]
	s_andn2_b64 exec, exec, s[12:13]
	s_cbranch_execz .LBB87_25
.LBB87_21:                              ; =>This Inner Loop Header: Depth=1
	v_add_co_u32_e32 v32, vcc, v20, v12
	v_addc_co_u32_e32 v33, vcc, v19, v13, vcc
	global_load_dwordx2 v[38:39], v[32:33], off
	v_add_co_u32_e32 v32, vcc, v28, v12
	v_addc_co_u32_e32 v33, vcc, v27, v13, vcc
	global_load_dwordx2 v[40:41], v[32:33], off
	v_add_co_u32_e32 v32, vcc, s24, v30
	v_addc_co_u32_e32 v33, vcc, v31, v34, vcc
	v_cmp_lt_i64_e32 vcc, v[32:33], v[10:11]
	s_or_b64 s[34:35], s[34:35], exec
	s_waitcnt vmcnt(1)
	v_lshlrev_b32_e32 v42, 16, v38
	v_and_b32_e32 v35, 0xffff0000, v38
	s_waitcnt lgkmcnt(0)
	v_mul_f32_e32 v42, v36, v42
	v_alignbit_b32 v38, v39, v38, 16
	v_and_b32_e32 v39, 0xffff0000, v39
	v_mul_f32_e32 v35, v36, v35
	v_bfe_u32 v44, v42, 16, 1
	v_mul_f32_e32 v39, v36, v39
	v_bfe_u32 v45, v35, 16, 1
	v_add3_u32 v44, v42, v44, s19
	v_and_b32_e32 v38, 0xffff0000, v38
	v_bfe_u32 v46, v39, 16, 1
	v_add3_u32 v45, v35, v45, s19
	v_and_b32_e32 v44, 0xffff0000, v44
	v_cmp_o_f32_e64 s[2:3], v42, v42
	v_mul_f32_e32 v38, v36, v38
	v_add3_u32 v46, v39, v46, s19
	v_and_b32_e32 v45, 0xffff0000, v45
	v_cndmask_b32_e64 v42, v29, v44, s[2:3]
	v_cmp_o_f32_e64 s[2:3], v35, v35
	s_waitcnt vmcnt(0)
	v_lshlrev_b32_e32 v43, 16, v40
	v_bfe_u32 v47, v38, 16, 1
	v_and_b32_e32 v46, 0xffff0000, v46
	v_cndmask_b32_e64 v35, v29, v45, s[2:3]
	v_cmp_o_f32_e64 s[2:3], v39, v39
	v_and_b32_e32 v37, 0xffff0000, v40
	v_alignbit_b32 v40, v41, v40, 16
	v_and_b32_e32 v41, 0xffff0000, v41
	v_add3_u32 v47, v38, v47, s19
	v_cndmask_b32_e64 v39, v29, v46, s[2:3]
	v_mul_f32_e32 v42, v42, v43
	v_and_b32_e32 v44, 0xffff0000, v47
	v_mul_f32_e32 v35, v35, v37
	v_cmp_o_f32_e64 s[2:3], v38, v38
	v_mul_f32_e32 v38, v39, v41
	v_bfe_u32 v39, v42, 16, 1
	v_and_b32_e32 v40, 0xffff0000, v40
	v_cndmask_b32_e64 v37, v29, v44, s[2:3]
	v_bfe_u32 v41, v35, 16, 1
	v_add3_u32 v39, v42, v39, s19
	v_mul_f32_e32 v37, v37, v40
	v_bfe_u32 v40, v38, 16, 1
	v_add3_u32 v41, v35, v41, s19
	v_and_b32_e32 v39, 0xffff0000, v39
	v_cmp_o_f32_e64 s[2:3], v42, v42
	v_bfe_u32 v43, v37, 16, 1
	v_add3_u32 v40, v38, v40, s19
	v_and_b32_e32 v41, 0xffff0000, v41
	v_cndmask_b32_e64 v39, v29, |v39|, s[2:3]
	v_cmp_o_f32_e64 s[2:3], v35, v35
	v_add3_u32 v43, v37, v43, s19
	v_and_b32_e32 v40, 0xffff0000, v40
	v_cndmask_b32_e64 v35, v29, |v41|, s[2:3]
	v_cmp_o_f32_e64 s[2:3], v38, v38
	v_and_b32_e32 v41, 0xffff0000, v43
	v_cndmask_b32_e64 v38, v29, |v40|, s[2:3]
	v_cmp_o_f32_e64 s[2:3], v37, v37
	v_max3_f32 v5, v5, v39, v35
	v_cndmask_b32_e64 v35, v29, |v41|, s[2:3]
	v_max3_f32 v5, v5, v35, v38
	s_and_saveexec_b64 s[36:37], vcc
	s_cbranch_execz .LBB87_20
; %bb.22:                               ;   in Loop: Header=BB87_21 Depth=1
	v_add_co_u32_e32 v38, vcc, v18, v12
	v_addc_co_u32_e32 v39, vcc, v17, v13, vcc
	global_load_dwordx2 v[38:39], v[38:39], off
	v_add_co_u32_e32 v40, vcc, v26, v12
	v_addc_co_u32_e32 v41, vcc, v25, v13, vcc
	global_load_dwordx2 v[40:41], v[40:41], off
	v_mov_b32_e32 v35, s31
	v_add_co_u32_e32 v42, vcc, s30, v30
	v_addc_co_u32_e32 v43, vcc, v35, v31, vcc
	v_cmp_lt_i64_e32 vcc, v[42:43], v[10:11]
	s_waitcnt vmcnt(1)
	v_lshlrev_b32_e32 v42, 16, v38
	v_and_b32_e32 v35, 0xffff0000, v38
	v_mul_f32_e32 v42, v36, v42
	v_alignbit_b32 v38, v39, v38, 16
	v_and_b32_e32 v39, 0xffff0000, v39
	v_mul_f32_e32 v35, v36, v35
	v_bfe_u32 v44, v42, 16, 1
	v_mul_f32_e32 v39, v36, v39
	v_bfe_u32 v45, v35, 16, 1
	v_add3_u32 v44, v42, v44, s19
	v_and_b32_e32 v38, 0xffff0000, v38
	v_bfe_u32 v46, v39, 16, 1
	v_add3_u32 v45, v35, v45, s19
	v_and_b32_e32 v44, 0xffff0000, v44
	v_cmp_o_f32_e64 s[2:3], v42, v42
	v_mul_f32_e32 v38, v36, v38
	v_add3_u32 v46, v39, v46, s19
	v_and_b32_e32 v45, 0xffff0000, v45
	v_cndmask_b32_e64 v42, v29, v44, s[2:3]
	v_cmp_o_f32_e64 s[2:3], v35, v35
	s_waitcnt vmcnt(0)
	v_lshlrev_b32_e32 v43, 16, v40
	v_bfe_u32 v47, v38, 16, 1
	v_and_b32_e32 v46, 0xffff0000, v46
	v_cndmask_b32_e64 v35, v29, v45, s[2:3]
	v_cmp_o_f32_e64 s[2:3], v39, v39
	v_and_b32_e32 v37, 0xffff0000, v40
	v_alignbit_b32 v40, v41, v40, 16
	v_and_b32_e32 v41, 0xffff0000, v41
	v_add3_u32 v47, v38, v47, s19
	v_cndmask_b32_e64 v39, v29, v46, s[2:3]
	v_mul_f32_e32 v42, v42, v43
	v_and_b32_e32 v44, 0xffff0000, v47
	v_mul_f32_e32 v35, v35, v37
	v_cmp_o_f32_e64 s[2:3], v38, v38
	v_mul_f32_e32 v38, v39, v41
	v_bfe_u32 v39, v42, 16, 1
	v_and_b32_e32 v40, 0xffff0000, v40
	v_cndmask_b32_e64 v37, v29, v44, s[2:3]
	v_bfe_u32 v41, v35, 16, 1
	v_add3_u32 v39, v42, v39, s19
	v_mul_f32_e32 v37, v37, v40
	v_bfe_u32 v40, v38, 16, 1
	v_add3_u32 v41, v35, v41, s19
	v_and_b32_e32 v39, 0xffff0000, v39
	v_cmp_o_f32_e64 s[2:3], v42, v42
	v_bfe_u32 v43, v37, 16, 1
	v_add3_u32 v40, v38, v40, s19
	v_and_b32_e32 v41, 0xffff0000, v41
	v_cndmask_b32_e64 v39, v29, |v39|, s[2:3]
	v_cmp_o_f32_e64 s[2:3], v35, v35
	v_add3_u32 v43, v37, v43, s19
	v_and_b32_e32 v40, 0xffff0000, v40
	v_cndmask_b32_e64 v35, v29, |v41|, s[2:3]
	v_cmp_o_f32_e64 s[2:3], v38, v38
	v_and_b32_e32 v41, 0xffff0000, v43
	v_cndmask_b32_e64 v38, v29, |v40|, s[2:3]
	v_cmp_o_f32_e64 s[2:3], v37, v37
	v_max3_f32 v5, v5, v39, v35
	v_cndmask_b32_e64 v35, v29, |v41|, s[2:3]
	v_max3_f32 v5, v5, v35, v38
	s_mov_b64 s[2:3], -1
	s_and_saveexec_b64 s[38:39], vcc
	s_cbranch_execz .LBB87_19
; %bb.23:                               ;   in Loop: Header=BB87_21 Depth=1
	v_add_co_u32_e32 v38, vcc, v16, v12
	v_addc_co_u32_e32 v39, vcc, v15, v13, vcc
	global_load_dwordx2 v[38:39], v[38:39], off
	v_add_co_u32_e32 v40, vcc, v24, v12
	v_addc_co_u32_e32 v41, vcc, v23, v13, vcc
	global_load_dwordx2 v[40:41], v[40:41], off
	v_mov_b32_e32 v35, s7
	v_add_co_u32_e32 v30, vcc, s16, v30
	v_addc_co_u32_e32 v31, vcc, v35, v31, vcc
	v_cmp_lt_i64_e32 vcc, v[30:31], v[10:11]
	s_mov_b64 s[40:41], -1
	s_waitcnt vmcnt(1)
	v_lshlrev_b32_e32 v35, 16, v38
	v_and_b32_e32 v30, 0xffff0000, v38
	v_mul_f32_e32 v35, v36, v35
	v_alignbit_b32 v37, v39, v38, 16
	v_and_b32_e32 v38, 0xffff0000, v39
	v_mul_f32_e32 v30, v36, v30
	v_bfe_u32 v42, v35, 16, 1
	v_mul_f32_e32 v38, v36, v38
	v_bfe_u32 v43, v30, 16, 1
	v_add3_u32 v42, v35, v42, s19
	v_and_b32_e32 v37, 0xffff0000, v37
	v_bfe_u32 v44, v38, 16, 1
	v_add3_u32 v43, v30, v43, s19
	v_and_b32_e32 v42, 0xffff0000, v42
	v_cmp_o_f32_e64 s[2:3], v35, v35
	v_mul_f32_e32 v37, v36, v37
	v_add3_u32 v44, v38, v44, s19
	v_and_b32_e32 v43, 0xffff0000, v43
	v_cndmask_b32_e64 v35, v29, v42, s[2:3]
	v_cmp_o_f32_e64 s[2:3], v30, v30
	s_waitcnt vmcnt(0)
	v_lshlrev_b32_e32 v39, 16, v40
	v_bfe_u32 v45, v37, 16, 1
	v_and_b32_e32 v44, 0xffff0000, v44
	v_cndmask_b32_e64 v30, v29, v43, s[2:3]
	v_cmp_o_f32_e64 s[2:3], v38, v38
	v_and_b32_e32 v31, 0xffff0000, v40
	v_alignbit_b32 v40, v41, v40, 16
	v_and_b32_e32 v41, 0xffff0000, v41
	v_add3_u32 v45, v37, v45, s19
	v_cndmask_b32_e64 v38, v29, v44, s[2:3]
	v_mul_f32_e32 v35, v35, v39
	v_and_b32_e32 v42, 0xffff0000, v45
	v_mul_f32_e32 v30, v30, v31
	v_cmp_o_f32_e64 s[2:3], v37, v37
	v_mul_f32_e32 v37, v38, v41
	v_bfe_u32 v38, v35, 16, 1
	v_and_b32_e32 v40, 0xffff0000, v40
	v_cndmask_b32_e64 v31, v29, v42, s[2:3]
	v_bfe_u32 v39, v30, 16, 1
	v_add3_u32 v38, v35, v38, s19
	v_mul_f32_e32 v31, v31, v40
	v_bfe_u32 v40, v37, 16, 1
	v_add3_u32 v39, v30, v39, s19
	v_and_b32_e32 v38, 0xffff0000, v38
	v_cmp_o_f32_e64 s[2:3], v35, v35
	v_bfe_u32 v41, v31, 16, 1
	v_add3_u32 v40, v37, v40, s19
	v_and_b32_e32 v39, 0xffff0000, v39
	v_cndmask_b32_e64 v35, v29, |v38|, s[2:3]
	v_cmp_o_f32_e64 s[2:3], v30, v30
	v_add3_u32 v41, v31, v41, s19
	v_and_b32_e32 v40, 0xffff0000, v40
	v_cndmask_b32_e64 v30, v29, |v39|, s[2:3]
	v_cmp_o_f32_e64 s[2:3], v37, v37
	v_and_b32_e32 v38, 0xffff0000, v41
	v_cndmask_b32_e64 v37, v29, |v40|, s[2:3]
	v_cmp_o_f32_e64 s[2:3], v31, v31
	v_max3_f32 v5, v5, v35, v30
	v_cndmask_b32_e64 v30, v29, |v38|, s[2:3]
	v_max3_f32 v5, v5, v30, v37
                                        ; implicit-def: $vgpr30_vgpr31
	s_and_saveexec_b64 s[2:3], vcc
	s_xor_b64 s[2:3], exec, s[2:3]
	s_cbranch_execz .LBB87_18
; %bb.24:                               ;   in Loop: Header=BB87_21 Depth=1
	v_add_co_u32_e32 v30, vcc, v14, v12
	v_addc_co_u32_e32 v31, vcc, v1, v13, vcc
	global_load_dwordx2 v[38:39], v[30:31], off
	v_add_co_u32_e32 v30, vcc, v22, v12
	v_addc_co_u32_e32 v31, vcc, v21, v13, vcc
	global_load_dwordx2 v[40:41], v[30:31], off
	v_mov_b32_e32 v35, s29
	v_add_co_u32_e32 v14, vcc, s28, v14
	v_addc_co_u32_e32 v1, vcc, v1, v35, vcc
	v_add_co_u32_e32 v16, vcc, s28, v16
	s_add_u32 s23, s24, s24
	v_addc_co_u32_e32 v15, vcc, v15, v35, vcc
	s_addc_u32 s40, s25, s25
	v_add_co_u32_e32 v18, vcc, s28, v18
	v_addc_co_u32_e32 v17, vcc, v17, v35, vcc
	s_add_u32 s23, s23, s24
	s_addc_u32 s40, s40, s25
	v_add_co_u32_e32 v30, vcc, s23, v32
	v_mov_b32_e32 v31, s40
	v_addc_co_u32_e32 v31, vcc, v31, v33, vcc
	s_waitcnt vmcnt(1)
	v_lshlrev_b32_e32 v37, 16, v38
	v_and_b32_e32 v32, 0xffff0000, v38
	v_mul_f32_e32 v37, v36, v37
	v_alignbit_b32 v38, v39, v38, 16
	v_and_b32_e32 v39, 0xffff0000, v39
	v_mul_f32_e32 v32, v36, v32
	v_bfe_u32 v43, v37, 16, 1
	v_mul_f32_e32 v39, v36, v39
	v_bfe_u32 v44, v32, 16, 1
	v_add3_u32 v43, v37, v43, s19
	v_and_b32_e32 v38, 0xffff0000, v38
	v_bfe_u32 v45, v39, 16, 1
	v_add3_u32 v44, v32, v44, s19
	v_and_b32_e32 v43, 0xffff0000, v43
	v_cmp_o_f32_e32 vcc, v37, v37
	v_mul_f32_e32 v38, v36, v38
	v_add3_u32 v45, v39, v45, s19
	v_and_b32_e32 v44, 0xffff0000, v44
	v_cndmask_b32_e32 v37, v29, v43, vcc
	v_cmp_o_f32_e32 vcc, v32, v32
	s_waitcnt vmcnt(0)
	v_lshlrev_b32_e32 v42, 16, v40
	v_bfe_u32 v46, v38, 16, 1
	v_and_b32_e32 v45, 0xffff0000, v45
	v_cndmask_b32_e32 v32, v29, v44, vcc
	v_cmp_o_f32_e32 vcc, v39, v39
	v_and_b32_e32 v33, 0xffff0000, v40
	v_alignbit_b32 v40, v41, v40, 16
	v_and_b32_e32 v41, 0xffff0000, v41
	v_add3_u32 v46, v38, v46, s19
	v_cndmask_b32_e32 v39, v29, v45, vcc
	v_mul_f32_e32 v37, v37, v42
	v_and_b32_e32 v43, 0xffff0000, v46
	v_mul_f32_e32 v32, v32, v33
	v_cmp_o_f32_e32 vcc, v38, v38
	v_mul_f32_e32 v38, v39, v41
	v_bfe_u32 v39, v37, 16, 1
	v_and_b32_e32 v40, 0xffff0000, v40
	v_cndmask_b32_e32 v33, v29, v43, vcc
	v_bfe_u32 v41, v32, 16, 1
	v_add3_u32 v39, v37, v39, s19
	v_mul_f32_e32 v33, v33, v40
	v_bfe_u32 v40, v38, 16, 1
	v_add3_u32 v41, v32, v41, s19
	v_and_b32_e32 v39, 0xffff0000, v39
	v_cmp_o_f32_e32 vcc, v37, v37
	v_bfe_u32 v42, v33, 16, 1
	v_add3_u32 v40, v38, v40, s19
	v_and_b32_e32 v41, 0xffff0000, v41
	v_cndmask_b32_e64 v37, v29, |v39|, vcc
	v_cmp_o_f32_e32 vcc, v32, v32
	v_add3_u32 v42, v33, v42, s19
	v_and_b32_e32 v40, 0xffff0000, v40
	v_cndmask_b32_e64 v32, v29, |v41|, vcc
	v_cmp_o_f32_e32 vcc, v38, v38
	v_and_b32_e32 v39, 0xffff0000, v42
	v_cndmask_b32_e64 v38, v29, |v40|, vcc
	v_cmp_o_f32_e32 vcc, v33, v33
	v_max3_f32 v5, v5, v37, v32
	v_cndmask_b32_e64 v32, v29, |v39|, vcc
	v_add_co_u32_e32 v20, vcc, s28, v20
	v_addc_co_u32_e32 v19, vcc, v19, v35, vcc
	v_add_co_u32_e32 v22, vcc, s28, v22
	v_addc_co_u32_e32 v21, vcc, v21, v35, vcc
	;; [unrolled: 2-line block ×5, first 2 shown]
	v_cmp_ge_i64_e32 vcc, v[30:31], v[10:11]
	v_max3_f32 v5, v5, v32, v38
	s_orn2_b64 s[40:41], vcc, exec
	s_branch .LBB87_18
.LBB87_25:
	s_or_b64 exec, exec, s[12:13]
.LBB87_26:
	s_or_b64 exec, exec, s[26:27]
	s_lshr_b32 s7, s43, 6
	v_cvt_f32_u32_e32 v10, s7
	v_lshlrev_b32_e32 v1, 2, v0
	ds_write_b32 v1, v5
	s_sub_i32 s12, 0, s7
	v_rcp_iflag_f32_e32 v5, v10
	s_add_i32 s2, s22, s7
	s_add_i32 s2, s2, -1
	s_ashr_i32 s3, s2, 31
	v_mul_f32_e32 v5, 0x4f7ffffe, v5
	v_cvt_u32_f32_e32 v5, v5
	s_abs_i32 s2, s2
	s_ashr_i32 s23, s22, 31
	s_waitcnt lgkmcnt(0)
	v_readfirstlane_b32 s13, v5
	s_mul_i32 s12, s12, s13
	s_mul_hi_u32 s12, s13, s12
	s_add_i32 s13, s13, s12
	s_mul_hi_u32 s12, s2, s13
	s_mul_i32 s13, s12, s7
	s_sub_i32 s2, s2, s13
	s_add_i32 s13, s12, 1
	s_sub_i32 s16, s2, s7
	s_cmp_ge_u32 s2, s7
	s_cselect_b32 s12, s13, s12
	s_cselect_b32 s2, s16, s2
	s_add_i32 s13, s12, 1
	s_cmp_ge_u32 s2, s7
	s_cselect_b32 s2, s13, s12
	s_xor_b32 s2, s2, s3
	s_sub_i32 s2, s2, s3
	s_ashr_i32 s3, s2, 31
	v_cmp_lt_i64_e64 s[12:13], s[2:3], 1
	s_and_b64 vcc, exec, s[12:13]
	s_barrier
	s_cbranch_vccnz .LBB87_48
; %bb.27:
	v_and_b32_e32 v12, 63, v0
	v_add_co_u32_e32 v14, vcc, 32, v12
	v_addc_co_u32_e64 v15, s[12:13], 0, 0, vcc
	v_add_co_u32_e32 v16, vcc, 16, v12
	v_addc_co_u32_e64 v17, s[12:13], 0, 0, vcc
	;; [unrolled: 2-line block ×4, first 2 shown]
	v_add_co_u32_e32 v22, vcc, 2, v12
	v_lshrrev_b32_e32 v10, 6, v0
	v_addc_co_u32_e64 v23, s[12:13], 0, 0, vcc
	v_add_co_u32_e32 v24, vcc, 1, v12
	v_addc_co_u32_e64 v25, s[12:13], 0, 0, vcc
	v_mul_lo_u32 v5, s24, v10
	v_lshlrev_b32_e32 v5, 2, v5
	v_lshlrev_b32_e32 v26, 2, v12
	s_movk_i32 s12, 0x100
	v_mov_b32_e32 v11, 0
	v_add3_u32 v5, v5, v26, s12
	s_mul_i32 s12, s24, s7
	v_mov_b32_e32 v13, v11
	s_lshl_b32 s16, s12, 2
	s_mov_b64 s[12:13], 0
	v_mov_b32_e32 v37, s7
	s_mov_b64 s[26:27], src_shared_base
	s_branch .LBB87_30
.LBB87_28:                              ;   in Loop: Header=BB87_30 Depth=1
	s_or_b64 exec, exec, s[30:31]
	v_mov_b32_e32 v27, s27
	flat_load_dword v26, v[26:27] glc
	s_waitcnt vmcnt(0)
.LBB87_29:                              ;   in Loop: Header=BB87_30 Depth=1
	s_or_b64 exec, exec, s[28:29]
	s_add_u32 s12, s12, 1
	s_addc_u32 s13, s13, 0
	s_cmp_eq_u64 s[12:13], s[2:3]
	v_add_u32_e32 v5, s16, v5
	s_cbranch_scc1 .LBB87_48
.LBB87_30:                              ; =>This Loop Header: Depth=1
                                        ;     Child Loop BB87_33 Depth 2
	v_mad_u64_u32 v[30:31], s[28:29], s12, v37, v[10:11]
	s_mul_i32 s19, s13, s7
	v_add_u32_e32 v31, s19, v31
	v_cmp_gt_i64_e32 vcc, s[22:23], v[30:31]
	s_and_saveexec_b64 s[28:29], vcc
	s_cbranch_execz .LBB87_29
; %bb.31:                               ;   in Loop: Header=BB87_30 Depth=1
	v_pk_mov_b32 v[32:33], s[24:25], s[24:25] op_sel:[0,1]
	v_mul_lo_u32 v29, v31, s24
	v_mul_lo_u32 v38, v30, s25
	v_mad_u64_u32 v[32:33], s[30:31], v30, s24, v[32:33]
	v_add3_u32 v33, v29, v33, v38
	v_mov_b32_e32 v28, s21
	v_cmp_gt_i64_e32 vcc, s[20:21], v[32:33]
	s_waitcnt lgkmcnt(0)
	v_mad_u64_u32 v[26:27], s[30:31], v30, s24, v[12:13]
	v_cndmask_b32_e32 v33, v28, v33, vcc
	v_mov_b32_e32 v28, s17
	v_add3_u32 v27, v29, v27, v38
	v_cndmask_b32_e32 v32, v28, v32, vcc
	v_add_co_u32_e32 v34, vcc, 64, v26
	v_addc_co_u32_e32 v35, vcc, 0, v27, vcc
	v_cmp_lt_i64_e32 vcc, v[34:35], v[32:33]
	v_lshlrev_b32_e32 v28, 2, v26
	s_and_saveexec_b64 s[30:31], vcc
	s_cbranch_execz .LBB87_34
; %bb.32:                               ;   in Loop: Header=BB87_30 Depth=1
	ds_read_b32 v31, v28
	s_mov_b64 s[34:35], 0
	v_mov_b32_e32 v27, v5
.LBB87_33:                              ;   Parent Loop BB87_30 Depth=1
                                        ; =>  This Inner Loop Header: Depth=2
	ds_read_b32 v39, v27
	v_add_co_u32_e32 v34, vcc, 64, v34
	v_addc_co_u32_e32 v35, vcc, 0, v35, vcc
	s_waitcnt lgkmcnt(1)
	v_max_f32_e32 v31, v31, v31
	v_cmp_ge_i64_e32 vcc, v[34:35], v[32:33]
	s_waitcnt lgkmcnt(0)
	v_max_f32_e32 v39, v39, v39
	v_add_u32_e32 v27, 0x100, v27
	s_or_b64 s[34:35], vcc, s[34:35]
	v_max_f32_e32 v31, v31, v39
	ds_write_b32 v28, v31
	s_andn2_b64 exec, exec, s[34:35]
	s_cbranch_execnz .LBB87_33
.LBB87_34:                              ;   in Loop: Header=BB87_30 Depth=1
	s_or_b64 exec, exec, s[30:31]
	v_mad_u64_u32 v[30:31], s[30:31], v30, s24, 0
	v_add3_u32 v27, v31, v38, v29
	v_sub_co_u32_e32 v30, vcc, v32, v30
	v_subb_co_u32_e32 v31, vcc, v33, v27, vcc
	v_cmp_gt_i64_e32 vcc, 64, v[30:31]
	v_cndmask_b32_e32 v31, 0, v31, vcc
	v_cndmask_b32_e32 v30, 64, v30, vcc
	v_cmp_lt_i64_e32 vcc, v[14:15], v[30:31]
	s_and_saveexec_b64 s[30:31], vcc
	s_cbranch_execnz .LBB87_46
; %bb.35:                               ;   in Loop: Header=BB87_30 Depth=1
	s_or_b64 exec, exec, s[30:31]
	v_cmp_lt_i64_e32 vcc, v[16:17], v[30:31]
	s_and_saveexec_b64 s[30:31], vcc
	s_cbranch_execnz .LBB87_47
.LBB87_36:                              ;   in Loop: Header=BB87_30 Depth=1
	s_or_b64 exec, exec, s[30:31]
	v_cmp_lt_i64_e32 vcc, v[18:19], v[30:31]
	s_and_saveexec_b64 s[30:31], vcc
	s_cbranch_execz .LBB87_38
.LBB87_37:                              ;   in Loop: Header=BB87_30 Depth=1
	v_mov_b32_e32 v29, s27
	v_add_u32_e32 v32, 32, v28
	v_mov_b32_e32 v33, s27
	flat_load_dword v27, v[28:29] glc
	s_waitcnt vmcnt(0)
	flat_load_dword v34, v[32:33] glc
	s_waitcnt vmcnt(0) lgkmcnt(0)
	v_max_f32_e32 v27, v27, v27
	v_max_f32_e32 v32, v34, v34
	;; [unrolled: 1-line block ×3, first 2 shown]
	flat_store_dword v[28:29], v27
	s_waitcnt vmcnt(0)
.LBB87_38:                              ;   in Loop: Header=BB87_30 Depth=1
	s_or_b64 exec, exec, s[30:31]
	v_cmp_ge_i64_e32 vcc, v[20:21], v[30:31]
	s_and_saveexec_b64 s[30:31], vcc
	s_xor_b64 s[30:31], exec, s[30:31]
; %bb.39:                               ;   in Loop: Header=BB87_30 Depth=1
                                        ; implicit-def: $vgpr28
; %bb.40:                               ;   in Loop: Header=BB87_30 Depth=1
	s_andn2_saveexec_b64 s[30:31], s[30:31]
	s_cbranch_execz .LBB87_42
; %bb.41:                               ;   in Loop: Header=BB87_30 Depth=1
	v_mov_b32_e32 v29, s27
	v_add_u32_e32 v32, 16, v28
	v_mov_b32_e32 v33, s27
	flat_load_dword v27, v[28:29] glc
	s_waitcnt vmcnt(0)
	flat_load_dword v34, v[32:33] glc
	s_waitcnt vmcnt(0) lgkmcnt(0)
	v_max_f32_e32 v27, v27, v27
	v_max_f32_e32 v32, v34, v34
	;; [unrolled: 1-line block ×3, first 2 shown]
	flat_store_dword v[28:29], v27
	s_waitcnt vmcnt(0)
.LBB87_42:                              ;   in Loop: Header=BB87_30 Depth=1
	s_or_b64 exec, exec, s[30:31]
	v_cmp_lt_i64_e32 vcc, v[22:23], v[30:31]
	v_lshlrev_b32_e32 v26, 2, v26
	s_and_saveexec_b64 s[30:31], vcc
	s_cbranch_execz .LBB87_44
; %bb.43:                               ;   in Loop: Header=BB87_30 Depth=1
	v_mov_b32_e32 v27, s27
	v_add_u32_e32 v28, 8, v26
	v_mov_b32_e32 v29, s27
	flat_load_dword v32, v[26:27] glc
	s_waitcnt vmcnt(0)
	flat_load_dword v33, v[28:29] glc
	s_waitcnt vmcnt(0) lgkmcnt(0)
	v_max_f32_e32 v28, v32, v32
	v_max_f32_e32 v29, v33, v33
	;; [unrolled: 1-line block ×3, first 2 shown]
	flat_store_dword v[26:27], v28
	s_waitcnt vmcnt(0)
.LBB87_44:                              ;   in Loop: Header=BB87_30 Depth=1
	s_or_b64 exec, exec, s[30:31]
	v_cmp_lt_i64_e32 vcc, v[24:25], v[30:31]
	s_and_saveexec_b64 s[30:31], vcc
	s_cbranch_execz .LBB87_28
; %bb.45:                               ;   in Loop: Header=BB87_30 Depth=1
	v_mov_b32_e32 v27, s27
	v_add_u32_e32 v28, 4, v26
	v_mov_b32_e32 v29, s27
	flat_load_dword v30, v[26:27] glc
	s_waitcnt vmcnt(0)
	flat_load_dword v31, v[28:29] glc
	s_waitcnt vmcnt(0) lgkmcnt(0)
	v_max_f32_e32 v28, v30, v30
	v_max_f32_e32 v29, v31, v31
	;; [unrolled: 1-line block ×3, first 2 shown]
	flat_store_dword v[26:27], v28
	s_waitcnt vmcnt(0)
	s_branch .LBB87_28
.LBB87_46:                              ;   in Loop: Header=BB87_30 Depth=1
	v_mov_b32_e32 v29, s27
	v_add_u32_e32 v32, 0x80, v28
	v_mov_b32_e32 v33, s27
	flat_load_dword v27, v[28:29] glc
	s_waitcnt vmcnt(0)
	flat_load_dword v34, v[32:33] glc
	s_waitcnt vmcnt(0) lgkmcnt(0)
	v_max_f32_e32 v27, v27, v27
	v_max_f32_e32 v32, v34, v34
	;; [unrolled: 1-line block ×3, first 2 shown]
	flat_store_dword v[28:29], v27
	s_waitcnt vmcnt(0)
	s_or_b64 exec, exec, s[30:31]
	v_cmp_lt_i64_e32 vcc, v[16:17], v[30:31]
	s_and_saveexec_b64 s[30:31], vcc
	s_cbranch_execz .LBB87_36
.LBB87_47:                              ;   in Loop: Header=BB87_30 Depth=1
	v_mov_b32_e32 v29, s27
	v_add_u32_e32 v32, 64, v28
	v_mov_b32_e32 v33, s27
	flat_load_dword v27, v[28:29] glc
	s_waitcnt vmcnt(0)
	flat_load_dword v34, v[32:33] glc
	s_waitcnt vmcnt(0) lgkmcnt(0)
	v_max_f32_e32 v27, v27, v27
	v_max_f32_e32 v32, v34, v34
	;; [unrolled: 1-line block ×3, first 2 shown]
	flat_store_dword v[28:29], v27
	s_waitcnt vmcnt(0)
	s_or_b64 exec, exec, s[30:31]
	v_cmp_lt_i64_e32 vcc, v[18:19], v[30:31]
	s_and_saveexec_b64 s[30:31], vcc
	s_cbranch_execnz .LBB87_37
	s_branch .LBB87_38
.LBB87_48:
	v_cmp_eq_u32_e32 vcc, 0, v4
	v_cmp_lt_i64_e64 s[2:3], v[6:7], v[8:9]
	s_and_b64 s[24:25], vcc, s[2:3]
	s_mul_i32 s7, s23, s6
	s_mul_hi_u32 s19, s22, s6
	s_mul_i32 s2, s22, s6
	s_waitcnt lgkmcnt(0)
	s_barrier
	s_and_saveexec_b64 s[12:13], s[24:25]
	s_cbranch_execz .LBB87_52
; %bb.49:
	s_load_dwordx2 s[4:5], s[4:5], 0x20
	ds_read_b32 v1, v1
	s_waitcnt lgkmcnt(0)
	s_cmp_eq_u64 s[4:5], 0
	s_cbranch_scc1 .LBB87_51
; %bb.50:
	s_load_dword s3, s[4:5], 0x0
	v_max_f32_e32 v1, v1, v1
	s_waitcnt lgkmcnt(0)
	v_max_f32_e64 v4, s3, s3
	v_min_f32_e32 v1, v1, v4
.LBB87_51:
	s_mov_b32 s3, 0x43e00000
	v_div_scale_f32 v4, s[4:5], s3, s3, v1
	v_rcp_f32_e32 v5, v4
	v_div_scale_f32 v6, vcc, v1, s3, v1
	v_lshlrev_b64 v[2:3], 2, v[2:3]
	v_fma_f32 v7, -v4, v5, 1.0
	v_fmac_f32_e32 v5, v7, v5
	v_mul_f32_e32 v7, v6, v5
	v_fma_f32 v8, -v4, v7, v6
	v_fmac_f32_e32 v7, v8, v5
	v_fma_f32 v4, -v4, v7, v6
	v_div_fmas_f32 v4, v4, v5, v7
	v_div_fixup_f32 v1, v4, s3, v1
	s_add_i32 s3, s19, s7
	s_lshl_b64 s[4:5], s[2:3], 2
	s_add_u32 s3, s10, s4
	s_addc_u32 s4, s11, s5
	v_mov_b32_e32 v4, s4
	v_add_co_u32_e32 v2, vcc, s3, v2
	v_max_f32_e32 v1, 0x36924925, v1
	v_addc_co_u32_e32 v3, vcc, v4, v3, vcc
	global_store_dword v[2:3], v1, off
.LBB87_52:
	s_or_b64 exec, exec, s[12:13]
	s_barrier
	s_and_saveexec_b64 s[4:5], s[0:1]
	s_cbranch_execz .LBB87_157
; %bb.53:
	s_mul_i32 s0, s21, s6
	s_mul_hi_u32 s1, s17, s6
	s_add_i32 s1, s1, s0
	s_mul_i32 s0, s17, s6
	s_add_u32 s16, s8, s0
	s_addc_u32 s17, s9, s1
	s_add_i32 s3, s19, s7
	s_lshl_b64 s[0:1], s[2:3], 2
	s_add_u32 s0, s10, s0
	s_addc_u32 s1, s11, s1
	s_mul_i32 s19, s43, 3
	s_lshl_b32 s20, s43, 1
	s_mov_b64 s[2:3], 0
	v_mov_b32_e32 v1, 0
	v_mov_b32_e32 v10, s42
	;; [unrolled: 1-line block ×3, first 2 shown]
	s_movk_i32 s21, 0x7fff
	v_mov_b32_e32 v12, 0x7fc00000
	s_mov_b32 s22, 0x43f00000
	s_mov_b32 s23, 0x3c7fffff
	;; [unrolled: 1-line block ×4, first 2 shown]
	s_movk_i32 s26, 0x80
	s_movk_i32 s27, 0xff
	s_branch .LBB87_59
.LBB87_54:                              ;   in Loop: Header=BB87_59 Depth=1
	s_or_b64 exec, exec, s[12:13]
.LBB87_55:                              ;   in Loop: Header=BB87_59 Depth=1
	s_or_b64 exec, exec, s[10:11]
	v_and_b32_sdwa v7, v15, s26 dst_sel:DWORD dst_unused:UNUSED_PAD src0_sel:BYTE_3 src1_sel:DWORD
	v_and_b32_sdwa v8, v14, s26 dst_sel:DWORD dst_unused:UNUSED_PAD src0_sel:BYTE_3 src1_sel:DWORD
	v_lshlrev_b64 v[14:15], 2, v[0:1]
	v_mov_b32_e32 v0, s17
	v_add_co_u32_e32 v14, vcc, s16, v14
	v_and_or_b32 v4, v4, s27, v7
	v_addc_co_u32_e32 v15, vcc, v0, v15, vcc
	v_lshlrev_b32_e32 v0, 24, v6
	v_and_b32_e32 v5, 0x80000000, v5
	v_lshlrev_b32_e32 v4, 16, v4
	v_lshrrev_b32_e32 v13, 24, v13
	v_or3_b32 v0, v5, v0, v4
	v_and_or_b32 v3, v3, s27, v8
	v_and_b32_e32 v4, 0xff, v9
	v_lshlrev_b32_e32 v3, 8, v3
	v_and_or_b32 v4, v13, s26, v4
	s_add_i32 s10, s43, s43
	v_or3_b32 v0, v0, v3, v4
	s_add_i32 s10, s10, s43
	global_store_dword v[14:15], v0, off
	v_add_u32_e32 v0, s10, v2
	v_cmp_le_u32_e32 vcc, s18, v0
	s_orn2_b64 s[10:11], vcc, exec
.LBB87_56:                              ;   in Loop: Header=BB87_59 Depth=1
	s_or_b64 exec, exec, s[8:9]
	s_orn2_b64 s[8:9], s[10:11], exec
.LBB87_57:                              ;   in Loop: Header=BB87_59 Depth=1
	s_or_b64 exec, exec, s[6:7]
	s_orn2_b64 s[6:7], s[8:9], exec
.LBB87_58:                              ;   in Loop: Header=BB87_59 Depth=1
	s_or_b64 exec, exec, s[4:5]
	s_and_b64 s[4:5], exec, s[6:7]
	s_or_b64 s[2:3], s[4:5], s[2:3]
	s_andn2_b64 exec, exec, s[2:3]
	s_cbranch_execz .LBB87_157
.LBB87_59:                              ; =>This Inner Loop Header: Depth=1
	v_lshlrev_b64 v[2:3], 3, v[0:1]
	v_add_co_u32_e32 v4, vcc, s33, v2
	v_addc_co_u32_e32 v5, vcc, v10, v3, vcc
	global_load_dwordx2 v[4:5], v[4:5], off
	v_add_co_u32_e32 v2, vcc, s14, v2
	v_addc_co_u32_e32 v3, vcc, v11, v3, vcc
	global_load_dwordx2 v[2:3], v[2:3], off
	v_lshrrev_b32_e32 v6, 2, v0
	v_and_b32_e32 v6, 0xffffffc, v6
	global_load_dword v7, v6, s[0:1]
	s_waitcnt vmcnt(2)
	v_lshlrev_b32_e32 v6, 16, v4
	v_mul_f32_e32 v6, v36, v6
	v_bfe_u32 v9, v6, 16, 1
	v_add3_u32 v9, v6, v9, s21
	v_and_b32_e32 v9, 0xffff0000, v9
	v_cmp_o_f32_e32 vcc, v6, v6
	s_waitcnt vmcnt(1)
	v_lshlrev_b32_e32 v8, 16, v2
	v_cndmask_b32_e32 v6, v12, v9, vcc
	v_mul_f32_e32 v6, v6, v8
	v_bfe_u32 v8, v6, 16, 1
	v_add3_u32 v8, v6, v8, s21
	v_and_b32_e32 v8, 0xffff0000, v8
	v_cmp_o_f32_e32 vcc, v6, v6
	v_cndmask_b32_e32 v8, v12, v8, vcc
	s_waitcnt vmcnt(0)
	v_div_scale_f32 v9, s[4:5], v7, v7, v8
	v_rcp_f32_e32 v13, v9
	v_div_scale_f32 v14, vcc, v8, v7, v8
	v_mov_b32_e32 v6, 0x7f
	v_fma_f32 v15, -v9, v13, 1.0
	v_fmac_f32_e32 v13, v15, v13
	v_mul_f32_e32 v15, v14, v13
	v_fma_f32 v16, -v9, v15, v14
	v_fmac_f32_e32 v15, v16, v13
	v_fma_f32 v9, -v9, v15, v14
	v_div_fmas_f32 v9, v9, v13, v15
	v_div_fixup_f32 v8, v9, v7, v8
	v_min_f32_e32 v8, 0x43e00000, v8
	v_max_f32_e32 v9, 0xc3e00000, v8
	v_and_b32_e32 v13, 0x7fffffff, v9
	v_cmp_gt_u32_e32 vcc, s22, v13
	v_mov_b32_e32 v8, 0x7f
	s_and_saveexec_b64 s[4:5], vcc
	s_cbranch_execz .LBB87_65
; %bb.60:                               ;   in Loop: Header=BB87_59 Depth=1
	v_cmp_lt_u32_e32 vcc, s23, v13
                                        ; implicit-def: $vgpr8
	s_and_saveexec_b64 s[6:7], vcc
	s_xor_b64 s[6:7], exec, s[6:7]
; %bb.61:                               ;   in Loop: Header=BB87_59 Depth=1
	v_bfe_u32 v8, v9, 20, 1
	v_add3_u32 v8, v9, v8, s24
	v_lshrrev_b32_e32 v8, 20, v8
; %bb.62:                               ;   in Loop: Header=BB87_59 Depth=1
	s_andn2_saveexec_b64 s[6:7], s[6:7]
; %bb.63:                               ;   in Loop: Header=BB87_59 Depth=1
	v_add_f32_e64 v8, |v9|, s25
; %bb.64:                               ;   in Loop: Header=BB87_59 Depth=1
	s_or_b64 exec, exec, s[6:7]
.LBB87_65:                              ;   in Loop: Header=BB87_59 Depth=1
	s_or_b64 exec, exec, s[4:5]
	v_and_b32_e32 v13, 0xffff0000, v4
	v_mul_f32_e32 v13, v36, v13
	v_bfe_u32 v15, v13, 16, 1
	v_add3_u32 v15, v13, v15, s21
	v_and_b32_e32 v15, 0xffff0000, v15
	v_cmp_o_f32_e32 vcc, v13, v13
	v_and_b32_e32 v14, 0xffff0000, v2
	v_cndmask_b32_e32 v13, v12, v15, vcc
	v_mul_f32_e32 v13, v13, v14
	v_bfe_u32 v14, v13, 16, 1
	v_add3_u32 v14, v13, v14, s21
	v_and_b32_e32 v14, 0xffff0000, v14
	v_cmp_o_f32_e32 vcc, v13, v13
	v_cndmask_b32_e32 v13, v12, v14, vcc
	v_div_scale_f32 v14, s[4:5], v7, v7, v13
	v_rcp_f32_e32 v15, v14
	v_fma_f32 v16, -v14, v15, 1.0
	v_fmac_f32_e32 v15, v16, v15
	v_div_scale_f32 v16, vcc, v13, v7, v13
	v_mul_f32_e32 v17, v16, v15
	v_fma_f32 v18, -v14, v17, v16
	v_fmac_f32_e32 v17, v18, v15
	v_fma_f32 v14, -v14, v17, v16
	v_div_fmas_f32 v14, v14, v15, v17
	v_div_fixup_f32 v13, v14, v7, v13
	v_min_f32_e32 v13, 0x43e00000, v13
	v_max_f32_e32 v13, 0xc3e00000, v13
	v_and_b32_e32 v14, 0x7fffffff, v13
	v_cmp_gt_u32_e32 vcc, s22, v14
	s_and_saveexec_b64 s[4:5], vcc
	s_cbranch_execz .LBB87_71
; %bb.66:                               ;   in Loop: Header=BB87_59 Depth=1
	v_cmp_lt_u32_e32 vcc, s23, v14
                                        ; implicit-def: $vgpr6
	s_and_saveexec_b64 s[6:7], vcc
	s_xor_b64 s[6:7], exec, s[6:7]
; %bb.67:                               ;   in Loop: Header=BB87_59 Depth=1
	v_bfe_u32 v6, v13, 20, 1
	v_add3_u32 v6, v13, v6, s24
	v_lshrrev_b32_e32 v6, 20, v6
; %bb.68:                               ;   in Loop: Header=BB87_59 Depth=1
	s_andn2_saveexec_b64 s[6:7], s[6:7]
; %bb.69:                               ;   in Loop: Header=BB87_59 Depth=1
	v_add_f32_e64 v6, |v13|, s25
; %bb.70:                               ;   in Loop: Header=BB87_59 Depth=1
	s_or_b64 exec, exec, s[6:7]
.LBB87_71:                              ;   in Loop: Header=BB87_59 Depth=1
	s_or_b64 exec, exec, s[4:5]
	v_alignbit_b32 v4, v5, v4, 16
	v_and_b32_e32 v4, 0xffff0000, v4
	v_mul_f32_e32 v4, v36, v4
	v_bfe_u32 v14, v4, 16, 1
	v_add3_u32 v14, v4, v14, s21
	v_and_b32_e32 v14, 0xffff0000, v14
	v_cmp_o_f32_e32 vcc, v4, v4
	v_alignbit_b32 v2, v3, v2, 16
	v_cndmask_b32_e32 v4, v12, v14, vcc
	v_and_b32_e32 v2, 0xffff0000, v2
	v_mul_f32_e32 v2, v4, v2
	v_bfe_u32 v4, v2, 16, 1
	v_add3_u32 v4, v2, v4, s21
	v_and_b32_e32 v4, 0xffff0000, v4
	v_cmp_o_f32_e32 vcc, v2, v2
	v_cndmask_b32_e32 v2, v12, v4, vcc
	v_div_scale_f32 v4, s[4:5], v7, v7, v2
	v_rcp_f32_e32 v14, v4
	v_fma_f32 v15, -v4, v14, 1.0
	v_fmac_f32_e32 v14, v15, v14
	v_div_scale_f32 v15, vcc, v2, v7, v2
	v_mul_f32_e32 v16, v15, v14
	v_fma_f32 v17, -v4, v16, v15
	v_fmac_f32_e32 v16, v17, v14
	v_fma_f32 v4, -v4, v16, v15
	v_div_fmas_f32 v4, v4, v14, v16
	v_div_fixup_f32 v2, v4, v7, v2
	v_min_f32_e32 v2, 0x43e00000, v2
	v_max_f32_e32 v14, 0xc3e00000, v2
	v_and_b32_e32 v15, 0x7fffffff, v14
	v_cmp_gt_u32_e32 vcc, s22, v15
	v_mov_b32_e32 v4, 0x7f
	v_mov_b32_e32 v2, 0x7f
	s_and_saveexec_b64 s[4:5], vcc
	s_cbranch_execz .LBB87_77
; %bb.72:                               ;   in Loop: Header=BB87_59 Depth=1
	v_cmp_lt_u32_e32 vcc, s23, v15
                                        ; implicit-def: $vgpr2
	s_and_saveexec_b64 s[6:7], vcc
	s_xor_b64 s[6:7], exec, s[6:7]
; %bb.73:                               ;   in Loop: Header=BB87_59 Depth=1
	v_bfe_u32 v2, v14, 20, 1
	v_add3_u32 v2, v14, v2, s24
	v_lshrrev_b32_e32 v2, 20, v2
; %bb.74:                               ;   in Loop: Header=BB87_59 Depth=1
	s_andn2_saveexec_b64 s[6:7], s[6:7]
; %bb.75:                               ;   in Loop: Header=BB87_59 Depth=1
	v_add_f32_e64 v2, |v14|, s25
; %bb.76:                               ;   in Loop: Header=BB87_59 Depth=1
	s_or_b64 exec, exec, s[6:7]
.LBB87_77:                              ;   in Loop: Header=BB87_59 Depth=1
	s_or_b64 exec, exec, s[4:5]
	v_and_b32_e32 v5, 0xffff0000, v5
	v_mul_f32_e32 v5, v36, v5
	v_bfe_u32 v15, v5, 16, 1
	v_add3_u32 v15, v5, v15, s21
	v_and_b32_e32 v15, 0xffff0000, v15
	v_cmp_o_f32_e32 vcc, v5, v5
	v_cndmask_b32_e32 v5, v12, v15, vcc
	v_and_b32_e32 v3, 0xffff0000, v3
	v_mul_f32_e32 v3, v5, v3
	v_bfe_u32 v5, v3, 16, 1
	v_add3_u32 v5, v3, v5, s21
	v_and_b32_e32 v5, 0xffff0000, v5
	v_cmp_o_f32_e32 vcc, v3, v3
	v_cndmask_b32_e32 v3, v12, v5, vcc
	v_div_scale_f32 v5, s[4:5], v7, v7, v3
	v_rcp_f32_e32 v15, v5
	v_fma_f32 v16, -v5, v15, 1.0
	v_fmac_f32_e32 v15, v16, v15
	v_div_scale_f32 v16, vcc, v3, v7, v3
	v_mul_f32_e32 v17, v16, v15
	v_fma_f32 v18, -v5, v17, v16
	v_fmac_f32_e32 v17, v18, v15
	v_fma_f32 v5, -v5, v17, v16
	v_div_fmas_f32 v5, v5, v15, v17
	v_div_fixup_f32 v3, v5, v7, v3
	v_min_f32_e32 v3, 0x43e00000, v3
	v_max_f32_e32 v3, 0xc3e00000, v3
	v_and_b32_e32 v5, 0x7fffffff, v3
	v_cmp_gt_u32_e32 vcc, s22, v5
	s_and_saveexec_b64 s[4:5], vcc
	s_cbranch_execz .LBB87_83
; %bb.78:                               ;   in Loop: Header=BB87_59 Depth=1
	v_cmp_lt_u32_e32 vcc, s23, v5
                                        ; implicit-def: $vgpr4
	s_and_saveexec_b64 s[6:7], vcc
	s_xor_b64 s[6:7], exec, s[6:7]
; %bb.79:                               ;   in Loop: Header=BB87_59 Depth=1
	v_bfe_u32 v4, v3, 20, 1
	v_add3_u32 v4, v3, v4, s24
	v_lshrrev_b32_e32 v4, 20, v4
; %bb.80:                               ;   in Loop: Header=BB87_59 Depth=1
	s_andn2_saveexec_b64 s[6:7], s[6:7]
; %bb.81:                               ;   in Loop: Header=BB87_59 Depth=1
	v_add_f32_e64 v4, |v3|, s25
; %bb.82:                               ;   in Loop: Header=BB87_59 Depth=1
	s_or_b64 exec, exec, s[6:7]
.LBB87_83:                              ;   in Loop: Header=BB87_59 Depth=1
	s_or_b64 exec, exec, s[4:5]
	v_and_b32_sdwa v5, v14, s26 dst_sel:DWORD dst_unused:UNUSED_PAD src0_sel:BYTE_3 src1_sel:DWORD
	v_and_or_b32 v2, v2, s27, v5
	v_and_b32_sdwa v7, v13, s26 dst_sel:DWORD dst_unused:UNUSED_PAD src0_sel:BYTE_3 src1_sel:DWORD
	v_lshlrev_b32_e32 v4, 24, v4
	v_and_b32_e32 v3, 0x80000000, v3
	v_lshlrev_b32_e32 v2, 16, v2
	v_lshrrev_b32_e32 v9, 24, v9
	v_lshlrev_b64 v[14:15], 2, v[0:1]
	v_or3_b32 v2, v3, v4, v2
	v_and_or_b32 v3, v6, s27, v7
	v_and_b32_e32 v4, 0xff, v8
	v_mov_b32_e32 v13, s17
	v_add_co_u32_e32 v14, vcc, s16, v14
	v_lshlrev_b32_e32 v3, 8, v3
	v_and_or_b32 v4, v9, s26, v4
	v_addc_co_u32_e32 v15, vcc, v13, v15, vcc
	v_or3_b32 v2, v2, v3, v4
	global_store_dword v[14:15], v2, off
	v_add_u32_e32 v2, s43, v0
	v_cmp_gt_u32_e32 vcc, s18, v2
	s_mov_b64 s[6:7], -1
	s_and_saveexec_b64 s[4:5], vcc
	s_cbranch_execz .LBB87_58
; %bb.84:                               ;   in Loop: Header=BB87_59 Depth=1
	v_mov_b32_e32 v3, v1
	v_lshlrev_b64 v[6:7], 3, v[2:3]
	v_mov_b32_e32 v5, s42
	v_add_co_u32_e32 v4, vcc, s33, v6
	v_addc_co_u32_e32 v5, vcc, v5, v7, vcc
	global_load_dwordx2 v[4:5], v[4:5], off
	v_mov_b32_e32 v8, s15
	v_add_co_u32_e32 v6, vcc, s14, v6
	v_addc_co_u32_e32 v7, vcc, v8, v7, vcc
	global_load_dwordx2 v[6:7], v[6:7], off
	v_lshrrev_b32_e32 v8, 2, v2
	v_and_b32_e32 v8, 0xffffffc, v8
	global_load_dword v9, v8, s[0:1]
	s_waitcnt vmcnt(2)
	v_lshlrev_b32_e32 v8, 16, v4
	v_mul_f32_e32 v8, v36, v8
	v_bfe_u32 v14, v8, 16, 1
	v_add3_u32 v14, v8, v14, s21
	v_and_b32_e32 v14, 0xffff0000, v14
	v_cmp_o_f32_e32 vcc, v8, v8
	s_waitcnt vmcnt(1)
	v_lshlrev_b32_e32 v13, 16, v6
	v_cndmask_b32_e32 v8, v12, v14, vcc
	v_mul_f32_e32 v8, v8, v13
	v_bfe_u32 v13, v8, 16, 1
	v_add3_u32 v13, v8, v13, s21
	v_and_b32_e32 v13, 0xffff0000, v13
	v_cmp_o_f32_e32 vcc, v8, v8
	v_cndmask_b32_e32 v13, v12, v13, vcc
	s_waitcnt vmcnt(0)
	v_div_scale_f32 v14, s[6:7], v9, v9, v13
	v_rcp_f32_e32 v15, v14
	v_div_scale_f32 v16, vcc, v13, v9, v13
	v_mov_b32_e32 v8, 0x7f
	v_fma_f32 v17, -v14, v15, 1.0
	v_fmac_f32_e32 v15, v17, v15
	v_mul_f32_e32 v17, v16, v15
	v_fma_f32 v18, -v14, v17, v16
	v_fmac_f32_e32 v17, v18, v15
	v_fma_f32 v14, -v14, v17, v16
	v_div_fmas_f32 v14, v14, v15, v17
	v_div_fixup_f32 v13, v14, v9, v13
	v_min_f32_e32 v13, 0x43e00000, v13
	v_max_f32_e32 v14, 0xc3e00000, v13
	v_and_b32_e32 v15, 0x7fffffff, v14
	v_cmp_gt_u32_e32 vcc, s22, v15
	v_mov_b32_e32 v13, 0x7f
	s_and_saveexec_b64 s[6:7], vcc
	s_cbranch_execz .LBB87_90
; %bb.85:                               ;   in Loop: Header=BB87_59 Depth=1
	v_cmp_lt_u32_e32 vcc, s23, v15
                                        ; implicit-def: $vgpr13
	s_and_saveexec_b64 s[8:9], vcc
	s_xor_b64 s[8:9], exec, s[8:9]
; %bb.86:                               ;   in Loop: Header=BB87_59 Depth=1
	v_bfe_u32 v13, v14, 20, 1
	v_add3_u32 v13, v14, v13, s24
	v_lshrrev_b32_e32 v13, 20, v13
; %bb.87:                               ;   in Loop: Header=BB87_59 Depth=1
	s_andn2_saveexec_b64 s[8:9], s[8:9]
; %bb.88:                               ;   in Loop: Header=BB87_59 Depth=1
	v_add_f32_e64 v13, |v14|, s25
; %bb.89:                               ;   in Loop: Header=BB87_59 Depth=1
	s_or_b64 exec, exec, s[8:9]
.LBB87_90:                              ;   in Loop: Header=BB87_59 Depth=1
	s_or_b64 exec, exec, s[6:7]
	v_and_b32_e32 v15, 0xffff0000, v4
	v_mul_f32_e32 v15, v36, v15
	v_bfe_u32 v17, v15, 16, 1
	v_add3_u32 v17, v15, v17, s21
	v_and_b32_e32 v17, 0xffff0000, v17
	v_cmp_o_f32_e32 vcc, v15, v15
	v_and_b32_e32 v16, 0xffff0000, v6
	v_cndmask_b32_e32 v15, v12, v17, vcc
	v_mul_f32_e32 v15, v15, v16
	v_bfe_u32 v16, v15, 16, 1
	v_add3_u32 v16, v15, v16, s21
	v_and_b32_e32 v16, 0xffff0000, v16
	v_cmp_o_f32_e32 vcc, v15, v15
	v_cndmask_b32_e32 v15, v12, v16, vcc
	v_div_scale_f32 v16, s[6:7], v9, v9, v15
	v_rcp_f32_e32 v17, v16
	v_fma_f32 v18, -v16, v17, 1.0
	v_fmac_f32_e32 v17, v18, v17
	v_div_scale_f32 v18, vcc, v15, v9, v15
	v_mul_f32_e32 v19, v18, v17
	v_fma_f32 v20, -v16, v19, v18
	v_fmac_f32_e32 v19, v20, v17
	v_fma_f32 v16, -v16, v19, v18
	v_div_fmas_f32 v16, v16, v17, v19
	v_div_fixup_f32 v15, v16, v9, v15
	v_min_f32_e32 v15, 0x43e00000, v15
	v_max_f32_e32 v15, 0xc3e00000, v15
	v_and_b32_e32 v16, 0x7fffffff, v15
	v_cmp_gt_u32_e32 vcc, s22, v16
	s_and_saveexec_b64 s[6:7], vcc
	s_cbranch_execz .LBB87_96
; %bb.91:                               ;   in Loop: Header=BB87_59 Depth=1
	v_cmp_lt_u32_e32 vcc, s23, v16
                                        ; implicit-def: $vgpr8
	s_and_saveexec_b64 s[8:9], vcc
	s_xor_b64 s[8:9], exec, s[8:9]
; %bb.92:                               ;   in Loop: Header=BB87_59 Depth=1
	v_bfe_u32 v8, v15, 20, 1
	v_add3_u32 v8, v15, v8, s24
	v_lshrrev_b32_e32 v8, 20, v8
; %bb.93:                               ;   in Loop: Header=BB87_59 Depth=1
	s_andn2_saveexec_b64 s[8:9], s[8:9]
; %bb.94:                               ;   in Loop: Header=BB87_59 Depth=1
	v_add_f32_e64 v8, |v15|, s25
; %bb.95:                               ;   in Loop: Header=BB87_59 Depth=1
	s_or_b64 exec, exec, s[8:9]
.LBB87_96:                              ;   in Loop: Header=BB87_59 Depth=1
	s_or_b64 exec, exec, s[6:7]
	v_alignbit_b32 v4, v5, v4, 16
	v_and_b32_e32 v4, 0xffff0000, v4
	v_mul_f32_e32 v4, v36, v4
	v_bfe_u32 v16, v4, 16, 1
	v_add3_u32 v16, v4, v16, s21
	v_and_b32_e32 v16, 0xffff0000, v16
	v_cmp_o_f32_e32 vcc, v4, v4
	v_alignbit_b32 v6, v7, v6, 16
	v_cndmask_b32_e32 v4, v12, v16, vcc
	v_and_b32_e32 v6, 0xffff0000, v6
	v_mul_f32_e32 v4, v4, v6
	v_bfe_u32 v6, v4, 16, 1
	v_add3_u32 v6, v4, v6, s21
	v_and_b32_e32 v6, 0xffff0000, v6
	v_cmp_o_f32_e32 vcc, v4, v4
	v_cndmask_b32_e32 v4, v12, v6, vcc
	v_div_scale_f32 v6, s[6:7], v9, v9, v4
	v_rcp_f32_e32 v16, v6
	v_fma_f32 v17, -v6, v16, 1.0
	v_fmac_f32_e32 v16, v17, v16
	v_div_scale_f32 v17, vcc, v4, v9, v4
	v_mul_f32_e32 v18, v17, v16
	v_fma_f32 v19, -v6, v18, v17
	v_fmac_f32_e32 v18, v19, v16
	v_fma_f32 v6, -v6, v18, v17
	v_div_fmas_f32 v6, v6, v16, v18
	v_div_fixup_f32 v4, v6, v9, v4
	v_min_f32_e32 v4, 0x43e00000, v4
	v_max_f32_e32 v16, 0xc3e00000, v4
	v_and_b32_e32 v17, 0x7fffffff, v16
	v_cmp_gt_u32_e32 vcc, s22, v17
	v_mov_b32_e32 v6, 0x7f
	v_mov_b32_e32 v4, 0x7f
	s_and_saveexec_b64 s[6:7], vcc
	s_cbranch_execz .LBB87_102
; %bb.97:                               ;   in Loop: Header=BB87_59 Depth=1
	v_cmp_lt_u32_e32 vcc, s23, v17
                                        ; implicit-def: $vgpr4
	s_and_saveexec_b64 s[8:9], vcc
	s_xor_b64 s[8:9], exec, s[8:9]
; %bb.98:                               ;   in Loop: Header=BB87_59 Depth=1
	v_bfe_u32 v4, v16, 20, 1
	v_add3_u32 v4, v16, v4, s24
	v_lshrrev_b32_e32 v4, 20, v4
; %bb.99:                               ;   in Loop: Header=BB87_59 Depth=1
	s_andn2_saveexec_b64 s[8:9], s[8:9]
; %bb.100:                              ;   in Loop: Header=BB87_59 Depth=1
	v_add_f32_e64 v4, |v16|, s25
; %bb.101:                              ;   in Loop: Header=BB87_59 Depth=1
	s_or_b64 exec, exec, s[8:9]
.LBB87_102:                             ;   in Loop: Header=BB87_59 Depth=1
	s_or_b64 exec, exec, s[6:7]
	v_and_b32_e32 v5, 0xffff0000, v5
	v_mul_f32_e32 v5, v36, v5
	v_bfe_u32 v17, v5, 16, 1
	v_add3_u32 v17, v5, v17, s21
	v_and_b32_e32 v17, 0xffff0000, v17
	v_cmp_o_f32_e32 vcc, v5, v5
	v_cndmask_b32_e32 v5, v12, v17, vcc
	v_and_b32_e32 v7, 0xffff0000, v7
	v_mul_f32_e32 v5, v5, v7
	v_bfe_u32 v7, v5, 16, 1
	v_add3_u32 v7, v5, v7, s21
	v_and_b32_e32 v7, 0xffff0000, v7
	v_cmp_o_f32_e32 vcc, v5, v5
	v_cndmask_b32_e32 v5, v12, v7, vcc
	v_div_scale_f32 v7, s[6:7], v9, v9, v5
	v_rcp_f32_e32 v17, v7
	v_fma_f32 v18, -v7, v17, 1.0
	v_fmac_f32_e32 v17, v18, v17
	v_div_scale_f32 v18, vcc, v5, v9, v5
	v_mul_f32_e32 v19, v18, v17
	v_fma_f32 v20, -v7, v19, v18
	v_fmac_f32_e32 v19, v20, v17
	v_fma_f32 v7, -v7, v19, v18
	v_div_fmas_f32 v7, v7, v17, v19
	v_div_fixup_f32 v5, v7, v9, v5
	v_min_f32_e32 v5, 0x43e00000, v5
	v_max_f32_e32 v5, 0xc3e00000, v5
	v_and_b32_e32 v7, 0x7fffffff, v5
	v_cmp_gt_u32_e32 vcc, s22, v7
	s_and_saveexec_b64 s[6:7], vcc
	s_cbranch_execz .LBB87_108
; %bb.103:                              ;   in Loop: Header=BB87_59 Depth=1
	v_cmp_lt_u32_e32 vcc, s23, v7
                                        ; implicit-def: $vgpr6
	s_and_saveexec_b64 s[8:9], vcc
	s_xor_b64 s[8:9], exec, s[8:9]
; %bb.104:                              ;   in Loop: Header=BB87_59 Depth=1
	v_bfe_u32 v6, v5, 20, 1
	v_add3_u32 v6, v5, v6, s24
	v_lshrrev_b32_e32 v6, 20, v6
; %bb.105:                              ;   in Loop: Header=BB87_59 Depth=1
	s_andn2_saveexec_b64 s[8:9], s[8:9]
; %bb.106:                              ;   in Loop: Header=BB87_59 Depth=1
	v_add_f32_e64 v6, |v5|, s25
; %bb.107:                              ;   in Loop: Header=BB87_59 Depth=1
	s_or_b64 exec, exec, s[8:9]
.LBB87_108:                             ;   in Loop: Header=BB87_59 Depth=1
	s_or_b64 exec, exec, s[6:7]
	v_and_b32_sdwa v7, v16, s26 dst_sel:DWORD dst_unused:UNUSED_PAD src0_sel:BYTE_3 src1_sel:DWORD
	v_and_b32_sdwa v9, v15, s26 dst_sel:DWORD dst_unused:UNUSED_PAD src0_sel:BYTE_3 src1_sel:DWORD
	v_lshrrev_b32_e32 v16, 24, v14
	v_lshlrev_b64 v[14:15], 2, v[2:3]
	v_mov_b32_e32 v3, s17
	v_add_co_u32_e32 v14, vcc, s16, v14
	v_and_or_b32 v4, v4, s27, v7
	v_addc_co_u32_e32 v15, vcc, v3, v15, vcc
	v_lshlrev_b32_e32 v3, 24, v6
	v_and_b32_e32 v5, 0x80000000, v5
	v_lshlrev_b32_e32 v4, 16, v4
	v_or3_b32 v3, v5, v3, v4
	v_and_or_b32 v4, v8, s27, v9
	v_and_b32_e32 v5, 0xff, v13
	v_lshlrev_b32_e32 v4, 8, v4
	v_and_or_b32 v5, v16, s26, v5
	v_or3_b32 v3, v3, v4, v5
	v_add_u32_e32 v4, s20, v0
	v_cmp_gt_u32_e32 vcc, s18, v4
	s_mov_b64 s[8:9], -1
	global_store_dword v[14:15], v3, off
	s_and_saveexec_b64 s[6:7], vcc
	s_cbranch_execz .LBB87_57
; %bb.109:                              ;   in Loop: Header=BB87_59 Depth=1
	v_mov_b32_e32 v5, v1
	v_lshlrev_b64 v[8:9], 3, v[4:5]
	v_mov_b32_e32 v3, s42
	v_add_co_u32_e32 v6, vcc, s33, v8
	v_addc_co_u32_e32 v7, vcc, v3, v9, vcc
	global_load_dwordx2 v[6:7], v[6:7], off
	v_mov_b32_e32 v3, s15
	v_add_co_u32_e32 v8, vcc, s14, v8
	v_addc_co_u32_e32 v9, vcc, v3, v9, vcc
	global_load_dwordx2 v[8:9], v[8:9], off
	v_lshrrev_b32_e32 v3, 2, v4
	v_and_b32_e32 v3, 0xffffffc, v3
	global_load_dword v13, v3, s[0:1]
	s_waitcnt vmcnt(2)
	v_lshlrev_b32_e32 v3, 16, v6
	v_mul_f32_e32 v3, v36, v3
	v_bfe_u32 v15, v3, 16, 1
	v_add3_u32 v15, v3, v15, s21
	v_and_b32_e32 v15, 0xffff0000, v15
	v_cmp_o_f32_e32 vcc, v3, v3
	s_waitcnt vmcnt(1)
	v_lshlrev_b32_e32 v14, 16, v8
	v_cndmask_b32_e32 v3, v12, v15, vcc
	v_mul_f32_e32 v3, v3, v14
	v_bfe_u32 v14, v3, 16, 1
	v_add3_u32 v14, v3, v14, s21
	v_and_b32_e32 v14, 0xffff0000, v14
	v_cmp_o_f32_e32 vcc, v3, v3
	v_cndmask_b32_e32 v14, v12, v14, vcc
	s_waitcnt vmcnt(0)
	v_div_scale_f32 v15, s[8:9], v13, v13, v14
	v_rcp_f32_e32 v16, v15
	v_div_scale_f32 v17, vcc, v14, v13, v14
	v_mov_b32_e32 v3, 0x7f
	v_fma_f32 v18, -v15, v16, 1.0
	v_fmac_f32_e32 v16, v18, v16
	v_mul_f32_e32 v18, v17, v16
	v_fma_f32 v19, -v15, v18, v17
	v_fmac_f32_e32 v18, v19, v16
	v_fma_f32 v15, -v15, v18, v17
	v_div_fmas_f32 v15, v15, v16, v18
	v_div_fixup_f32 v14, v15, v13, v14
	v_min_f32_e32 v14, 0x43e00000, v14
	v_max_f32_e32 v15, 0xc3e00000, v14
	v_and_b32_e32 v16, 0x7fffffff, v15
	v_cmp_gt_u32_e32 vcc, s22, v16
	v_mov_b32_e32 v14, 0x7f
	s_and_saveexec_b64 s[8:9], vcc
	s_cbranch_execz .LBB87_115
; %bb.110:                              ;   in Loop: Header=BB87_59 Depth=1
	v_cmp_lt_u32_e32 vcc, s23, v16
                                        ; implicit-def: $vgpr14
	s_and_saveexec_b64 s[10:11], vcc
	s_xor_b64 s[10:11], exec, s[10:11]
; %bb.111:                              ;   in Loop: Header=BB87_59 Depth=1
	v_bfe_u32 v14, v15, 20, 1
	v_add3_u32 v14, v15, v14, s24
	v_lshrrev_b32_e32 v14, 20, v14
; %bb.112:                              ;   in Loop: Header=BB87_59 Depth=1
	s_andn2_saveexec_b64 s[10:11], s[10:11]
; %bb.113:                              ;   in Loop: Header=BB87_59 Depth=1
	v_add_f32_e64 v14, |v15|, s25
; %bb.114:                              ;   in Loop: Header=BB87_59 Depth=1
	s_or_b64 exec, exec, s[10:11]
.LBB87_115:                             ;   in Loop: Header=BB87_59 Depth=1
	s_or_b64 exec, exec, s[8:9]
	v_and_b32_e32 v16, 0xffff0000, v6
	v_mul_f32_e32 v16, v36, v16
	v_bfe_u32 v18, v16, 16, 1
	v_add3_u32 v18, v16, v18, s21
	v_and_b32_e32 v18, 0xffff0000, v18
	v_cmp_o_f32_e32 vcc, v16, v16
	v_and_b32_e32 v17, 0xffff0000, v8
	v_cndmask_b32_e32 v16, v12, v18, vcc
	v_mul_f32_e32 v16, v16, v17
	v_bfe_u32 v17, v16, 16, 1
	v_add3_u32 v17, v16, v17, s21
	v_and_b32_e32 v17, 0xffff0000, v17
	v_cmp_o_f32_e32 vcc, v16, v16
	v_cndmask_b32_e32 v16, v12, v17, vcc
	v_div_scale_f32 v17, s[8:9], v13, v13, v16
	v_rcp_f32_e32 v18, v17
	v_fma_f32 v19, -v17, v18, 1.0
	v_fmac_f32_e32 v18, v19, v18
	v_div_scale_f32 v19, vcc, v16, v13, v16
	v_mul_f32_e32 v20, v19, v18
	v_fma_f32 v21, -v17, v20, v19
	v_fmac_f32_e32 v20, v21, v18
	v_fma_f32 v17, -v17, v20, v19
	v_div_fmas_f32 v17, v17, v18, v20
	v_div_fixup_f32 v16, v17, v13, v16
	v_min_f32_e32 v16, 0x43e00000, v16
	v_max_f32_e32 v16, 0xc3e00000, v16
	v_and_b32_e32 v17, 0x7fffffff, v16
	v_cmp_gt_u32_e32 vcc, s22, v17
	s_and_saveexec_b64 s[8:9], vcc
	s_cbranch_execz .LBB87_121
; %bb.116:                              ;   in Loop: Header=BB87_59 Depth=1
	v_cmp_lt_u32_e32 vcc, s23, v17
                                        ; implicit-def: $vgpr3
	s_and_saveexec_b64 s[10:11], vcc
	s_xor_b64 s[10:11], exec, s[10:11]
; %bb.117:                              ;   in Loop: Header=BB87_59 Depth=1
	v_bfe_u32 v3, v16, 20, 1
	v_add3_u32 v3, v16, v3, s24
	v_lshrrev_b32_e32 v3, 20, v3
; %bb.118:                              ;   in Loop: Header=BB87_59 Depth=1
	s_andn2_saveexec_b64 s[10:11], s[10:11]
; %bb.119:                              ;   in Loop: Header=BB87_59 Depth=1
	v_add_f32_e64 v3, |v16|, s25
; %bb.120:                              ;   in Loop: Header=BB87_59 Depth=1
	s_or_b64 exec, exec, s[10:11]
.LBB87_121:                             ;   in Loop: Header=BB87_59 Depth=1
	s_or_b64 exec, exec, s[8:9]
	v_alignbit_b32 v6, v7, v6, 16
	v_and_b32_e32 v6, 0xffff0000, v6
	v_mul_f32_e32 v6, v36, v6
	v_bfe_u32 v17, v6, 16, 1
	v_add3_u32 v17, v6, v17, s21
	v_and_b32_e32 v17, 0xffff0000, v17
	v_cmp_o_f32_e32 vcc, v6, v6
	v_alignbit_b32 v8, v9, v8, 16
	v_cndmask_b32_e32 v6, v12, v17, vcc
	v_and_b32_e32 v8, 0xffff0000, v8
	v_mul_f32_e32 v6, v6, v8
	v_bfe_u32 v8, v6, 16, 1
	v_add3_u32 v8, v6, v8, s21
	v_and_b32_e32 v8, 0xffff0000, v8
	v_cmp_o_f32_e32 vcc, v6, v6
	v_cndmask_b32_e32 v6, v12, v8, vcc
	v_div_scale_f32 v8, s[8:9], v13, v13, v6
	v_rcp_f32_e32 v17, v8
	v_fma_f32 v18, -v8, v17, 1.0
	v_fmac_f32_e32 v17, v18, v17
	v_div_scale_f32 v18, vcc, v6, v13, v6
	v_mul_f32_e32 v19, v18, v17
	v_fma_f32 v20, -v8, v19, v18
	v_fmac_f32_e32 v19, v20, v17
	v_fma_f32 v8, -v8, v19, v18
	v_div_fmas_f32 v8, v8, v17, v19
	v_div_fixup_f32 v6, v8, v13, v6
	v_min_f32_e32 v6, 0x43e00000, v6
	v_max_f32_e32 v17, 0xc3e00000, v6
	v_and_b32_e32 v18, 0x7fffffff, v17
	v_cmp_gt_u32_e32 vcc, s22, v18
	v_mov_b32_e32 v8, 0x7f
	v_mov_b32_e32 v6, 0x7f
	s_and_saveexec_b64 s[8:9], vcc
	s_cbranch_execz .LBB87_127
; %bb.122:                              ;   in Loop: Header=BB87_59 Depth=1
	v_cmp_lt_u32_e32 vcc, s23, v18
                                        ; implicit-def: $vgpr6
	s_and_saveexec_b64 s[10:11], vcc
	s_xor_b64 s[10:11], exec, s[10:11]
; %bb.123:                              ;   in Loop: Header=BB87_59 Depth=1
	v_bfe_u32 v6, v17, 20, 1
	v_add3_u32 v6, v17, v6, s24
	v_lshrrev_b32_e32 v6, 20, v6
; %bb.124:                              ;   in Loop: Header=BB87_59 Depth=1
	s_andn2_saveexec_b64 s[10:11], s[10:11]
; %bb.125:                              ;   in Loop: Header=BB87_59 Depth=1
	v_add_f32_e64 v6, |v17|, s25
; %bb.126:                              ;   in Loop: Header=BB87_59 Depth=1
	s_or_b64 exec, exec, s[10:11]
.LBB87_127:                             ;   in Loop: Header=BB87_59 Depth=1
	s_or_b64 exec, exec, s[8:9]
	v_and_b32_e32 v7, 0xffff0000, v7
	v_mul_f32_e32 v7, v36, v7
	v_bfe_u32 v18, v7, 16, 1
	v_add3_u32 v18, v7, v18, s21
	v_and_b32_e32 v18, 0xffff0000, v18
	v_cmp_o_f32_e32 vcc, v7, v7
	v_cndmask_b32_e32 v7, v12, v18, vcc
	v_and_b32_e32 v9, 0xffff0000, v9
	v_mul_f32_e32 v7, v7, v9
	v_bfe_u32 v9, v7, 16, 1
	v_add3_u32 v9, v7, v9, s21
	v_and_b32_e32 v9, 0xffff0000, v9
	v_cmp_o_f32_e32 vcc, v7, v7
	v_cndmask_b32_e32 v7, v12, v9, vcc
	v_div_scale_f32 v9, s[8:9], v13, v13, v7
	v_rcp_f32_e32 v18, v9
	v_fma_f32 v19, -v9, v18, 1.0
	v_fmac_f32_e32 v18, v19, v18
	v_div_scale_f32 v19, vcc, v7, v13, v7
	v_mul_f32_e32 v20, v19, v18
	v_fma_f32 v21, -v9, v20, v19
	v_fmac_f32_e32 v20, v21, v18
	v_fma_f32 v9, -v9, v20, v19
	v_div_fmas_f32 v9, v9, v18, v20
	v_div_fixup_f32 v7, v9, v13, v7
	v_min_f32_e32 v7, 0x43e00000, v7
	v_max_f32_e32 v7, 0xc3e00000, v7
	v_and_b32_e32 v9, 0x7fffffff, v7
	v_cmp_gt_u32_e32 vcc, s22, v9
	s_and_saveexec_b64 s[8:9], vcc
	s_cbranch_execz .LBB87_133
; %bb.128:                              ;   in Loop: Header=BB87_59 Depth=1
	v_cmp_lt_u32_e32 vcc, s23, v9
                                        ; implicit-def: $vgpr8
	s_and_saveexec_b64 s[10:11], vcc
	s_xor_b64 s[10:11], exec, s[10:11]
; %bb.129:                              ;   in Loop: Header=BB87_59 Depth=1
	v_bfe_u32 v8, v7, 20, 1
	v_add3_u32 v8, v7, v8, s24
	v_lshrrev_b32_e32 v8, 20, v8
; %bb.130:                              ;   in Loop: Header=BB87_59 Depth=1
	s_andn2_saveexec_b64 s[10:11], s[10:11]
; %bb.131:                              ;   in Loop: Header=BB87_59 Depth=1
	v_add_f32_e64 v8, |v7|, s25
; %bb.132:                              ;   in Loop: Header=BB87_59 Depth=1
	s_or_b64 exec, exec, s[10:11]
.LBB87_133:                             ;   in Loop: Header=BB87_59 Depth=1
	s_or_b64 exec, exec, s[8:9]
	v_and_b32_sdwa v9, v17, s26 dst_sel:DWORD dst_unused:UNUSED_PAD src0_sel:BYTE_3 src1_sel:DWORD
	v_and_or_b32 v6, v6, s27, v9
	v_and_b32_sdwa v13, v16, s26 dst_sel:DWORD dst_unused:UNUSED_PAD src0_sel:BYTE_3 src1_sel:DWORD
	v_lshlrev_b64 v[4:5], 2, v[4:5]
	v_lshlrev_b32_e32 v8, 24, v8
	v_and_b32_e32 v7, 0x80000000, v7
	v_lshlrev_b32_e32 v6, 16, v6
	v_lshrrev_b32_e32 v15, 24, v15
	v_mov_b32_e32 v16, s17
	v_add_co_u32_e32 v4, vcc, s16, v4
	v_or3_b32 v6, v7, v8, v6
	v_and_or_b32 v3, v3, s27, v13
	v_and_b32_e32 v7, 0xff, v14
	v_addc_co_u32_e32 v5, vcc, v16, v5, vcc
	v_lshlrev_b32_e32 v3, 8, v3
	v_and_or_b32 v7, v15, s26, v7
	v_add_u32_e32 v0, s19, v0
	v_or3_b32 v3, v6, v3, v7
	v_cmp_gt_u32_e32 vcc, s18, v0
	s_mov_b64 s[10:11], -1
	global_store_dword v[4:5], v3, off
	s_and_saveexec_b64 s[8:9], vcc
	s_cbranch_execz .LBB87_56
; %bb.134:                              ;   in Loop: Header=BB87_59 Depth=1
	v_lshlrev_b64 v[6:7], 3, v[0:1]
	v_mov_b32_e32 v3, s42
	v_add_co_u32_e32 v4, vcc, s33, v6
	v_addc_co_u32_e32 v5, vcc, v3, v7, vcc
	global_load_dwordx2 v[4:5], v[4:5], off
	v_mov_b32_e32 v3, s15
	v_add_co_u32_e32 v6, vcc, s14, v6
	v_addc_co_u32_e32 v7, vcc, v3, v7, vcc
	global_load_dwordx2 v[6:7], v[6:7], off
	v_lshrrev_b32_e32 v3, 2, v0
	v_and_b32_e32 v3, 0xffffffc, v3
	global_load_dword v8, v3, s[0:1]
	s_waitcnt vmcnt(2)
	v_lshlrev_b32_e32 v3, 16, v4
	v_mul_f32_e32 v3, v36, v3
	v_bfe_u32 v13, v3, 16, 1
	v_add3_u32 v13, v3, v13, s21
	v_and_b32_e32 v13, 0xffff0000, v13
	v_cmp_o_f32_e32 vcc, v3, v3
	s_waitcnt vmcnt(1)
	v_lshlrev_b32_e32 v9, 16, v6
	v_cndmask_b32_e32 v3, v12, v13, vcc
	v_mul_f32_e32 v3, v3, v9
	v_bfe_u32 v9, v3, 16, 1
	v_add3_u32 v9, v3, v9, s21
	v_and_b32_e32 v9, 0xffff0000, v9
	v_cmp_o_f32_e32 vcc, v3, v3
	v_cndmask_b32_e32 v9, v12, v9, vcc
	s_waitcnt vmcnt(0)
	v_div_scale_f32 v13, s[10:11], v8, v8, v9
	v_rcp_f32_e32 v14, v13
	v_div_scale_f32 v15, vcc, v9, v8, v9
	v_mov_b32_e32 v3, 0x7f
	v_fma_f32 v16, -v13, v14, 1.0
	v_fmac_f32_e32 v14, v16, v14
	v_mul_f32_e32 v16, v15, v14
	v_fma_f32 v17, -v13, v16, v15
	v_fmac_f32_e32 v16, v17, v14
	v_fma_f32 v13, -v13, v16, v15
	v_div_fmas_f32 v13, v13, v14, v16
	v_div_fixup_f32 v9, v13, v8, v9
	v_min_f32_e32 v9, 0x43e00000, v9
	v_max_f32_e32 v13, 0xc3e00000, v9
	v_and_b32_e32 v14, 0x7fffffff, v13
	v_cmp_gt_u32_e32 vcc, s22, v14
	v_mov_b32_e32 v9, 0x7f
	s_and_saveexec_b64 s[10:11], vcc
	s_cbranch_execz .LBB87_140
; %bb.135:                              ;   in Loop: Header=BB87_59 Depth=1
	v_cmp_lt_u32_e32 vcc, s23, v14
                                        ; implicit-def: $vgpr9
	s_and_saveexec_b64 s[12:13], vcc
	s_xor_b64 s[12:13], exec, s[12:13]
; %bb.136:                              ;   in Loop: Header=BB87_59 Depth=1
	v_bfe_u32 v9, v13, 20, 1
	v_add3_u32 v9, v13, v9, s24
	v_lshrrev_b32_e32 v9, 20, v9
; %bb.137:                              ;   in Loop: Header=BB87_59 Depth=1
	s_andn2_saveexec_b64 s[12:13], s[12:13]
; %bb.138:                              ;   in Loop: Header=BB87_59 Depth=1
	v_add_f32_e64 v9, |v13|, s25
; %bb.139:                              ;   in Loop: Header=BB87_59 Depth=1
	s_or_b64 exec, exec, s[12:13]
.LBB87_140:                             ;   in Loop: Header=BB87_59 Depth=1
	s_or_b64 exec, exec, s[10:11]
	v_and_b32_e32 v14, 0xffff0000, v4
	v_mul_f32_e32 v14, v36, v14
	v_bfe_u32 v16, v14, 16, 1
	v_add3_u32 v16, v14, v16, s21
	v_and_b32_e32 v16, 0xffff0000, v16
	v_cmp_o_f32_e32 vcc, v14, v14
	v_and_b32_e32 v15, 0xffff0000, v6
	v_cndmask_b32_e32 v14, v12, v16, vcc
	v_mul_f32_e32 v14, v14, v15
	v_bfe_u32 v15, v14, 16, 1
	v_add3_u32 v15, v14, v15, s21
	v_and_b32_e32 v15, 0xffff0000, v15
	v_cmp_o_f32_e32 vcc, v14, v14
	v_cndmask_b32_e32 v14, v12, v15, vcc
	v_div_scale_f32 v15, s[10:11], v8, v8, v14
	v_rcp_f32_e32 v16, v15
	v_fma_f32 v17, -v15, v16, 1.0
	v_fmac_f32_e32 v16, v17, v16
	v_div_scale_f32 v17, vcc, v14, v8, v14
	v_mul_f32_e32 v18, v17, v16
	v_fma_f32 v19, -v15, v18, v17
	v_fmac_f32_e32 v18, v19, v16
	v_fma_f32 v15, -v15, v18, v17
	v_div_fmas_f32 v15, v15, v16, v18
	v_div_fixup_f32 v14, v15, v8, v14
	v_min_f32_e32 v14, 0x43e00000, v14
	v_max_f32_e32 v14, 0xc3e00000, v14
	v_and_b32_e32 v15, 0x7fffffff, v14
	v_cmp_gt_u32_e32 vcc, s22, v15
	s_and_saveexec_b64 s[10:11], vcc
	s_cbranch_execz .LBB87_146
; %bb.141:                              ;   in Loop: Header=BB87_59 Depth=1
	v_cmp_lt_u32_e32 vcc, s23, v15
                                        ; implicit-def: $vgpr3
	s_and_saveexec_b64 s[12:13], vcc
	s_xor_b64 s[12:13], exec, s[12:13]
; %bb.142:                              ;   in Loop: Header=BB87_59 Depth=1
	v_bfe_u32 v3, v14, 20, 1
	v_add3_u32 v3, v14, v3, s24
	v_lshrrev_b32_e32 v3, 20, v3
; %bb.143:                              ;   in Loop: Header=BB87_59 Depth=1
	s_andn2_saveexec_b64 s[12:13], s[12:13]
; %bb.144:                              ;   in Loop: Header=BB87_59 Depth=1
	v_add_f32_e64 v3, |v14|, s25
; %bb.145:                              ;   in Loop: Header=BB87_59 Depth=1
	s_or_b64 exec, exec, s[12:13]
.LBB87_146:                             ;   in Loop: Header=BB87_59 Depth=1
	s_or_b64 exec, exec, s[10:11]
	v_alignbit_b32 v4, v5, v4, 16
	v_and_b32_e32 v4, 0xffff0000, v4
	v_mul_f32_e32 v4, v36, v4
	v_bfe_u32 v15, v4, 16, 1
	v_add3_u32 v15, v4, v15, s21
	v_and_b32_e32 v15, 0xffff0000, v15
	v_cmp_o_f32_e32 vcc, v4, v4
	v_alignbit_b32 v6, v7, v6, 16
	v_cndmask_b32_e32 v4, v12, v15, vcc
	v_and_b32_e32 v6, 0xffff0000, v6
	v_mul_f32_e32 v4, v4, v6
	v_bfe_u32 v6, v4, 16, 1
	v_add3_u32 v6, v4, v6, s21
	v_and_b32_e32 v6, 0xffff0000, v6
	v_cmp_o_f32_e32 vcc, v4, v4
	v_cndmask_b32_e32 v4, v12, v6, vcc
	v_div_scale_f32 v6, s[10:11], v8, v8, v4
	v_rcp_f32_e32 v15, v6
	v_fma_f32 v16, -v6, v15, 1.0
	v_fmac_f32_e32 v15, v16, v15
	v_div_scale_f32 v16, vcc, v4, v8, v4
	v_mul_f32_e32 v17, v16, v15
	v_fma_f32 v18, -v6, v17, v16
	v_fmac_f32_e32 v17, v18, v15
	v_fma_f32 v6, -v6, v17, v16
	v_div_fmas_f32 v6, v6, v15, v17
	v_div_fixup_f32 v4, v6, v8, v4
	v_min_f32_e32 v4, 0x43e00000, v4
	v_max_f32_e32 v15, 0xc3e00000, v4
	v_and_b32_e32 v16, 0x7fffffff, v15
	v_cmp_gt_u32_e32 vcc, s22, v16
	v_mov_b32_e32 v6, 0x7f
	v_mov_b32_e32 v4, 0x7f
	s_and_saveexec_b64 s[10:11], vcc
	s_cbranch_execz .LBB87_152
; %bb.147:                              ;   in Loop: Header=BB87_59 Depth=1
	v_cmp_lt_u32_e32 vcc, s23, v16
                                        ; implicit-def: $vgpr4
	s_and_saveexec_b64 s[12:13], vcc
	s_xor_b64 s[12:13], exec, s[12:13]
; %bb.148:                              ;   in Loop: Header=BB87_59 Depth=1
	v_bfe_u32 v4, v15, 20, 1
	v_add3_u32 v4, v15, v4, s24
	v_lshrrev_b32_e32 v4, 20, v4
; %bb.149:                              ;   in Loop: Header=BB87_59 Depth=1
	s_andn2_saveexec_b64 s[12:13], s[12:13]
; %bb.150:                              ;   in Loop: Header=BB87_59 Depth=1
	v_add_f32_e64 v4, |v15|, s25
; %bb.151:                              ;   in Loop: Header=BB87_59 Depth=1
	s_or_b64 exec, exec, s[12:13]
.LBB87_152:                             ;   in Loop: Header=BB87_59 Depth=1
	s_or_b64 exec, exec, s[10:11]
	v_and_b32_e32 v5, 0xffff0000, v5
	v_mul_f32_e32 v5, v36, v5
	v_bfe_u32 v16, v5, 16, 1
	v_add3_u32 v16, v5, v16, s21
	v_and_b32_e32 v16, 0xffff0000, v16
	v_cmp_o_f32_e32 vcc, v5, v5
	v_cndmask_b32_e32 v5, v12, v16, vcc
	v_and_b32_e32 v7, 0xffff0000, v7
	v_mul_f32_e32 v5, v5, v7
	v_bfe_u32 v7, v5, 16, 1
	v_add3_u32 v7, v5, v7, s21
	v_and_b32_e32 v7, 0xffff0000, v7
	v_cmp_o_f32_e32 vcc, v5, v5
	v_cndmask_b32_e32 v5, v12, v7, vcc
	v_div_scale_f32 v7, s[10:11], v8, v8, v5
	v_rcp_f32_e32 v16, v7
	v_fma_f32 v17, -v7, v16, 1.0
	v_fmac_f32_e32 v16, v17, v16
	v_div_scale_f32 v17, vcc, v5, v8, v5
	v_mul_f32_e32 v18, v17, v16
	v_fma_f32 v19, -v7, v18, v17
	v_fmac_f32_e32 v18, v19, v16
	v_fma_f32 v7, -v7, v18, v17
	v_div_fmas_f32 v7, v7, v16, v18
	v_div_fixup_f32 v5, v7, v8, v5
	v_min_f32_e32 v5, 0x43e00000, v5
	v_max_f32_e32 v5, 0xc3e00000, v5
	v_and_b32_e32 v7, 0x7fffffff, v5
	v_cmp_gt_u32_e32 vcc, s22, v7
	s_and_saveexec_b64 s[10:11], vcc
	s_cbranch_execz .LBB87_55
; %bb.153:                              ;   in Loop: Header=BB87_59 Depth=1
	v_cmp_lt_u32_e32 vcc, s23, v7
                                        ; implicit-def: $vgpr6
	s_and_saveexec_b64 s[12:13], vcc
	s_xor_b64 s[12:13], exec, s[12:13]
; %bb.154:                              ;   in Loop: Header=BB87_59 Depth=1
	v_bfe_u32 v6, v5, 20, 1
	v_add3_u32 v6, v5, v6, s24
	v_lshrrev_b32_e32 v6, 20, v6
; %bb.155:                              ;   in Loop: Header=BB87_59 Depth=1
	s_andn2_saveexec_b64 s[12:13], s[12:13]
	s_cbranch_execz .LBB87_54
; %bb.156:                              ;   in Loop: Header=BB87_59 Depth=1
	v_add_f32_e64 v6, |v5|, s25
	s_branch .LBB87_54
.LBB87_157:
	s_endpgm
	.section	.rodata,"a",@progbits
	.p2align	6, 0x0
	.amdhsa_kernel _ZN4vllm31rms_norm_per_block_quant_kernelIN3c108BFloat16ENS1_13Float8_e4m3fnELb0ELb0ELi64EEEvPT0_PfPKT_S9_PKffiiPS7_l
		.amdhsa_group_segment_fixed_size 4164
		.amdhsa_private_segment_fixed_size 0
		.amdhsa_kernarg_size 328
		.amdhsa_user_sgpr_count 6
		.amdhsa_user_sgpr_private_segment_buffer 1
		.amdhsa_user_sgpr_dispatch_ptr 0
		.amdhsa_user_sgpr_queue_ptr 0
		.amdhsa_user_sgpr_kernarg_segment_ptr 1
		.amdhsa_user_sgpr_dispatch_id 0
		.amdhsa_user_sgpr_flat_scratch_init 0
		.amdhsa_user_sgpr_kernarg_preload_length 0
		.amdhsa_user_sgpr_kernarg_preload_offset 0
		.amdhsa_user_sgpr_private_segment_size 0
		.amdhsa_uses_dynamic_stack 0
		.amdhsa_system_sgpr_private_segment_wavefront_offset 0
		.amdhsa_system_sgpr_workgroup_id_x 1
		.amdhsa_system_sgpr_workgroup_id_y 0
		.amdhsa_system_sgpr_workgroup_id_z 0
		.amdhsa_system_sgpr_workgroup_info 0
		.amdhsa_system_vgpr_workitem_id 0
		.amdhsa_next_free_vgpr 48
		.amdhsa_next_free_sgpr 44
		.amdhsa_accum_offset 48
		.amdhsa_reserve_vcc 1
		.amdhsa_reserve_flat_scratch 0
		.amdhsa_float_round_mode_32 0
		.amdhsa_float_round_mode_16_64 0
		.amdhsa_float_denorm_mode_32 3
		.amdhsa_float_denorm_mode_16_64 3
		.amdhsa_dx10_clamp 1
		.amdhsa_ieee_mode 1
		.amdhsa_fp16_overflow 0
		.amdhsa_tg_split 0
		.amdhsa_exception_fp_ieee_invalid_op 0
		.amdhsa_exception_fp_denorm_src 0
		.amdhsa_exception_fp_ieee_div_zero 0
		.amdhsa_exception_fp_ieee_overflow 0
		.amdhsa_exception_fp_ieee_underflow 0
		.amdhsa_exception_fp_ieee_inexact 0
		.amdhsa_exception_int_div_zero 0
	.end_amdhsa_kernel
	.section	.text._ZN4vllm31rms_norm_per_block_quant_kernelIN3c108BFloat16ENS1_13Float8_e4m3fnELb0ELb0ELi64EEEvPT0_PfPKT_S9_PKffiiPS7_l,"axG",@progbits,_ZN4vllm31rms_norm_per_block_quant_kernelIN3c108BFloat16ENS1_13Float8_e4m3fnELb0ELb0ELi64EEEvPT0_PfPKT_S9_PKffiiPS7_l,comdat
.Lfunc_end87:
	.size	_ZN4vllm31rms_norm_per_block_quant_kernelIN3c108BFloat16ENS1_13Float8_e4m3fnELb0ELb0ELi64EEEvPT0_PfPKT_S9_PKffiiPS7_l, .Lfunc_end87-_ZN4vllm31rms_norm_per_block_quant_kernelIN3c108BFloat16ENS1_13Float8_e4m3fnELb0ELb0ELi64EEEvPT0_PfPKT_S9_PKffiiPS7_l
                                        ; -- End function
	.section	.AMDGPU.csdata,"",@progbits
; Kernel info:
; codeLenInByte = 10660
; NumSgprs: 48
; NumVgprs: 48
; NumAgprs: 0
; TotalNumVgprs: 48
; ScratchSize: 0
; MemoryBound: 0
; FloatMode: 240
; IeeeMode: 1
; LDSByteSize: 4164 bytes/workgroup (compile time only)
; SGPRBlocks: 5
; VGPRBlocks: 5
; NumSGPRsForWavesPerEU: 48
; NumVGPRsForWavesPerEU: 48
; AccumOffset: 48
; Occupancy: 8
; WaveLimiterHint : 0
; COMPUTE_PGM_RSRC2:SCRATCH_EN: 0
; COMPUTE_PGM_RSRC2:USER_SGPR: 6
; COMPUTE_PGM_RSRC2:TRAP_HANDLER: 0
; COMPUTE_PGM_RSRC2:TGID_X_EN: 1
; COMPUTE_PGM_RSRC2:TGID_Y_EN: 0
; COMPUTE_PGM_RSRC2:TGID_Z_EN: 0
; COMPUTE_PGM_RSRC2:TIDIG_COMP_CNT: 0
; COMPUTE_PGM_RSRC3_GFX90A:ACCUM_OFFSET: 11
; COMPUTE_PGM_RSRC3_GFX90A:TG_SPLIT: 0
	.section	.text._ZN4vllm31rms_norm_per_block_quant_kernelIN3c108BFloat16ENS1_15Float8_e4m3fnuzELb0ELb0ELi64EEEvPT0_PfPKT_S9_PKffiiPS7_l,"axG",@progbits,_ZN4vllm31rms_norm_per_block_quant_kernelIN3c108BFloat16ENS1_15Float8_e4m3fnuzELb0ELb0ELi64EEEvPT0_PfPKT_S9_PKffiiPS7_l,comdat
	.protected	_ZN4vllm31rms_norm_per_block_quant_kernelIN3c108BFloat16ENS1_15Float8_e4m3fnuzELb0ELb0ELi64EEEvPT0_PfPKT_S9_PKffiiPS7_l ; -- Begin function _ZN4vllm31rms_norm_per_block_quant_kernelIN3c108BFloat16ENS1_15Float8_e4m3fnuzELb0ELb0ELi64EEEvPT0_PfPKT_S9_PKffiiPS7_l
	.globl	_ZN4vllm31rms_norm_per_block_quant_kernelIN3c108BFloat16ENS1_15Float8_e4m3fnuzELb0ELb0ELi64EEEvPT0_PfPKT_S9_PKffiiPS7_l
	.p2align	8
	.type	_ZN4vllm31rms_norm_per_block_quant_kernelIN3c108BFloat16ENS1_15Float8_e4m3fnuzELb0ELb0ELi64EEEvPT0_PfPKT_S9_PKffiiPS7_l,@function
_ZN4vllm31rms_norm_per_block_quant_kernelIN3c108BFloat16ENS1_15Float8_e4m3fnuzELb0ELb0ELi64EEEvPT0_PfPKT_S9_PKffiiPS7_l: ; @_ZN4vllm31rms_norm_per_block_quant_kernelIN3c108BFloat16ENS1_15Float8_e4m3fnuzELb0ELb0ELi64EEEvPT0_PfPKT_S9_PKffiiPS7_l
; %bb.0:
	s_load_dwordx4 s[16:19], s[4:5], 0x28
	s_load_dwordx8 s[8:15], s[4:5], 0x0
	v_mov_b32_e32 v1, 0
	s_waitcnt lgkmcnt(0)
	s_ashr_i32 s0, s18, 31
	s_mul_hi_u32 s1, s18, s6
	s_mul_i32 s0, s0, s6
	s_add_i32 s1, s1, s0
	s_mul_i32 s0, s18, s6
	s_lshl_b64 s[28:29], s[0:1], 1
	s_add_u32 s33, s12, s28
	s_addc_u32 s42, s13, s29
	s_ashr_i32 s18, s17, 2
	s_add_u32 s2, s4, 0x48
	s_mov_b32 s20, s17
	v_cmp_gt_u32_e64 s[0:1], s18, v0
	s_addc_u32 s3, s5, 0
	s_and_saveexec_b64 s[22:23], s[0:1]
	s_cbranch_execz .LBB88_10
; %bb.1:
	s_load_dword s7, s[2:3], 0x0
	v_mov_b32_e32 v3, 0
	v_mov_b32_e32 v9, s42
	;; [unrolled: 1-line block ×3, first 2 shown]
                                        ; implicit-def: $sgpr26_sgpr27
	s_waitcnt lgkmcnt(0)
	s_cmp_lt_u32 s6, s7
	s_cselect_b32 s7, 12, 18
	s_add_u32 s24, s2, s7
	s_addc_u32 s25, s3, 0
	global_load_ushort v8, v3, s[24:25]
	s_mov_b64 s[24:25], 0
	s_waitcnt vmcnt(0)
	v_add_u32_e32 v1, v8, v8
	v_mul_lo_u32 v10, v8, 3
	v_lshlrev_b32_e32 v11, 1, v8
	v_add_u32_e32 v12, v1, v8
	v_mov_b32_e32 v1, v3
	s_branch .LBB88_5
.LBB88_2:                               ;   in Loop: Header=BB88_5 Depth=1
	s_or_b64 exec, exec, s[36:37]
	s_orn2_b64 s[36:37], s[38:39], exec
.LBB88_3:                               ;   in Loop: Header=BB88_5 Depth=1
	s_or_b64 exec, exec, s[34:35]
	s_andn2_b64 s[26:27], s[26:27], exec
	s_and_b64 s[34:35], s[36:37], exec
	s_or_b64 s[26:27], s[26:27], s[34:35]
.LBB88_4:                               ;   in Loop: Header=BB88_5 Depth=1
	s_or_b64 exec, exec, s[30:31]
	s_and_b64 s[30:31], exec, s[26:27]
	s_or_b64 s[24:25], s[30:31], s[24:25]
	s_andn2_b64 exec, exec, s[24:25]
	s_cbranch_execz .LBB88_9
.LBB88_5:                               ; =>This Inner Loop Header: Depth=1
	v_lshlrev_b64 v[4:5], 3, v[2:3]
	v_add_co_u32_e32 v4, vcc, s33, v4
	v_addc_co_u32_e32 v5, vcc, v9, v5, vcc
	global_load_dwordx2 v[6:7], v[4:5], off
	v_add_u32_e32 v4, v2, v8
	v_cmp_gt_u32_e32 vcc, s18, v4
	s_or_b64 s[26:27], s[26:27], exec
	s_waitcnt vmcnt(0)
	v_lshlrev_b32_e32 v13, 16, v6
	v_and_b32_e32 v5, 0xffff0000, v6
	v_alignbit_b32 v6, v7, v6, 16
	v_fmac_f32_e32 v1, v13, v13
	v_and_b32_e32 v6, 0xffff0000, v6
	v_fmac_f32_e32 v1, v5, v5
	v_and_b32_e32 v7, 0xffff0000, v7
	v_fmac_f32_e32 v1, v6, v6
	v_fmac_f32_e32 v1, v7, v7
	s_and_saveexec_b64 s[30:31], vcc
	s_cbranch_execz .LBB88_4
; %bb.6:                                ;   in Loop: Header=BB88_5 Depth=1
	v_mov_b32_e32 v5, v3
	v_lshlrev_b64 v[6:7], 3, v[4:5]
	v_add_co_u32_e32 v6, vcc, s33, v6
	v_addc_co_u32_e32 v7, vcc, v9, v7, vcc
	global_load_dwordx2 v[14:15], v[6:7], off
	v_add_u32_e32 v6, v11, v2
	v_cmp_gt_u32_e32 vcc, s18, v6
	s_mov_b64 s[36:37], -1
	s_waitcnt vmcnt(0)
	v_lshlrev_b32_e32 v7, 16, v14
	v_and_b32_e32 v5, 0xffff0000, v14
	v_alignbit_b32 v13, v15, v14, 16
	v_fmac_f32_e32 v1, v7, v7
	v_and_b32_e32 v13, 0xffff0000, v13
	v_fmac_f32_e32 v1, v5, v5
	v_and_b32_e32 v14, 0xffff0000, v15
	v_fmac_f32_e32 v1, v13, v13
	v_fmac_f32_e32 v1, v14, v14
	s_and_saveexec_b64 s[34:35], vcc
	s_cbranch_execz .LBB88_3
; %bb.7:                                ;   in Loop: Header=BB88_5 Depth=1
	v_mov_b32_e32 v7, v3
	v_lshlrev_b64 v[6:7], 3, v[6:7]
	v_add_co_u32_e32 v6, vcc, s33, v6
	v_addc_co_u32_e32 v7, vcc, v9, v7, vcc
	global_load_dwordx2 v[6:7], v[6:7], off
	v_add_u32_e32 v2, v10, v2
	v_cmp_gt_u32_e32 vcc, s18, v2
	s_mov_b64 s[38:39], -1
	s_waitcnt vmcnt(0)
	v_lshlrev_b32_e32 v13, 16, v6
	v_and_b32_e32 v5, 0xffff0000, v6
	v_alignbit_b32 v6, v7, v6, 16
	v_fmac_f32_e32 v1, v13, v13
	v_and_b32_e32 v6, 0xffff0000, v6
	v_fmac_f32_e32 v1, v5, v5
	v_and_b32_e32 v7, 0xffff0000, v7
	v_fmac_f32_e32 v1, v6, v6
	v_fmac_f32_e32 v1, v7, v7
	s_and_saveexec_b64 s[36:37], vcc
	s_xor_b64 s[36:37], exec, s[36:37]
	s_cbranch_execz .LBB88_2
; %bb.8:                                ;   in Loop: Header=BB88_5 Depth=1
	v_lshlrev_b64 v[6:7], 3, v[2:3]
	v_add_co_u32_e32 v6, vcc, s33, v6
	v_addc_co_u32_e32 v7, vcc, v9, v7, vcc
	global_load_dwordx2 v[6:7], v[6:7], off
	v_add_u32_e32 v2, v12, v4
	v_cmp_le_u32_e32 vcc, s18, v2
	s_orn2_b64 s[38:39], vcc, exec
	s_waitcnt vmcnt(0)
	v_lshlrev_b32_e32 v5, 16, v6
	v_and_b32_e32 v4, 0xffff0000, v6
	v_alignbit_b32 v6, v7, v6, 16
	v_fmac_f32_e32 v1, v5, v5
	v_and_b32_e32 v6, 0xffff0000, v6
	v_fmac_f32_e32 v1, v4, v4
	v_and_b32_e32 v7, 0xffff0000, v7
	v_fmac_f32_e32 v1, v6, v6
	v_fmac_f32_e32 v1, v7, v7
	s_branch .LBB88_2
.LBB88_9:
	s_or_b64 exec, exec, s[24:25]
.LBB88_10:
	s_or_b64 exec, exec, s[22:23]
	v_mbcnt_lo_u32_b32 v2, -1, 0
	v_mbcnt_hi_u32_b32 v2, -1, v2
	v_and_b32_e32 v3, 63, v2
	v_cmp_ne_u32_e32 vcc, 63, v3
	s_load_dword s2, s[2:3], 0xc
	v_addc_co_u32_e32 v4, vcc, 0, v2, vcc
	v_lshlrev_b32_e32 v4, 2, v4
	ds_bpermute_b32 v4, v4, v1
	s_waitcnt lgkmcnt(0)
	s_and_b32 s43, s2, 0xffff
	v_and_b32_e32 v5, 0x3c0, v0
	v_sub_u32_e64 v5, s43, v5 clamp
	v_add_u32_e32 v6, 1, v2
	v_add_f32_e32 v4, v1, v4
	v_cmp_lt_u32_e32 vcc, v6, v5
	v_cndmask_b32_e32 v1, v1, v4, vcc
	v_cmp_gt_u32_e32 vcc, 62, v3
	v_cndmask_b32_e64 v4, 0, 1, vcc
	v_lshlrev_b32_e32 v4, 1, v4
	v_add_lshl_u32 v4, v4, v2, 2
	ds_bpermute_b32 v4, v4, v1
	v_add_u32_e32 v6, 2, v2
	v_cmp_lt_u32_e32 vcc, v6, v5
	v_add_u32_e32 v6, 4, v2
	s_waitcnt lgkmcnt(0)
	v_add_f32_e32 v4, v1, v4
	v_cndmask_b32_e32 v1, v1, v4, vcc
	v_cmp_gt_u32_e32 vcc, 60, v3
	v_cndmask_b32_e64 v4, 0, 1, vcc
	v_lshlrev_b32_e32 v4, 2, v4
	v_add_lshl_u32 v4, v4, v2, 2
	ds_bpermute_b32 v4, v4, v1
	v_cmp_lt_u32_e32 vcc, v6, v5
	v_add_u32_e32 v6, 8, v2
	s_waitcnt lgkmcnt(0)
	v_add_f32_e32 v4, v1, v4
	v_cndmask_b32_e32 v1, v1, v4, vcc
	v_cmp_gt_u32_e32 vcc, 56, v3
	v_cndmask_b32_e64 v4, 0, 1, vcc
	v_lshlrev_b32_e32 v4, 3, v4
	v_add_lshl_u32 v4, v4, v2, 2
	ds_bpermute_b32 v4, v4, v1
	;; [unrolled: 10-line block ×3, first 2 shown]
	v_cmp_lt_u32_e32 vcc, v6, v5
	s_waitcnt lgkmcnt(0)
	v_add_f32_e32 v4, v1, v4
	v_cndmask_b32_e32 v1, v1, v4, vcc
	v_cmp_gt_u32_e32 vcc, 32, v3
	v_cndmask_b32_e64 v3, 0, 1, vcc
	v_lshlrev_b32_e32 v3, 5, v3
	v_add_lshl_u32 v3, v3, v2, 2
	ds_bpermute_b32 v3, v3, v1
	v_add_u32_e32 v4, 32, v2
	v_cmp_lt_u32_e32 vcc, v4, v5
	s_waitcnt lgkmcnt(0)
	v_add_f32_e32 v3, v1, v3
	v_cndmask_b32_e32 v1, v1, v3, vcc
	v_cmp_eq_u32_e32 vcc, 0, v2
	s_and_saveexec_b64 s[2:3], vcc
	s_cbranch_execz .LBB88_12
; %bb.11:
	v_lshrrev_b32_e32 v3, 4, v0
	v_and_b32_e32 v3, 60, v3
	ds_write_b32 v3, v1 offset:4096
.LBB88_12:
	s_or_b64 exec, exec, s[2:3]
	v_cmp_gt_u32_e32 vcc, 16, v0
	s_waitcnt lgkmcnt(0)
	s_barrier
	s_and_saveexec_b64 s[22:23], vcc
	s_cbranch_execz .LBB88_14
; %bb.13:
	v_lshlrev_b32_e32 v1, 2, v2
	ds_read_b32 v1, v1 offset:4096
	v_and_b32_e32 v3, 15, v2
	v_cmp_ne_u32_e32 vcc, 15, v3
	v_addc_co_u32_e32 v4, vcc, 0, v2, vcc
	v_lshlrev_b32_e32 v4, 2, v4
	s_waitcnt lgkmcnt(0)
	ds_bpermute_b32 v4, v4, v1
	s_add_i32 s2, s43, 63
	s_lshr_b32 s7, s2, 6
	v_add_u32_e32 v5, 1, v3
	v_cmp_gt_u32_e64 s[2:3], 14, v3
	v_cmp_gt_u32_e32 vcc, s7, v5
	v_cndmask_b32_e64 v5, 0, 1, s[2:3]
	s_waitcnt lgkmcnt(0)
	v_add_f32_e32 v4, v1, v4
	v_lshlrev_b32_e32 v5, 1, v5
	v_cndmask_b32_e32 v4, v1, v4, vcc
	v_add_lshl_u32 v5, v5, v2, 2
	ds_bpermute_b32 v5, v5, v4
	v_add_u32_e32 v6, 2, v3
	v_cmp_gt_u32_e64 s[2:3], s7, v6
	v_add_u32_e32 v6, 4, v3
	s_waitcnt lgkmcnt(0)
	v_add_f32_e32 v5, v4, v5
	v_cndmask_b32_e64 v4, v4, v5, s[2:3]
	v_cmp_gt_u32_e64 s[2:3], 12, v3
	v_cndmask_b32_e64 v5, 0, 1, s[2:3]
	v_lshlrev_b32_e32 v5, 2, v5
	v_add_lshl_u32 v5, v5, v2, 2
	ds_bpermute_b32 v5, v5, v4
	v_cmp_gt_u32_e64 s[2:3], s7, v6
	s_waitcnt lgkmcnt(0)
	v_add_f32_e32 v5, v4, v5
	v_cndmask_b32_e64 v4, v4, v5, s[2:3]
	v_cmp_gt_u32_e64 s[2:3], 8, v3
	v_cndmask_b32_e64 v5, 0, 1, s[2:3]
	v_lshlrev_b32_e32 v5, 3, v5
	v_add_lshl_u32 v2, v5, v2, 2
	ds_bpermute_b32 v2, v2, v4
	v_add_u32_e32 v3, 8, v3
	v_cmp_gt_u32_e64 s[2:3], s7, v3
	s_waitcnt lgkmcnt(0)
	v_add_f32_e32 v2, v4, v2
	v_cndmask_b32_e64 v2, v4, v2, s[2:3]
	v_cndmask_b32_e32 v1, v1, v2, vcc
.LBB88_14:
	s_or_b64 exec, exec, s[22:23]
	v_cmp_eq_u32_e32 vcc, 0, v0
	s_and_saveexec_b64 s[2:3], vcc
	s_cbranch_execz .LBB88_16
; %bb.15:
	v_cvt_f32_i32_e32 v2, s17
	s_mov_b32 s7, 0x800000
	v_div_scale_f32 v3, s[22:23], v2, v2, v1
	v_rcp_f32_e32 v4, v3
	v_div_scale_f32 v5, vcc, v1, v2, v1
	v_fma_f32 v6, -v3, v4, 1.0
	v_fmac_f32_e32 v4, v6, v4
	v_mul_f32_e32 v6, v5, v4
	v_fma_f32 v7, -v3, v6, v5
	v_fmac_f32_e32 v6, v7, v4
	v_fma_f32 v3, -v3, v6, v5
	v_div_fmas_f32 v3, v3, v4, v6
	v_div_fixup_f32 v1, v3, v2, v1
	v_add_f32_e32 v1, s16, v1
	v_mul_f32_e32 v2, 0x4b800000, v1
	v_cmp_gt_f32_e32 vcc, s7, v1
	v_cndmask_b32_e32 v1, v1, v2, vcc
	v_rsq_f32_e32 v1, v1
	v_mul_f32_e32 v2, 0x45800000, v1
	v_cndmask_b32_e32 v1, v1, v2, vcc
	v_mov_b32_e32 v2, 0
	ds_write_b32 v2, v1 offset:4160
.LBB88_16:
	s_or_b64 exec, exec, s[2:3]
	s_ashr_i32 s21, s17, 31
	s_lshr_b32 s2, s21, 26
	s_add_i32 s2, s17, s2
	s_ashr_i32 s22, s2, 6
	s_abs_i32 s3, s22
	v_cvt_f32_u32_e32 v1, s3
	s_sub_i32 s7, 0, s3
	s_ashr_i32 s2, s2, 31
	v_mov_b32_e32 v5, 0
	v_rcp_iflag_f32_e32 v1, v1
	s_waitcnt lgkmcnt(0)
	s_barrier
	v_mul_f32_e32 v1, 0x4f7ffffe, v1
	v_cvt_u32_f32_e32 v1, v1
	ds_read_b32 v36, v5 offset:4160
	v_readfirstlane_b32 s16, v1
	s_mul_i32 s7, s7, s16
	s_mul_hi_u32 s7, s16, s7
	s_add_i32 s16, s16, s7
	s_mul_hi_u32 s7, s43, s16
	s_mul_i32 s16, s7, s3
	s_sub_i32 s16, s43, s16
	s_add_i32 s19, s7, 1
	s_sub_i32 s23, s16, s3
	s_cmp_ge_u32 s16, s3
	s_cselect_b32 s7, s19, s7
	s_cselect_b32 s16, s23, s16
	s_add_i32 s19, s7, 1
	s_cmp_ge_u32 s16, s3
	s_cselect_b32 s3, s19, s7
	s_xor_b32 s3, s3, s2
	s_sub_i32 s24, s3, s2
	s_abs_i32 s2, s24
	v_cvt_f32_u32_e32 v1, s2
	s_sub_i32 s3, 0, s2
	s_ashr_i32 s25, s24, 31
	s_ashr_i32 s19, s18, 31
	v_rcp_iflag_f32_e32 v1, v1
	v_mul_f32_e32 v1, 0x4f7ffffe, v1
	v_cvt_u32_f32_e32 v1, v1
	v_mul_lo_u32 v2, s3, v1
	v_mul_hi_u32 v2, v1, v2
	v_add_u32_e32 v1, v1, v2
	v_mul_hi_u32 v1, v0, v1
	v_mul_lo_u32 v2, v1, s2
	v_sub_u32_e32 v2, v0, v2
	v_add_u32_e32 v3, 1, v1
	v_cmp_le_u32_e32 vcc, s2, v2
	v_cndmask_b32_e32 v1, v1, v3, vcc
	v_subrev_u32_e32 v3, s2, v2
	v_cndmask_b32_e32 v2, v2, v3, vcc
	v_add_u32_e32 v3, 1, v1
	v_cmp_le_u32_e32 vcc, s2, v2
	v_cndmask_b32_e32 v1, v1, v3, vcc
	v_xor_b32_e32 v1, s25, v1
	v_subrev_u32_e32 v2, s25, v1
	v_mul_lo_u32 v1, v2, s24
	v_ashrrev_i32_e32 v3, 31, v2
	v_sub_u32_e32 v4, v0, v1
	v_lshlrev_b64 v[8:9], 4, v[2:3]
	v_add_co_u32_e32 v6, vcc, v8, v4
	v_addc_co_u32_e32 v7, vcc, 0, v9, vcc
	v_add_co_u32_e32 v8, vcc, 16, v8
	v_addc_co_u32_e32 v9, vcc, 0, v9, vcc
	v_mov_b32_e32 v1, s19
	v_cmp_gt_i64_e32 vcc, s[18:19], v[8:9]
	v_cndmask_b32_e32 v9, v1, v9, vcc
	v_mov_b32_e32 v1, s18
	v_cndmask_b32_e32 v8, v1, v8, vcc
	v_ashrrev_i32_e32 v11, 31, v8
	v_mov_b32_e32 v10, v8
	v_cmp_lt_i64_e32 vcc, v[6:7], v[10:11]
	s_and_saveexec_b64 s[26:27], vcc
	s_cbranch_execz .LBB88_26
; %bb.17:
	v_lshlrev_b64 v[28:29], 7, v[2:3]
	s_mul_i32 s16, s24, 24
	v_lshlrev_b64 v[12:13], 3, v[4:5]
	v_mov_b32_e32 v1, s29
	v_add_co_u32_e32 v5, vcc, s28, v28
	s_mul_hi_i32 s7, s24, 24
	s_add_u32 s2, s12, s16
	v_addc_co_u32_e32 v19, vcc, v1, v29, vcc
	s_addc_u32 s3, s13, s7
	v_mov_b32_e32 v1, s3
	v_add_co_u32_e32 v14, vcc, s2, v5
	s_lshl_b64 s[28:29], s[24:25], 5
	s_lshl_b64 s[2:3], s[24:25], 4
	s_add_u32 s19, s12, s2
	v_addc_co_u32_e32 v1, vcc, v1, v19, vcc
	s_addc_u32 s23, s13, s3
	s_lshl_b64 s[30:31], s[24:25], 3
	v_mov_b32_e32 v15, s23
	v_add_co_u32_e32 v16, vcc, s19, v5
	s_add_u32 s19, s12, s30
	v_addc_co_u32_e32 v15, vcc, v15, v19, vcc
	s_addc_u32 s23, s13, s31
	v_mov_b32_e32 v17, s23
	v_add_co_u32_e32 v18, vcc, s19, v5
	v_addc_co_u32_e32 v17, vcc, v17, v19, vcc
	v_mov_b32_e32 v21, s13
	v_add_co_u32_e32 v20, vcc, s12, v5
	s_add_u32 s12, s14, s16
	v_addc_co_u32_e32 v19, vcc, v21, v19, vcc
	s_addc_u32 s7, s15, s7
	v_mov_b32_e32 v5, s7
	v_add_co_u32_e32 v22, vcc, s12, v28
	s_add_u32 s2, s14, s2
	v_addc_co_u32_e32 v21, vcc, v5, v29, vcc
	s_addc_u32 s3, s15, s3
	;; [unrolled: 5-line block ×3, first 2 shown]
	v_mov_b32_e32 v5, s3
	v_add_co_u32_e32 v26, vcc, s2, v28
	v_addc_co_u32_e32 v25, vcc, v5, v29, vcc
	v_mov_b32_e32 v5, s15
	v_add_co_u32_e32 v28, vcc, s14, v28
	v_addc_co_u32_e32 v27, vcc, v5, v29, vcc
	s_mul_hi_i32 s7, s24, 3
	s_mul_i32 s16, s24, 3
	s_lshl_b64 s[30:31], s[24:25], 1
	s_mov_b64 s[12:13], 0
	v_mov_b32_e32 v5, 0
	s_movk_i32 s19, 0x7fff
	v_mov_b32_e32 v29, 0x7fc00000
	v_mov_b32_e32 v34, s25
	v_pk_mov_b32 v[30:31], v[6:7], v[6:7] op_sel:[0,1]
                                        ; implicit-def: $sgpr34_sgpr35
	s_branch .LBB88_21
.LBB88_18:                              ;   in Loop: Header=BB88_21 Depth=1
	s_or_b64 exec, exec, s[2:3]
	s_orn2_b64 s[2:3], s[40:41], exec
.LBB88_19:                              ;   in Loop: Header=BB88_21 Depth=1
	s_or_b64 exec, exec, s[38:39]
	s_andn2_b64 s[34:35], s[34:35], exec
	s_and_b64 s[2:3], s[2:3], exec
	s_or_b64 s[34:35], s[34:35], s[2:3]
.LBB88_20:                              ;   in Loop: Header=BB88_21 Depth=1
	s_or_b64 exec, exec, s[36:37]
	s_and_b64 s[2:3], exec, s[34:35]
	s_or_b64 s[12:13], s[2:3], s[12:13]
	s_andn2_b64 exec, exec, s[12:13]
	s_cbranch_execz .LBB88_25
.LBB88_21:                              ; =>This Inner Loop Header: Depth=1
	v_add_co_u32_e32 v32, vcc, v20, v12
	v_addc_co_u32_e32 v33, vcc, v19, v13, vcc
	global_load_dwordx2 v[38:39], v[32:33], off
	v_add_co_u32_e32 v32, vcc, v28, v12
	v_addc_co_u32_e32 v33, vcc, v27, v13, vcc
	global_load_dwordx2 v[40:41], v[32:33], off
	v_add_co_u32_e32 v32, vcc, s24, v30
	v_addc_co_u32_e32 v33, vcc, v31, v34, vcc
	v_cmp_lt_i64_e32 vcc, v[32:33], v[10:11]
	s_or_b64 s[34:35], s[34:35], exec
	s_waitcnt vmcnt(1)
	v_lshlrev_b32_e32 v42, 16, v38
	v_and_b32_e32 v35, 0xffff0000, v38
	s_waitcnt lgkmcnt(0)
	v_mul_f32_e32 v42, v36, v42
	v_alignbit_b32 v38, v39, v38, 16
	v_and_b32_e32 v39, 0xffff0000, v39
	v_mul_f32_e32 v35, v36, v35
	v_bfe_u32 v44, v42, 16, 1
	v_mul_f32_e32 v39, v36, v39
	v_bfe_u32 v45, v35, 16, 1
	v_add3_u32 v44, v42, v44, s19
	v_and_b32_e32 v38, 0xffff0000, v38
	v_bfe_u32 v46, v39, 16, 1
	v_add3_u32 v45, v35, v45, s19
	v_and_b32_e32 v44, 0xffff0000, v44
	v_cmp_o_f32_e64 s[2:3], v42, v42
	v_mul_f32_e32 v38, v36, v38
	v_add3_u32 v46, v39, v46, s19
	v_and_b32_e32 v45, 0xffff0000, v45
	v_cndmask_b32_e64 v42, v29, v44, s[2:3]
	v_cmp_o_f32_e64 s[2:3], v35, v35
	s_waitcnt vmcnt(0)
	v_lshlrev_b32_e32 v43, 16, v40
	v_bfe_u32 v47, v38, 16, 1
	v_and_b32_e32 v46, 0xffff0000, v46
	v_cndmask_b32_e64 v35, v29, v45, s[2:3]
	v_cmp_o_f32_e64 s[2:3], v39, v39
	v_and_b32_e32 v37, 0xffff0000, v40
	v_alignbit_b32 v40, v41, v40, 16
	v_and_b32_e32 v41, 0xffff0000, v41
	v_add3_u32 v47, v38, v47, s19
	v_cndmask_b32_e64 v39, v29, v46, s[2:3]
	v_mul_f32_e32 v42, v42, v43
	v_and_b32_e32 v44, 0xffff0000, v47
	v_mul_f32_e32 v35, v35, v37
	v_cmp_o_f32_e64 s[2:3], v38, v38
	v_mul_f32_e32 v38, v39, v41
	v_bfe_u32 v39, v42, 16, 1
	v_and_b32_e32 v40, 0xffff0000, v40
	v_cndmask_b32_e64 v37, v29, v44, s[2:3]
	v_bfe_u32 v41, v35, 16, 1
	v_add3_u32 v39, v42, v39, s19
	v_mul_f32_e32 v37, v37, v40
	v_bfe_u32 v40, v38, 16, 1
	v_add3_u32 v41, v35, v41, s19
	v_and_b32_e32 v39, 0xffff0000, v39
	v_cmp_o_f32_e64 s[2:3], v42, v42
	v_bfe_u32 v43, v37, 16, 1
	v_add3_u32 v40, v38, v40, s19
	v_and_b32_e32 v41, 0xffff0000, v41
	v_cndmask_b32_e64 v39, v29, |v39|, s[2:3]
	v_cmp_o_f32_e64 s[2:3], v35, v35
	v_add3_u32 v43, v37, v43, s19
	v_and_b32_e32 v40, 0xffff0000, v40
	v_cndmask_b32_e64 v35, v29, |v41|, s[2:3]
	v_cmp_o_f32_e64 s[2:3], v38, v38
	v_and_b32_e32 v41, 0xffff0000, v43
	v_cndmask_b32_e64 v38, v29, |v40|, s[2:3]
	v_cmp_o_f32_e64 s[2:3], v37, v37
	v_max3_f32 v5, v5, v39, v35
	v_cndmask_b32_e64 v35, v29, |v41|, s[2:3]
	v_max3_f32 v5, v5, v35, v38
	s_and_saveexec_b64 s[36:37], vcc
	s_cbranch_execz .LBB88_20
; %bb.22:                               ;   in Loop: Header=BB88_21 Depth=1
	v_add_co_u32_e32 v38, vcc, v18, v12
	v_addc_co_u32_e32 v39, vcc, v17, v13, vcc
	global_load_dwordx2 v[38:39], v[38:39], off
	v_add_co_u32_e32 v40, vcc, v26, v12
	v_addc_co_u32_e32 v41, vcc, v25, v13, vcc
	global_load_dwordx2 v[40:41], v[40:41], off
	v_mov_b32_e32 v35, s31
	v_add_co_u32_e32 v42, vcc, s30, v30
	v_addc_co_u32_e32 v43, vcc, v35, v31, vcc
	v_cmp_lt_i64_e32 vcc, v[42:43], v[10:11]
	s_waitcnt vmcnt(1)
	v_lshlrev_b32_e32 v42, 16, v38
	v_and_b32_e32 v35, 0xffff0000, v38
	v_mul_f32_e32 v42, v36, v42
	v_alignbit_b32 v38, v39, v38, 16
	v_and_b32_e32 v39, 0xffff0000, v39
	v_mul_f32_e32 v35, v36, v35
	v_bfe_u32 v44, v42, 16, 1
	v_mul_f32_e32 v39, v36, v39
	v_bfe_u32 v45, v35, 16, 1
	v_add3_u32 v44, v42, v44, s19
	v_and_b32_e32 v38, 0xffff0000, v38
	v_bfe_u32 v46, v39, 16, 1
	v_add3_u32 v45, v35, v45, s19
	v_and_b32_e32 v44, 0xffff0000, v44
	v_cmp_o_f32_e64 s[2:3], v42, v42
	v_mul_f32_e32 v38, v36, v38
	v_add3_u32 v46, v39, v46, s19
	v_and_b32_e32 v45, 0xffff0000, v45
	v_cndmask_b32_e64 v42, v29, v44, s[2:3]
	v_cmp_o_f32_e64 s[2:3], v35, v35
	s_waitcnt vmcnt(0)
	v_lshlrev_b32_e32 v43, 16, v40
	v_bfe_u32 v47, v38, 16, 1
	v_and_b32_e32 v46, 0xffff0000, v46
	v_cndmask_b32_e64 v35, v29, v45, s[2:3]
	v_cmp_o_f32_e64 s[2:3], v39, v39
	v_and_b32_e32 v37, 0xffff0000, v40
	v_alignbit_b32 v40, v41, v40, 16
	v_and_b32_e32 v41, 0xffff0000, v41
	v_add3_u32 v47, v38, v47, s19
	v_cndmask_b32_e64 v39, v29, v46, s[2:3]
	v_mul_f32_e32 v42, v42, v43
	v_and_b32_e32 v44, 0xffff0000, v47
	v_mul_f32_e32 v35, v35, v37
	v_cmp_o_f32_e64 s[2:3], v38, v38
	v_mul_f32_e32 v38, v39, v41
	v_bfe_u32 v39, v42, 16, 1
	v_and_b32_e32 v40, 0xffff0000, v40
	v_cndmask_b32_e64 v37, v29, v44, s[2:3]
	v_bfe_u32 v41, v35, 16, 1
	v_add3_u32 v39, v42, v39, s19
	v_mul_f32_e32 v37, v37, v40
	v_bfe_u32 v40, v38, 16, 1
	v_add3_u32 v41, v35, v41, s19
	v_and_b32_e32 v39, 0xffff0000, v39
	v_cmp_o_f32_e64 s[2:3], v42, v42
	v_bfe_u32 v43, v37, 16, 1
	v_add3_u32 v40, v38, v40, s19
	v_and_b32_e32 v41, 0xffff0000, v41
	v_cndmask_b32_e64 v39, v29, |v39|, s[2:3]
	v_cmp_o_f32_e64 s[2:3], v35, v35
	v_add3_u32 v43, v37, v43, s19
	v_and_b32_e32 v40, 0xffff0000, v40
	v_cndmask_b32_e64 v35, v29, |v41|, s[2:3]
	v_cmp_o_f32_e64 s[2:3], v38, v38
	v_and_b32_e32 v41, 0xffff0000, v43
	v_cndmask_b32_e64 v38, v29, |v40|, s[2:3]
	v_cmp_o_f32_e64 s[2:3], v37, v37
	v_max3_f32 v5, v5, v39, v35
	v_cndmask_b32_e64 v35, v29, |v41|, s[2:3]
	v_max3_f32 v5, v5, v35, v38
	s_mov_b64 s[2:3], -1
	s_and_saveexec_b64 s[38:39], vcc
	s_cbranch_execz .LBB88_19
; %bb.23:                               ;   in Loop: Header=BB88_21 Depth=1
	v_add_co_u32_e32 v38, vcc, v16, v12
	v_addc_co_u32_e32 v39, vcc, v15, v13, vcc
	global_load_dwordx2 v[38:39], v[38:39], off
	v_add_co_u32_e32 v40, vcc, v24, v12
	v_addc_co_u32_e32 v41, vcc, v23, v13, vcc
	global_load_dwordx2 v[40:41], v[40:41], off
	v_mov_b32_e32 v35, s7
	v_add_co_u32_e32 v30, vcc, s16, v30
	v_addc_co_u32_e32 v31, vcc, v35, v31, vcc
	v_cmp_lt_i64_e32 vcc, v[30:31], v[10:11]
	s_mov_b64 s[40:41], -1
	s_waitcnt vmcnt(1)
	v_lshlrev_b32_e32 v35, 16, v38
	v_and_b32_e32 v30, 0xffff0000, v38
	v_mul_f32_e32 v35, v36, v35
	v_alignbit_b32 v37, v39, v38, 16
	v_and_b32_e32 v38, 0xffff0000, v39
	v_mul_f32_e32 v30, v36, v30
	v_bfe_u32 v42, v35, 16, 1
	v_mul_f32_e32 v38, v36, v38
	v_bfe_u32 v43, v30, 16, 1
	v_add3_u32 v42, v35, v42, s19
	v_and_b32_e32 v37, 0xffff0000, v37
	v_bfe_u32 v44, v38, 16, 1
	v_add3_u32 v43, v30, v43, s19
	v_and_b32_e32 v42, 0xffff0000, v42
	v_cmp_o_f32_e64 s[2:3], v35, v35
	v_mul_f32_e32 v37, v36, v37
	v_add3_u32 v44, v38, v44, s19
	v_and_b32_e32 v43, 0xffff0000, v43
	v_cndmask_b32_e64 v35, v29, v42, s[2:3]
	v_cmp_o_f32_e64 s[2:3], v30, v30
	s_waitcnt vmcnt(0)
	v_lshlrev_b32_e32 v39, 16, v40
	v_bfe_u32 v45, v37, 16, 1
	v_and_b32_e32 v44, 0xffff0000, v44
	v_cndmask_b32_e64 v30, v29, v43, s[2:3]
	v_cmp_o_f32_e64 s[2:3], v38, v38
	v_and_b32_e32 v31, 0xffff0000, v40
	v_alignbit_b32 v40, v41, v40, 16
	v_and_b32_e32 v41, 0xffff0000, v41
	v_add3_u32 v45, v37, v45, s19
	v_cndmask_b32_e64 v38, v29, v44, s[2:3]
	v_mul_f32_e32 v35, v35, v39
	v_and_b32_e32 v42, 0xffff0000, v45
	v_mul_f32_e32 v30, v30, v31
	v_cmp_o_f32_e64 s[2:3], v37, v37
	v_mul_f32_e32 v37, v38, v41
	v_bfe_u32 v38, v35, 16, 1
	v_and_b32_e32 v40, 0xffff0000, v40
	v_cndmask_b32_e64 v31, v29, v42, s[2:3]
	v_bfe_u32 v39, v30, 16, 1
	v_add3_u32 v38, v35, v38, s19
	v_mul_f32_e32 v31, v31, v40
	v_bfe_u32 v40, v37, 16, 1
	v_add3_u32 v39, v30, v39, s19
	v_and_b32_e32 v38, 0xffff0000, v38
	v_cmp_o_f32_e64 s[2:3], v35, v35
	v_bfe_u32 v41, v31, 16, 1
	v_add3_u32 v40, v37, v40, s19
	v_and_b32_e32 v39, 0xffff0000, v39
	v_cndmask_b32_e64 v35, v29, |v38|, s[2:3]
	v_cmp_o_f32_e64 s[2:3], v30, v30
	v_add3_u32 v41, v31, v41, s19
	v_and_b32_e32 v40, 0xffff0000, v40
	v_cndmask_b32_e64 v30, v29, |v39|, s[2:3]
	v_cmp_o_f32_e64 s[2:3], v37, v37
	v_and_b32_e32 v38, 0xffff0000, v41
	v_cndmask_b32_e64 v37, v29, |v40|, s[2:3]
	v_cmp_o_f32_e64 s[2:3], v31, v31
	v_max3_f32 v5, v5, v35, v30
	v_cndmask_b32_e64 v30, v29, |v38|, s[2:3]
	v_max3_f32 v5, v5, v30, v37
                                        ; implicit-def: $vgpr30_vgpr31
	s_and_saveexec_b64 s[2:3], vcc
	s_xor_b64 s[2:3], exec, s[2:3]
	s_cbranch_execz .LBB88_18
; %bb.24:                               ;   in Loop: Header=BB88_21 Depth=1
	v_add_co_u32_e32 v30, vcc, v14, v12
	v_addc_co_u32_e32 v31, vcc, v1, v13, vcc
	global_load_dwordx2 v[38:39], v[30:31], off
	v_add_co_u32_e32 v30, vcc, v22, v12
	v_addc_co_u32_e32 v31, vcc, v21, v13, vcc
	global_load_dwordx2 v[40:41], v[30:31], off
	v_mov_b32_e32 v35, s29
	v_add_co_u32_e32 v14, vcc, s28, v14
	v_addc_co_u32_e32 v1, vcc, v1, v35, vcc
	v_add_co_u32_e32 v16, vcc, s28, v16
	s_add_u32 s23, s24, s24
	v_addc_co_u32_e32 v15, vcc, v15, v35, vcc
	s_addc_u32 s40, s25, s25
	v_add_co_u32_e32 v18, vcc, s28, v18
	v_addc_co_u32_e32 v17, vcc, v17, v35, vcc
	s_add_u32 s23, s23, s24
	s_addc_u32 s40, s40, s25
	v_add_co_u32_e32 v30, vcc, s23, v32
	v_mov_b32_e32 v31, s40
	v_addc_co_u32_e32 v31, vcc, v31, v33, vcc
	s_waitcnt vmcnt(1)
	v_lshlrev_b32_e32 v37, 16, v38
	v_and_b32_e32 v32, 0xffff0000, v38
	v_mul_f32_e32 v37, v36, v37
	v_alignbit_b32 v38, v39, v38, 16
	v_and_b32_e32 v39, 0xffff0000, v39
	v_mul_f32_e32 v32, v36, v32
	v_bfe_u32 v43, v37, 16, 1
	v_mul_f32_e32 v39, v36, v39
	v_bfe_u32 v44, v32, 16, 1
	v_add3_u32 v43, v37, v43, s19
	v_and_b32_e32 v38, 0xffff0000, v38
	v_bfe_u32 v45, v39, 16, 1
	v_add3_u32 v44, v32, v44, s19
	v_and_b32_e32 v43, 0xffff0000, v43
	v_cmp_o_f32_e32 vcc, v37, v37
	v_mul_f32_e32 v38, v36, v38
	v_add3_u32 v45, v39, v45, s19
	v_and_b32_e32 v44, 0xffff0000, v44
	v_cndmask_b32_e32 v37, v29, v43, vcc
	v_cmp_o_f32_e32 vcc, v32, v32
	s_waitcnt vmcnt(0)
	v_lshlrev_b32_e32 v42, 16, v40
	v_bfe_u32 v46, v38, 16, 1
	v_and_b32_e32 v45, 0xffff0000, v45
	v_cndmask_b32_e32 v32, v29, v44, vcc
	v_cmp_o_f32_e32 vcc, v39, v39
	v_and_b32_e32 v33, 0xffff0000, v40
	v_alignbit_b32 v40, v41, v40, 16
	v_and_b32_e32 v41, 0xffff0000, v41
	v_add3_u32 v46, v38, v46, s19
	v_cndmask_b32_e32 v39, v29, v45, vcc
	v_mul_f32_e32 v37, v37, v42
	v_and_b32_e32 v43, 0xffff0000, v46
	v_mul_f32_e32 v32, v32, v33
	v_cmp_o_f32_e32 vcc, v38, v38
	v_mul_f32_e32 v38, v39, v41
	v_bfe_u32 v39, v37, 16, 1
	v_and_b32_e32 v40, 0xffff0000, v40
	v_cndmask_b32_e32 v33, v29, v43, vcc
	v_bfe_u32 v41, v32, 16, 1
	v_add3_u32 v39, v37, v39, s19
	v_mul_f32_e32 v33, v33, v40
	v_bfe_u32 v40, v38, 16, 1
	v_add3_u32 v41, v32, v41, s19
	v_and_b32_e32 v39, 0xffff0000, v39
	v_cmp_o_f32_e32 vcc, v37, v37
	v_bfe_u32 v42, v33, 16, 1
	v_add3_u32 v40, v38, v40, s19
	v_and_b32_e32 v41, 0xffff0000, v41
	v_cndmask_b32_e64 v37, v29, |v39|, vcc
	v_cmp_o_f32_e32 vcc, v32, v32
	v_add3_u32 v42, v33, v42, s19
	v_and_b32_e32 v40, 0xffff0000, v40
	v_cndmask_b32_e64 v32, v29, |v41|, vcc
	v_cmp_o_f32_e32 vcc, v38, v38
	v_and_b32_e32 v39, 0xffff0000, v42
	v_cndmask_b32_e64 v38, v29, |v40|, vcc
	v_cmp_o_f32_e32 vcc, v33, v33
	v_max3_f32 v5, v5, v37, v32
	v_cndmask_b32_e64 v32, v29, |v39|, vcc
	v_add_co_u32_e32 v20, vcc, s28, v20
	v_addc_co_u32_e32 v19, vcc, v19, v35, vcc
	v_add_co_u32_e32 v22, vcc, s28, v22
	v_addc_co_u32_e32 v21, vcc, v21, v35, vcc
	;; [unrolled: 2-line block ×5, first 2 shown]
	v_cmp_ge_i64_e32 vcc, v[30:31], v[10:11]
	v_max3_f32 v5, v5, v32, v38
	s_orn2_b64 s[40:41], vcc, exec
	s_branch .LBB88_18
.LBB88_25:
	s_or_b64 exec, exec, s[12:13]
.LBB88_26:
	s_or_b64 exec, exec, s[26:27]
	s_lshr_b32 s7, s43, 6
	v_cvt_f32_u32_e32 v10, s7
	v_lshlrev_b32_e32 v1, 2, v0
	ds_write_b32 v1, v5
	s_sub_i32 s12, 0, s7
	v_rcp_iflag_f32_e32 v5, v10
	s_add_i32 s2, s22, s7
	s_add_i32 s2, s2, -1
	s_ashr_i32 s3, s2, 31
	v_mul_f32_e32 v5, 0x4f7ffffe, v5
	v_cvt_u32_f32_e32 v5, v5
	s_abs_i32 s2, s2
	s_ashr_i32 s23, s22, 31
	s_waitcnt lgkmcnt(0)
	v_readfirstlane_b32 s13, v5
	s_mul_i32 s12, s12, s13
	s_mul_hi_u32 s12, s13, s12
	s_add_i32 s13, s13, s12
	s_mul_hi_u32 s12, s2, s13
	s_mul_i32 s13, s12, s7
	s_sub_i32 s2, s2, s13
	s_add_i32 s13, s12, 1
	s_sub_i32 s16, s2, s7
	s_cmp_ge_u32 s2, s7
	s_cselect_b32 s12, s13, s12
	s_cselect_b32 s2, s16, s2
	s_add_i32 s13, s12, 1
	s_cmp_ge_u32 s2, s7
	s_cselect_b32 s2, s13, s12
	s_xor_b32 s2, s2, s3
	s_sub_i32 s2, s2, s3
	s_ashr_i32 s3, s2, 31
	v_cmp_lt_i64_e64 s[12:13], s[2:3], 1
	s_and_b64 vcc, exec, s[12:13]
	s_barrier
	s_cbranch_vccnz .LBB88_48
; %bb.27:
	v_and_b32_e32 v12, 63, v0
	v_add_co_u32_e32 v14, vcc, 32, v12
	v_addc_co_u32_e64 v15, s[12:13], 0, 0, vcc
	v_add_co_u32_e32 v16, vcc, 16, v12
	v_addc_co_u32_e64 v17, s[12:13], 0, 0, vcc
	;; [unrolled: 2-line block ×4, first 2 shown]
	v_add_co_u32_e32 v22, vcc, 2, v12
	v_lshrrev_b32_e32 v10, 6, v0
	v_addc_co_u32_e64 v23, s[12:13], 0, 0, vcc
	v_add_co_u32_e32 v24, vcc, 1, v12
	v_addc_co_u32_e64 v25, s[12:13], 0, 0, vcc
	v_mul_lo_u32 v5, s24, v10
	v_lshlrev_b32_e32 v5, 2, v5
	v_lshlrev_b32_e32 v26, 2, v12
	s_movk_i32 s12, 0x100
	v_mov_b32_e32 v11, 0
	v_add3_u32 v5, v5, v26, s12
	s_mul_i32 s12, s24, s7
	v_mov_b32_e32 v13, v11
	s_lshl_b32 s16, s12, 2
	s_mov_b64 s[12:13], 0
	v_mov_b32_e32 v37, s7
	s_mov_b64 s[26:27], src_shared_base
	s_branch .LBB88_30
.LBB88_28:                              ;   in Loop: Header=BB88_30 Depth=1
	s_or_b64 exec, exec, s[30:31]
	v_mov_b32_e32 v27, s27
	flat_load_dword v26, v[26:27] glc
	s_waitcnt vmcnt(0)
.LBB88_29:                              ;   in Loop: Header=BB88_30 Depth=1
	s_or_b64 exec, exec, s[28:29]
	s_add_u32 s12, s12, 1
	s_addc_u32 s13, s13, 0
	s_cmp_eq_u64 s[12:13], s[2:3]
	v_add_u32_e32 v5, s16, v5
	s_cbranch_scc1 .LBB88_48
.LBB88_30:                              ; =>This Loop Header: Depth=1
                                        ;     Child Loop BB88_33 Depth 2
	v_mad_u64_u32 v[30:31], s[28:29], s12, v37, v[10:11]
	s_mul_i32 s19, s13, s7
	v_add_u32_e32 v31, s19, v31
	v_cmp_gt_i64_e32 vcc, s[22:23], v[30:31]
	s_and_saveexec_b64 s[28:29], vcc
	s_cbranch_execz .LBB88_29
; %bb.31:                               ;   in Loop: Header=BB88_30 Depth=1
	v_pk_mov_b32 v[32:33], s[24:25], s[24:25] op_sel:[0,1]
	v_mul_lo_u32 v29, v31, s24
	v_mul_lo_u32 v38, v30, s25
	v_mad_u64_u32 v[32:33], s[30:31], v30, s24, v[32:33]
	v_add3_u32 v33, v29, v33, v38
	v_mov_b32_e32 v28, s21
	v_cmp_gt_i64_e32 vcc, s[20:21], v[32:33]
	s_waitcnt lgkmcnt(0)
	v_mad_u64_u32 v[26:27], s[30:31], v30, s24, v[12:13]
	v_cndmask_b32_e32 v33, v28, v33, vcc
	v_mov_b32_e32 v28, s17
	v_add3_u32 v27, v29, v27, v38
	v_cndmask_b32_e32 v32, v28, v32, vcc
	v_add_co_u32_e32 v34, vcc, 64, v26
	v_addc_co_u32_e32 v35, vcc, 0, v27, vcc
	v_cmp_lt_i64_e32 vcc, v[34:35], v[32:33]
	v_lshlrev_b32_e32 v28, 2, v26
	s_and_saveexec_b64 s[30:31], vcc
	s_cbranch_execz .LBB88_34
; %bb.32:                               ;   in Loop: Header=BB88_30 Depth=1
	ds_read_b32 v31, v28
	s_mov_b64 s[34:35], 0
	v_mov_b32_e32 v27, v5
.LBB88_33:                              ;   Parent Loop BB88_30 Depth=1
                                        ; =>  This Inner Loop Header: Depth=2
	ds_read_b32 v39, v27
	v_add_co_u32_e32 v34, vcc, 64, v34
	v_addc_co_u32_e32 v35, vcc, 0, v35, vcc
	s_waitcnt lgkmcnt(1)
	v_max_f32_e32 v31, v31, v31
	v_cmp_ge_i64_e32 vcc, v[34:35], v[32:33]
	s_waitcnt lgkmcnt(0)
	v_max_f32_e32 v39, v39, v39
	v_add_u32_e32 v27, 0x100, v27
	s_or_b64 s[34:35], vcc, s[34:35]
	v_max_f32_e32 v31, v31, v39
	ds_write_b32 v28, v31
	s_andn2_b64 exec, exec, s[34:35]
	s_cbranch_execnz .LBB88_33
.LBB88_34:                              ;   in Loop: Header=BB88_30 Depth=1
	s_or_b64 exec, exec, s[30:31]
	v_mad_u64_u32 v[30:31], s[30:31], v30, s24, 0
	v_add3_u32 v27, v31, v38, v29
	v_sub_co_u32_e32 v30, vcc, v32, v30
	v_subb_co_u32_e32 v31, vcc, v33, v27, vcc
	v_cmp_gt_i64_e32 vcc, 64, v[30:31]
	v_cndmask_b32_e32 v31, 0, v31, vcc
	v_cndmask_b32_e32 v30, 64, v30, vcc
	v_cmp_lt_i64_e32 vcc, v[14:15], v[30:31]
	s_and_saveexec_b64 s[30:31], vcc
	s_cbranch_execnz .LBB88_46
; %bb.35:                               ;   in Loop: Header=BB88_30 Depth=1
	s_or_b64 exec, exec, s[30:31]
	v_cmp_lt_i64_e32 vcc, v[16:17], v[30:31]
	s_and_saveexec_b64 s[30:31], vcc
	s_cbranch_execnz .LBB88_47
.LBB88_36:                              ;   in Loop: Header=BB88_30 Depth=1
	s_or_b64 exec, exec, s[30:31]
	v_cmp_lt_i64_e32 vcc, v[18:19], v[30:31]
	s_and_saveexec_b64 s[30:31], vcc
	s_cbranch_execz .LBB88_38
.LBB88_37:                              ;   in Loop: Header=BB88_30 Depth=1
	v_mov_b32_e32 v29, s27
	v_add_u32_e32 v32, 32, v28
	v_mov_b32_e32 v33, s27
	flat_load_dword v27, v[28:29] glc
	s_waitcnt vmcnt(0)
	flat_load_dword v34, v[32:33] glc
	s_waitcnt vmcnt(0) lgkmcnt(0)
	v_max_f32_e32 v27, v27, v27
	v_max_f32_e32 v32, v34, v34
	;; [unrolled: 1-line block ×3, first 2 shown]
	flat_store_dword v[28:29], v27
	s_waitcnt vmcnt(0)
.LBB88_38:                              ;   in Loop: Header=BB88_30 Depth=1
	s_or_b64 exec, exec, s[30:31]
	v_cmp_ge_i64_e32 vcc, v[20:21], v[30:31]
	s_and_saveexec_b64 s[30:31], vcc
	s_xor_b64 s[30:31], exec, s[30:31]
; %bb.39:                               ;   in Loop: Header=BB88_30 Depth=1
                                        ; implicit-def: $vgpr28
; %bb.40:                               ;   in Loop: Header=BB88_30 Depth=1
	s_andn2_saveexec_b64 s[30:31], s[30:31]
	s_cbranch_execz .LBB88_42
; %bb.41:                               ;   in Loop: Header=BB88_30 Depth=1
	v_mov_b32_e32 v29, s27
	v_add_u32_e32 v32, 16, v28
	v_mov_b32_e32 v33, s27
	flat_load_dword v27, v[28:29] glc
	s_waitcnt vmcnt(0)
	flat_load_dword v34, v[32:33] glc
	s_waitcnt vmcnt(0) lgkmcnt(0)
	v_max_f32_e32 v27, v27, v27
	v_max_f32_e32 v32, v34, v34
	;; [unrolled: 1-line block ×3, first 2 shown]
	flat_store_dword v[28:29], v27
	s_waitcnt vmcnt(0)
.LBB88_42:                              ;   in Loop: Header=BB88_30 Depth=1
	s_or_b64 exec, exec, s[30:31]
	v_cmp_lt_i64_e32 vcc, v[22:23], v[30:31]
	v_lshlrev_b32_e32 v26, 2, v26
	s_and_saveexec_b64 s[30:31], vcc
	s_cbranch_execz .LBB88_44
; %bb.43:                               ;   in Loop: Header=BB88_30 Depth=1
	v_mov_b32_e32 v27, s27
	v_add_u32_e32 v28, 8, v26
	v_mov_b32_e32 v29, s27
	flat_load_dword v32, v[26:27] glc
	s_waitcnt vmcnt(0)
	flat_load_dword v33, v[28:29] glc
	s_waitcnt vmcnt(0) lgkmcnt(0)
	v_max_f32_e32 v28, v32, v32
	v_max_f32_e32 v29, v33, v33
	;; [unrolled: 1-line block ×3, first 2 shown]
	flat_store_dword v[26:27], v28
	s_waitcnt vmcnt(0)
.LBB88_44:                              ;   in Loop: Header=BB88_30 Depth=1
	s_or_b64 exec, exec, s[30:31]
	v_cmp_lt_i64_e32 vcc, v[24:25], v[30:31]
	s_and_saveexec_b64 s[30:31], vcc
	s_cbranch_execz .LBB88_28
; %bb.45:                               ;   in Loop: Header=BB88_30 Depth=1
	v_mov_b32_e32 v27, s27
	v_add_u32_e32 v28, 4, v26
	v_mov_b32_e32 v29, s27
	flat_load_dword v30, v[26:27] glc
	s_waitcnt vmcnt(0)
	flat_load_dword v31, v[28:29] glc
	s_waitcnt vmcnt(0) lgkmcnt(0)
	v_max_f32_e32 v28, v30, v30
	v_max_f32_e32 v29, v31, v31
	v_max_f32_e32 v28, v28, v29
	flat_store_dword v[26:27], v28
	s_waitcnt vmcnt(0)
	s_branch .LBB88_28
.LBB88_46:                              ;   in Loop: Header=BB88_30 Depth=1
	v_mov_b32_e32 v29, s27
	v_add_u32_e32 v32, 0x80, v28
	v_mov_b32_e32 v33, s27
	flat_load_dword v27, v[28:29] glc
	s_waitcnt vmcnt(0)
	flat_load_dword v34, v[32:33] glc
	s_waitcnt vmcnt(0) lgkmcnt(0)
	v_max_f32_e32 v27, v27, v27
	v_max_f32_e32 v32, v34, v34
	;; [unrolled: 1-line block ×3, first 2 shown]
	flat_store_dword v[28:29], v27
	s_waitcnt vmcnt(0)
	s_or_b64 exec, exec, s[30:31]
	v_cmp_lt_i64_e32 vcc, v[16:17], v[30:31]
	s_and_saveexec_b64 s[30:31], vcc
	s_cbranch_execz .LBB88_36
.LBB88_47:                              ;   in Loop: Header=BB88_30 Depth=1
	v_mov_b32_e32 v29, s27
	v_add_u32_e32 v32, 64, v28
	v_mov_b32_e32 v33, s27
	flat_load_dword v27, v[28:29] glc
	s_waitcnt vmcnt(0)
	flat_load_dword v34, v[32:33] glc
	s_waitcnt vmcnt(0) lgkmcnt(0)
	v_max_f32_e32 v27, v27, v27
	v_max_f32_e32 v32, v34, v34
	;; [unrolled: 1-line block ×3, first 2 shown]
	flat_store_dword v[28:29], v27
	s_waitcnt vmcnt(0)
	s_or_b64 exec, exec, s[30:31]
	v_cmp_lt_i64_e32 vcc, v[18:19], v[30:31]
	s_and_saveexec_b64 s[30:31], vcc
	s_cbranch_execnz .LBB88_37
	s_branch .LBB88_38
.LBB88_48:
	v_cmp_eq_u32_e32 vcc, 0, v4
	v_cmp_lt_i64_e64 s[2:3], v[6:7], v[8:9]
	s_and_b64 s[24:25], vcc, s[2:3]
	s_mul_i32 s7, s23, s6
	s_mul_hi_u32 s16, s22, s6
	s_mul_i32 s2, s22, s6
	s_waitcnt lgkmcnt(0)
	s_barrier
	s_and_saveexec_b64 s[12:13], s[24:25]
	s_cbranch_execz .LBB88_52
; %bb.49:
	s_load_dwordx2 s[4:5], s[4:5], 0x20
	ds_read_b32 v1, v1
	s_waitcnt lgkmcnt(0)
	s_cmp_eq_u64 s[4:5], 0
	s_cbranch_scc1 .LBB88_51
; %bb.50:
	s_load_dword s3, s[4:5], 0x0
	v_max_f32_e32 v1, v1, v1
	s_waitcnt lgkmcnt(0)
	v_max_f32_e64 v4, s3, s3
	v_min_f32_e32 v1, v1, v4
.LBB88_51:
	s_mov_b32 s3, 0x43600000
	v_div_scale_f32 v4, s[4:5], s3, s3, v1
	v_rcp_f32_e32 v5, v4
	v_div_scale_f32 v6, vcc, v1, s3, v1
	v_lshlrev_b64 v[2:3], 2, v[2:3]
	v_fma_f32 v7, -v4, v5, 1.0
	v_fmac_f32_e32 v5, v7, v5
	v_mul_f32_e32 v7, v6, v5
	v_fma_f32 v8, -v4, v7, v6
	v_fmac_f32_e32 v7, v8, v5
	v_fma_f32 v4, -v4, v7, v6
	v_div_fmas_f32 v4, v4, v5, v7
	v_div_fixup_f32 v1, v4, s3, v1
	s_add_i32 s3, s16, s7
	s_lshl_b64 s[4:5], s[2:3], 2
	s_add_u32 s3, s10, s4
	s_addc_u32 s4, s11, s5
	v_mov_b32_e32 v4, s4
	v_add_co_u32_e32 v2, vcc, s3, v2
	v_max_f32_e32 v1, 0x37124925, v1
	v_addc_co_u32_e32 v3, vcc, v4, v3, vcc
	global_store_dword v[2:3], v1, off
.LBB88_52:
	s_or_b64 exec, exec, s[12:13]
	s_barrier
	s_and_saveexec_b64 s[4:5], s[0:1]
	s_cbranch_execz .LBB88_189
; %bb.53:
	s_mul_i32 s0, s21, s6
	s_mul_hi_u32 s1, s17, s6
	s_add_i32 s1, s1, s0
	s_mul_i32 s0, s17, s6
	s_add_u32 s19, s8, s0
	s_addc_u32 s20, s9, s1
	s_add_i32 s3, s16, s7
	s_lshl_b64 s[0:1], s[2:3], 2
	s_add_u32 s0, s10, s0
	s_addc_u32 s1, s11, s1
	s_mul_i32 s21, s43, 3
	s_lshl_b32 s22, s43, 1
	s_mov_b64 s[2:3], 0
	v_mov_b32_e32 v1, 0
	v_mov_b32_e32 v10, s42
	;; [unrolled: 1-line block ×3, first 2 shown]
	s_movk_i32 s23, 0x7fff
	v_mov_b32_e32 v12, 0x7fc00000
	s_mov_b32 s24, 0x43800000
	s_mov_b32 s25, 0x3bffffff
	;; [unrolled: 1-line block ×4, first 2 shown]
	s_movk_i32 s28, 0x80
	s_mov_b32 s29, 0x4020c0c
	s_branch .LBB88_59
.LBB88_54:                              ;   in Loop: Header=BB88_59 Depth=1
	s_or_b64 exec, exec, s[16:17]
.LBB88_55:                              ;   in Loop: Header=BB88_59 Depth=1
	s_or_b64 exec, exec, s[10:11]
	v_lshlrev_b64 v[14:15], 2, v[0:1]
	v_mov_b32_e32 v0, s20
	v_add_co_u32_e32 v14, vcc, s19, v14
	v_addc_co_u32_e32 v15, vcc, v0, v15, vcc
	v_lshlrev_b32_e32 v0, 16, v6
	v_lshlrev_b32_e32 v3, 8, v8
	v_perm_b32 v0, v4, v0, s29
	v_and_b32_e32 v3, 0xff00, v3
	v_and_b32_e32 v4, 0xff, v9
	s_add_i32 s10, s43, s43
	v_or3_b32 v0, v0, v3, v4
	s_add_i32 s10, s10, s43
	global_store_dword v[14:15], v0, off
	v_add_u32_e32 v0, s10, v2
	v_cmp_le_u32_e32 vcc, s18, v0
	s_orn2_b64 s[10:11], vcc, exec
.LBB88_56:                              ;   in Loop: Header=BB88_59 Depth=1
	s_or_b64 exec, exec, s[8:9]
	s_orn2_b64 s[8:9], s[10:11], exec
.LBB88_57:                              ;   in Loop: Header=BB88_59 Depth=1
	s_or_b64 exec, exec, s[6:7]
	s_orn2_b64 s[6:7], s[8:9], exec
.LBB88_58:                              ;   in Loop: Header=BB88_59 Depth=1
	s_or_b64 exec, exec, s[4:5]
	s_and_b64 s[4:5], exec, s[6:7]
	s_or_b64 s[2:3], s[4:5], s[2:3]
	s_andn2_b64 exec, exec, s[2:3]
	s_cbranch_execz .LBB88_189
.LBB88_59:                              ; =>This Inner Loop Header: Depth=1
	v_lshlrev_b64 v[2:3], 3, v[0:1]
	v_add_co_u32_e32 v4, vcc, s33, v2
	v_addc_co_u32_e32 v5, vcc, v10, v3, vcc
	global_load_dwordx2 v[4:5], v[4:5], off
	v_add_co_u32_e32 v2, vcc, s14, v2
	v_addc_co_u32_e32 v3, vcc, v11, v3, vcc
	global_load_dwordx2 v[2:3], v[2:3], off
	v_lshrrev_b32_e32 v6, 2, v0
	v_and_b32_e32 v6, 0xffffffc, v6
	global_load_dword v6, v6, s[0:1]
	s_waitcnt vmcnt(2)
	v_lshlrev_b32_e32 v7, 16, v4
	v_mul_f32_e32 v7, v36, v7
	v_bfe_u32 v9, v7, 16, 1
	v_add3_u32 v9, v7, v9, s23
	v_and_b32_e32 v9, 0xffff0000, v9
	v_cmp_o_f32_e32 vcc, v7, v7
	s_waitcnt vmcnt(1)
	v_lshlrev_b32_e32 v8, 16, v2
	v_cndmask_b32_e32 v7, v12, v9, vcc
	v_mul_f32_e32 v7, v7, v8
	v_bfe_u32 v8, v7, 16, 1
	v_add3_u32 v8, v7, v8, s23
	v_and_b32_e32 v8, 0xffff0000, v8
	v_cmp_o_f32_e32 vcc, v7, v7
	v_cndmask_b32_e32 v8, v12, v8, vcc
	s_waitcnt vmcnt(0)
	v_div_scale_f32 v9, s[4:5], v6, v6, v8
	v_rcp_f32_e32 v13, v9
	v_div_scale_f32 v14, vcc, v8, v6, v8
	v_mov_b32_e32 v7, 0x80
	v_fma_f32 v15, -v9, v13, 1.0
	v_fmac_f32_e32 v13, v15, v13
	v_mul_f32_e32 v15, v14, v13
	v_fma_f32 v16, -v9, v15, v14
	v_fmac_f32_e32 v15, v16, v13
	v_fma_f32 v9, -v9, v15, v14
	v_div_fmas_f32 v9, v9, v13, v15
	v_div_fixup_f32 v8, v9, v6, v8
	v_min_f32_e32 v8, 0x43600000, v8
	v_max_f32_e32 v9, 0xc3600000, v8
	v_and_b32_e32 v13, 0x7fffffff, v9
	v_cmp_gt_u32_e32 vcc, s24, v13
	v_mov_b32_e32 v8, 0x80
	s_and_saveexec_b64 s[4:5], vcc
	s_cbranch_execz .LBB88_65
; %bb.60:                               ;   in Loop: Header=BB88_59 Depth=1
	v_cmp_lt_u32_e32 vcc, s25, v13
	s_mov_b64 s[6:7], 0
                                        ; implicit-def: $vgpr13
	s_and_saveexec_b64 s[8:9], vcc
	s_xor_b64 s[8:9], exec, s[8:9]
	s_cbranch_execnz .LBB88_156
; %bb.61:                               ;   in Loop: Header=BB88_59 Depth=1
	s_or_saveexec_b64 s[8:9], s[8:9]
                                        ; implicit-def: $sgpr10
	s_xor_b64 exec, exec, s[8:9]
	s_cbranch_execnz .LBB88_157
.LBB88_62:                              ;   in Loop: Header=BB88_59 Depth=1
	s_or_b64 exec, exec, s[8:9]
	v_mov_b32_e32 v8, s10
	s_and_saveexec_b64 s[8:9], s[6:7]
.LBB88_63:                              ;   in Loop: Header=BB88_59 Depth=1
	v_lshrrev_b32_e32 v8, 24, v9
	v_and_or_b32 v8, v8, s28, v13
.LBB88_64:                              ;   in Loop: Header=BB88_59 Depth=1
	s_or_b64 exec, exec, s[8:9]
.LBB88_65:                              ;   in Loop: Header=BB88_59 Depth=1
	s_or_b64 exec, exec, s[4:5]
	v_and_b32_e32 v9, 0xffff0000, v4
	v_mul_f32_e32 v9, v36, v9
	v_bfe_u32 v14, v9, 16, 1
	v_add3_u32 v14, v9, v14, s23
	v_and_b32_e32 v14, 0xffff0000, v14
	v_cmp_o_f32_e32 vcc, v9, v9
	v_and_b32_e32 v13, 0xffff0000, v2
	v_cndmask_b32_e32 v9, v12, v14, vcc
	v_mul_f32_e32 v9, v9, v13
	v_bfe_u32 v13, v9, 16, 1
	v_add3_u32 v13, v9, v13, s23
	v_and_b32_e32 v13, 0xffff0000, v13
	v_cmp_o_f32_e32 vcc, v9, v9
	v_cndmask_b32_e32 v9, v12, v13, vcc
	v_div_scale_f32 v13, s[4:5], v6, v6, v9
	v_rcp_f32_e32 v14, v13
	v_fma_f32 v15, -v13, v14, 1.0
	v_fmac_f32_e32 v14, v15, v14
	v_div_scale_f32 v15, vcc, v9, v6, v9
	v_mul_f32_e32 v16, v15, v14
	v_fma_f32 v17, -v13, v16, v15
	v_fmac_f32_e32 v16, v17, v14
	v_fma_f32 v13, -v13, v16, v15
	v_div_fmas_f32 v13, v13, v14, v16
	v_div_fixup_f32 v9, v13, v6, v9
	v_min_f32_e32 v9, 0x43600000, v9
	v_max_f32_e32 v9, 0xc3600000, v9
	v_and_b32_e32 v13, 0x7fffffff, v9
	v_cmp_gt_u32_e32 vcc, s24, v13
	s_and_saveexec_b64 s[4:5], vcc
	s_cbranch_execz .LBB88_71
; %bb.66:                               ;   in Loop: Header=BB88_59 Depth=1
	v_cmp_lt_u32_e32 vcc, s25, v13
	s_mov_b64 s[6:7], 0
                                        ; implicit-def: $vgpr13
	s_and_saveexec_b64 s[8:9], vcc
	s_xor_b64 s[8:9], exec, s[8:9]
	s_cbranch_execnz .LBB88_158
; %bb.67:                               ;   in Loop: Header=BB88_59 Depth=1
	s_or_saveexec_b64 s[8:9], s[8:9]
                                        ; implicit-def: $sgpr10
	s_xor_b64 exec, exec, s[8:9]
	s_cbranch_execnz .LBB88_159
.LBB88_68:                              ;   in Loop: Header=BB88_59 Depth=1
	s_or_b64 exec, exec, s[8:9]
	v_mov_b32_e32 v7, s10
	s_and_saveexec_b64 s[8:9], s[6:7]
.LBB88_69:                              ;   in Loop: Header=BB88_59 Depth=1
	v_lshrrev_b32_e32 v7, 24, v9
	v_and_or_b32 v7, v7, s28, v13
.LBB88_70:                              ;   in Loop: Header=BB88_59 Depth=1
	s_or_b64 exec, exec, s[8:9]
.LBB88_71:                              ;   in Loop: Header=BB88_59 Depth=1
	s_or_b64 exec, exec, s[4:5]
	v_alignbit_b32 v4, v5, v4, 16
	v_and_b32_e32 v4, 0xffff0000, v4
	v_mul_f32_e32 v4, v36, v4
	v_bfe_u32 v9, v4, 16, 1
	v_add3_u32 v9, v4, v9, s23
	v_and_b32_e32 v9, 0xffff0000, v9
	v_cmp_o_f32_e32 vcc, v4, v4
	v_alignbit_b32 v2, v3, v2, 16
	v_cndmask_b32_e32 v4, v12, v9, vcc
	v_and_b32_e32 v2, 0xffff0000, v2
	v_mul_f32_e32 v2, v4, v2
	v_bfe_u32 v4, v2, 16, 1
	v_add3_u32 v4, v2, v4, s23
	v_and_b32_e32 v4, 0xffff0000, v4
	v_cmp_o_f32_e32 vcc, v2, v2
	v_cndmask_b32_e32 v2, v12, v4, vcc
	v_div_scale_f32 v4, s[4:5], v6, v6, v2
	v_rcp_f32_e32 v9, v4
	v_fma_f32 v13, -v4, v9, 1.0
	v_fmac_f32_e32 v9, v13, v9
	v_div_scale_f32 v13, vcc, v2, v6, v2
	v_mul_f32_e32 v14, v13, v9
	v_fma_f32 v15, -v4, v14, v13
	v_fmac_f32_e32 v14, v15, v9
	v_fma_f32 v4, -v4, v14, v13
	v_div_fmas_f32 v4, v4, v9, v14
	v_div_fixup_f32 v2, v4, v6, v2
	v_min_f32_e32 v2, 0x43600000, v2
	v_max_f32_e32 v9, 0xc3600000, v2
	v_and_b32_e32 v13, 0x7fffffff, v9
	v_cmp_gt_u32_e32 vcc, s24, v13
	v_mov_b32_e32 v2, 0x80
	v_mov_b32_e32 v4, 0x80
	s_and_saveexec_b64 s[4:5], vcc
	s_cbranch_execz .LBB88_77
; %bb.72:                               ;   in Loop: Header=BB88_59 Depth=1
	v_cmp_lt_u32_e32 vcc, s25, v13
	s_mov_b64 s[6:7], 0
                                        ; implicit-def: $vgpr13
	s_and_saveexec_b64 s[8:9], vcc
	s_xor_b64 s[8:9], exec, s[8:9]
	s_cbranch_execnz .LBB88_160
; %bb.73:                               ;   in Loop: Header=BB88_59 Depth=1
	s_or_saveexec_b64 s[8:9], s[8:9]
                                        ; implicit-def: $sgpr10
	s_xor_b64 exec, exec, s[8:9]
	s_cbranch_execnz .LBB88_161
.LBB88_74:                              ;   in Loop: Header=BB88_59 Depth=1
	s_or_b64 exec, exec, s[8:9]
	v_mov_b32_e32 v4, s10
	s_and_saveexec_b64 s[8:9], s[6:7]
.LBB88_75:                              ;   in Loop: Header=BB88_59 Depth=1
	v_lshrrev_b32_e32 v4, 24, v9
	v_and_or_b32 v4, v4, s28, v13
.LBB88_76:                              ;   in Loop: Header=BB88_59 Depth=1
	s_or_b64 exec, exec, s[8:9]
.LBB88_77:                              ;   in Loop: Header=BB88_59 Depth=1
	s_or_b64 exec, exec, s[4:5]
	v_and_b32_e32 v5, 0xffff0000, v5
	v_mul_f32_e32 v5, v36, v5
	v_bfe_u32 v9, v5, 16, 1
	v_add3_u32 v9, v5, v9, s23
	v_and_b32_e32 v9, 0xffff0000, v9
	v_cmp_o_f32_e32 vcc, v5, v5
	v_cndmask_b32_e32 v5, v12, v9, vcc
	v_and_b32_e32 v3, 0xffff0000, v3
	v_mul_f32_e32 v3, v5, v3
	v_bfe_u32 v5, v3, 16, 1
	v_add3_u32 v5, v3, v5, s23
	v_and_b32_e32 v5, 0xffff0000, v5
	v_cmp_o_f32_e32 vcc, v3, v3
	v_cndmask_b32_e32 v3, v12, v5, vcc
	v_div_scale_f32 v5, s[4:5], v6, v6, v3
	v_rcp_f32_e32 v9, v5
	v_fma_f32 v13, -v5, v9, 1.0
	v_fmac_f32_e32 v9, v13, v9
	v_div_scale_f32 v13, vcc, v3, v6, v3
	v_mul_f32_e32 v14, v13, v9
	v_fma_f32 v15, -v5, v14, v13
	v_fmac_f32_e32 v14, v15, v9
	v_fma_f32 v5, -v5, v14, v13
	v_div_fmas_f32 v5, v5, v9, v14
	v_div_fixup_f32 v3, v5, v6, v3
	v_min_f32_e32 v3, 0x43600000, v3
	v_max_f32_e32 v3, 0xc3600000, v3
	v_and_b32_e32 v5, 0x7fffffff, v3
	v_cmp_gt_u32_e32 vcc, s24, v5
	s_and_saveexec_b64 s[4:5], vcc
	s_cbranch_execz .LBB88_83
; %bb.78:                               ;   in Loop: Header=BB88_59 Depth=1
	v_cmp_lt_u32_e32 vcc, s25, v5
	s_mov_b64 s[6:7], 0
                                        ; implicit-def: $vgpr5
	s_and_saveexec_b64 s[8:9], vcc
	s_xor_b64 s[8:9], exec, s[8:9]
	s_cbranch_execnz .LBB88_162
; %bb.79:                               ;   in Loop: Header=BB88_59 Depth=1
	s_or_saveexec_b64 s[8:9], s[8:9]
                                        ; implicit-def: $sgpr10
	s_xor_b64 exec, exec, s[8:9]
	s_cbranch_execnz .LBB88_163
.LBB88_80:                              ;   in Loop: Header=BB88_59 Depth=1
	s_or_b64 exec, exec, s[8:9]
	v_mov_b32_e32 v2, s10
	s_and_saveexec_b64 s[8:9], s[6:7]
.LBB88_81:                              ;   in Loop: Header=BB88_59 Depth=1
	v_lshrrev_b32_e32 v2, 24, v3
	v_and_or_b32 v2, v2, s28, v5
.LBB88_82:                              ;   in Loop: Header=BB88_59 Depth=1
	s_or_b64 exec, exec, s[8:9]
.LBB88_83:                              ;   in Loop: Header=BB88_59 Depth=1
	s_or_b64 exec, exec, s[4:5]
	v_lshlrev_b64 v[14:15], 2, v[0:1]
	v_mov_b32_e32 v3, s20
	v_add_co_u32_e32 v14, vcc, s19, v14
	v_addc_co_u32_e32 v15, vcc, v3, v15, vcc
	v_lshlrev_b32_e32 v3, 16, v4
	v_perm_b32 v2, v2, v3, s29
	v_lshlrev_b32_e32 v3, 8, v7
	v_and_b32_e32 v3, 0xff00, v3
	v_and_b32_e32 v4, 0xff, v8
	v_or3_b32 v2, v2, v3, v4
	global_store_dword v[14:15], v2, off
	v_add_u32_e32 v2, s43, v0
	v_cmp_gt_u32_e32 vcc, s18, v2
	s_mov_b64 s[6:7], -1
	s_and_saveexec_b64 s[4:5], vcc
	s_cbranch_execz .LBB88_58
; %bb.84:                               ;   in Loop: Header=BB88_59 Depth=1
	v_mov_b32_e32 v3, v1
	v_lshlrev_b64 v[6:7], 3, v[2:3]
	v_mov_b32_e32 v5, s42
	v_add_co_u32_e32 v4, vcc, s33, v6
	v_addc_co_u32_e32 v5, vcc, v5, v7, vcc
	global_load_dwordx2 v[4:5], v[4:5], off
	v_mov_b32_e32 v8, s15
	v_add_co_u32_e32 v6, vcc, s14, v6
	v_addc_co_u32_e32 v7, vcc, v8, v7, vcc
	global_load_dwordx2 v[6:7], v[6:7], off
	v_lshrrev_b32_e32 v8, 2, v2
	v_and_b32_e32 v8, 0xffffffc, v8
	global_load_dword v8, v8, s[0:1]
	s_waitcnt vmcnt(2)
	v_lshlrev_b32_e32 v9, 16, v4
	v_mul_f32_e32 v9, v36, v9
	v_bfe_u32 v14, v9, 16, 1
	v_add3_u32 v14, v9, v14, s23
	v_and_b32_e32 v14, 0xffff0000, v14
	v_cmp_o_f32_e32 vcc, v9, v9
	s_waitcnt vmcnt(1)
	v_lshlrev_b32_e32 v13, 16, v6
	v_cndmask_b32_e32 v9, v12, v14, vcc
	v_mul_f32_e32 v9, v9, v13
	v_bfe_u32 v13, v9, 16, 1
	v_add3_u32 v13, v9, v13, s23
	v_and_b32_e32 v13, 0xffff0000, v13
	v_cmp_o_f32_e32 vcc, v9, v9
	v_cndmask_b32_e32 v13, v12, v13, vcc
	s_waitcnt vmcnt(0)
	v_div_scale_f32 v14, s[6:7], v8, v8, v13
	v_rcp_f32_e32 v15, v14
	v_div_scale_f32 v16, vcc, v13, v8, v13
	v_mov_b32_e32 v9, 0x80
	v_fma_f32 v17, -v14, v15, 1.0
	v_fmac_f32_e32 v15, v17, v15
	v_mul_f32_e32 v17, v16, v15
	v_fma_f32 v18, -v14, v17, v16
	v_fmac_f32_e32 v17, v18, v15
	v_fma_f32 v14, -v14, v17, v16
	v_div_fmas_f32 v14, v14, v15, v17
	v_div_fixup_f32 v13, v14, v8, v13
	v_min_f32_e32 v13, 0x43600000, v13
	v_max_f32_e32 v14, 0xc3600000, v13
	v_and_b32_e32 v15, 0x7fffffff, v14
	v_cmp_gt_u32_e32 vcc, s24, v15
	v_mov_b32_e32 v13, 0x80
	s_and_saveexec_b64 s[6:7], vcc
	s_cbranch_execz .LBB88_90
; %bb.85:                               ;   in Loop: Header=BB88_59 Depth=1
	v_cmp_lt_u32_e32 vcc, s25, v15
	s_mov_b64 s[8:9], 0
                                        ; implicit-def: $vgpr15
	s_and_saveexec_b64 s[10:11], vcc
	s_xor_b64 s[10:11], exec, s[10:11]
	s_cbranch_execnz .LBB88_164
; %bb.86:                               ;   in Loop: Header=BB88_59 Depth=1
	s_or_saveexec_b64 s[10:11], s[10:11]
                                        ; implicit-def: $sgpr12
	s_xor_b64 exec, exec, s[10:11]
	s_cbranch_execnz .LBB88_165
.LBB88_87:                              ;   in Loop: Header=BB88_59 Depth=1
	s_or_b64 exec, exec, s[10:11]
	v_mov_b32_e32 v13, s12
	s_and_saveexec_b64 s[10:11], s[8:9]
.LBB88_88:                              ;   in Loop: Header=BB88_59 Depth=1
	v_lshrrev_b32_e32 v13, 24, v14
	v_and_or_b32 v13, v13, s28, v15
.LBB88_89:                              ;   in Loop: Header=BB88_59 Depth=1
	s_or_b64 exec, exec, s[10:11]
.LBB88_90:                              ;   in Loop: Header=BB88_59 Depth=1
	s_or_b64 exec, exec, s[6:7]
	v_and_b32_e32 v14, 0xffff0000, v4
	v_mul_f32_e32 v14, v36, v14
	v_bfe_u32 v16, v14, 16, 1
	v_add3_u32 v16, v14, v16, s23
	v_and_b32_e32 v16, 0xffff0000, v16
	v_cmp_o_f32_e32 vcc, v14, v14
	v_and_b32_e32 v15, 0xffff0000, v6
	v_cndmask_b32_e32 v14, v12, v16, vcc
	v_mul_f32_e32 v14, v14, v15
	v_bfe_u32 v15, v14, 16, 1
	v_add3_u32 v15, v14, v15, s23
	v_and_b32_e32 v15, 0xffff0000, v15
	v_cmp_o_f32_e32 vcc, v14, v14
	v_cndmask_b32_e32 v14, v12, v15, vcc
	v_div_scale_f32 v15, s[6:7], v8, v8, v14
	v_rcp_f32_e32 v16, v15
	v_fma_f32 v17, -v15, v16, 1.0
	v_fmac_f32_e32 v16, v17, v16
	v_div_scale_f32 v17, vcc, v14, v8, v14
	v_mul_f32_e32 v18, v17, v16
	v_fma_f32 v19, -v15, v18, v17
	v_fmac_f32_e32 v18, v19, v16
	v_fma_f32 v15, -v15, v18, v17
	v_div_fmas_f32 v15, v15, v16, v18
	v_div_fixup_f32 v14, v15, v8, v14
	v_min_f32_e32 v14, 0x43600000, v14
	v_max_f32_e32 v14, 0xc3600000, v14
	v_and_b32_e32 v15, 0x7fffffff, v14
	v_cmp_gt_u32_e32 vcc, s24, v15
	s_and_saveexec_b64 s[6:7], vcc
	s_cbranch_execz .LBB88_96
; %bb.91:                               ;   in Loop: Header=BB88_59 Depth=1
	v_cmp_lt_u32_e32 vcc, s25, v15
	s_mov_b64 s[8:9], 0
                                        ; implicit-def: $vgpr15
	s_and_saveexec_b64 s[10:11], vcc
	s_xor_b64 s[10:11], exec, s[10:11]
	s_cbranch_execnz .LBB88_166
; %bb.92:                               ;   in Loop: Header=BB88_59 Depth=1
	s_or_saveexec_b64 s[10:11], s[10:11]
                                        ; implicit-def: $sgpr12
	s_xor_b64 exec, exec, s[10:11]
	s_cbranch_execnz .LBB88_167
.LBB88_93:                              ;   in Loop: Header=BB88_59 Depth=1
	s_or_b64 exec, exec, s[10:11]
	v_mov_b32_e32 v9, s12
	s_and_saveexec_b64 s[10:11], s[8:9]
.LBB88_94:                              ;   in Loop: Header=BB88_59 Depth=1
	v_lshrrev_b32_e32 v9, 24, v14
	v_and_or_b32 v9, v9, s28, v15
.LBB88_95:                              ;   in Loop: Header=BB88_59 Depth=1
	s_or_b64 exec, exec, s[10:11]
.LBB88_96:                              ;   in Loop: Header=BB88_59 Depth=1
	s_or_b64 exec, exec, s[6:7]
	v_alignbit_b32 v4, v5, v4, 16
	v_and_b32_e32 v4, 0xffff0000, v4
	v_mul_f32_e32 v4, v36, v4
	v_bfe_u32 v14, v4, 16, 1
	v_add3_u32 v14, v4, v14, s23
	v_and_b32_e32 v14, 0xffff0000, v14
	v_cmp_o_f32_e32 vcc, v4, v4
	v_alignbit_b32 v6, v7, v6, 16
	v_cndmask_b32_e32 v4, v12, v14, vcc
	v_and_b32_e32 v6, 0xffff0000, v6
	v_mul_f32_e32 v4, v4, v6
	v_bfe_u32 v6, v4, 16, 1
	v_add3_u32 v6, v4, v6, s23
	v_and_b32_e32 v6, 0xffff0000, v6
	v_cmp_o_f32_e32 vcc, v4, v4
	v_cndmask_b32_e32 v4, v12, v6, vcc
	v_div_scale_f32 v6, s[6:7], v8, v8, v4
	v_rcp_f32_e32 v14, v6
	v_fma_f32 v15, -v6, v14, 1.0
	v_fmac_f32_e32 v14, v15, v14
	v_div_scale_f32 v15, vcc, v4, v8, v4
	v_mul_f32_e32 v16, v15, v14
	v_fma_f32 v17, -v6, v16, v15
	v_fmac_f32_e32 v16, v17, v14
	v_fma_f32 v6, -v6, v16, v15
	v_div_fmas_f32 v6, v6, v14, v16
	v_div_fixup_f32 v4, v6, v8, v4
	v_min_f32_e32 v4, 0x43600000, v4
	v_max_f32_e32 v14, 0xc3600000, v4
	v_and_b32_e32 v15, 0x7fffffff, v14
	v_cmp_gt_u32_e32 vcc, s24, v15
	v_mov_b32_e32 v4, 0x80
	v_mov_b32_e32 v6, 0x80
	s_and_saveexec_b64 s[6:7], vcc
	s_cbranch_execz .LBB88_102
; %bb.97:                               ;   in Loop: Header=BB88_59 Depth=1
	v_cmp_lt_u32_e32 vcc, s25, v15
	s_mov_b64 s[8:9], 0
                                        ; implicit-def: $vgpr15
	s_and_saveexec_b64 s[10:11], vcc
	s_xor_b64 s[10:11], exec, s[10:11]
	s_cbranch_execnz .LBB88_168
; %bb.98:                               ;   in Loop: Header=BB88_59 Depth=1
	s_or_saveexec_b64 s[10:11], s[10:11]
                                        ; implicit-def: $sgpr12
	s_xor_b64 exec, exec, s[10:11]
	s_cbranch_execnz .LBB88_169
.LBB88_99:                              ;   in Loop: Header=BB88_59 Depth=1
	s_or_b64 exec, exec, s[10:11]
	v_mov_b32_e32 v6, s12
	s_and_saveexec_b64 s[10:11], s[8:9]
.LBB88_100:                             ;   in Loop: Header=BB88_59 Depth=1
	v_lshrrev_b32_e32 v6, 24, v14
	v_and_or_b32 v6, v6, s28, v15
.LBB88_101:                             ;   in Loop: Header=BB88_59 Depth=1
	s_or_b64 exec, exec, s[10:11]
.LBB88_102:                             ;   in Loop: Header=BB88_59 Depth=1
	s_or_b64 exec, exec, s[6:7]
	v_and_b32_e32 v5, 0xffff0000, v5
	v_mul_f32_e32 v5, v36, v5
	v_bfe_u32 v14, v5, 16, 1
	v_add3_u32 v14, v5, v14, s23
	v_and_b32_e32 v14, 0xffff0000, v14
	v_cmp_o_f32_e32 vcc, v5, v5
	v_cndmask_b32_e32 v5, v12, v14, vcc
	v_and_b32_e32 v7, 0xffff0000, v7
	v_mul_f32_e32 v5, v5, v7
	v_bfe_u32 v7, v5, 16, 1
	v_add3_u32 v7, v5, v7, s23
	v_and_b32_e32 v7, 0xffff0000, v7
	v_cmp_o_f32_e32 vcc, v5, v5
	v_cndmask_b32_e32 v5, v12, v7, vcc
	v_div_scale_f32 v7, s[6:7], v8, v8, v5
	v_rcp_f32_e32 v14, v7
	v_fma_f32 v15, -v7, v14, 1.0
	v_fmac_f32_e32 v14, v15, v14
	v_div_scale_f32 v15, vcc, v5, v8, v5
	v_mul_f32_e32 v16, v15, v14
	v_fma_f32 v17, -v7, v16, v15
	v_fmac_f32_e32 v16, v17, v14
	v_fma_f32 v7, -v7, v16, v15
	v_div_fmas_f32 v7, v7, v14, v16
	v_div_fixup_f32 v5, v7, v8, v5
	v_min_f32_e32 v5, 0x43600000, v5
	v_max_f32_e32 v5, 0xc3600000, v5
	v_and_b32_e32 v7, 0x7fffffff, v5
	v_cmp_gt_u32_e32 vcc, s24, v7
	s_and_saveexec_b64 s[6:7], vcc
	s_cbranch_execz .LBB88_108
; %bb.103:                              ;   in Loop: Header=BB88_59 Depth=1
	v_cmp_lt_u32_e32 vcc, s25, v7
	s_mov_b64 s[8:9], 0
                                        ; implicit-def: $vgpr7
	s_and_saveexec_b64 s[10:11], vcc
	s_xor_b64 s[10:11], exec, s[10:11]
	s_cbranch_execnz .LBB88_170
; %bb.104:                              ;   in Loop: Header=BB88_59 Depth=1
	s_or_saveexec_b64 s[10:11], s[10:11]
                                        ; implicit-def: $sgpr12
	s_xor_b64 exec, exec, s[10:11]
	s_cbranch_execnz .LBB88_171
.LBB88_105:                             ;   in Loop: Header=BB88_59 Depth=1
	s_or_b64 exec, exec, s[10:11]
	v_mov_b32_e32 v4, s12
	s_and_saveexec_b64 s[10:11], s[8:9]
.LBB88_106:                             ;   in Loop: Header=BB88_59 Depth=1
	v_lshrrev_b32_e32 v4, 24, v5
	v_and_or_b32 v4, v4, s28, v7
.LBB88_107:                             ;   in Loop: Header=BB88_59 Depth=1
	s_or_b64 exec, exec, s[10:11]
.LBB88_108:                             ;   in Loop: Header=BB88_59 Depth=1
	s_or_b64 exec, exec, s[6:7]
	v_lshlrev_b64 v[14:15], 2, v[2:3]
	v_mov_b32_e32 v3, s20
	v_add_co_u32_e32 v14, vcc, s19, v14
	v_addc_co_u32_e32 v15, vcc, v3, v15, vcc
	v_lshlrev_b32_e32 v3, 16, v6
	v_perm_b32 v3, v4, v3, s29
	v_lshlrev_b32_e32 v4, 8, v9
	v_and_b32_e32 v4, 0xff00, v4
	v_and_b32_e32 v5, 0xff, v13
	v_or3_b32 v3, v3, v4, v5
	v_add_u32_e32 v4, s22, v0
	v_cmp_gt_u32_e32 vcc, s18, v4
	s_mov_b64 s[8:9], -1
	global_store_dword v[14:15], v3, off
	s_and_saveexec_b64 s[6:7], vcc
	s_cbranch_execz .LBB88_57
; %bb.109:                              ;   in Loop: Header=BB88_59 Depth=1
	v_mov_b32_e32 v5, v1
	v_lshlrev_b64 v[8:9], 3, v[4:5]
	v_mov_b32_e32 v3, s42
	v_add_co_u32_e32 v6, vcc, s33, v8
	v_addc_co_u32_e32 v7, vcc, v3, v9, vcc
	global_load_dwordx2 v[6:7], v[6:7], off
	v_mov_b32_e32 v3, s15
	v_add_co_u32_e32 v8, vcc, s14, v8
	v_addc_co_u32_e32 v9, vcc, v3, v9, vcc
	global_load_dwordx2 v[8:9], v[8:9], off
	v_lshrrev_b32_e32 v3, 2, v4
	v_and_b32_e32 v3, 0xffffffc, v3
	global_load_dword v3, v3, s[0:1]
	s_waitcnt vmcnt(2)
	v_lshlrev_b32_e32 v13, 16, v6
	v_mul_f32_e32 v13, v36, v13
	v_bfe_u32 v15, v13, 16, 1
	v_add3_u32 v15, v13, v15, s23
	v_and_b32_e32 v15, 0xffff0000, v15
	v_cmp_o_f32_e32 vcc, v13, v13
	s_waitcnt vmcnt(1)
	v_lshlrev_b32_e32 v14, 16, v8
	v_cndmask_b32_e32 v13, v12, v15, vcc
	v_mul_f32_e32 v13, v13, v14
	v_bfe_u32 v14, v13, 16, 1
	v_add3_u32 v14, v13, v14, s23
	v_and_b32_e32 v14, 0xffff0000, v14
	v_cmp_o_f32_e32 vcc, v13, v13
	v_cndmask_b32_e32 v14, v12, v14, vcc
	s_waitcnt vmcnt(0)
	v_div_scale_f32 v15, s[8:9], v3, v3, v14
	v_rcp_f32_e32 v16, v15
	v_div_scale_f32 v17, vcc, v14, v3, v14
	v_mov_b32_e32 v13, 0x80
	v_fma_f32 v18, -v15, v16, 1.0
	v_fmac_f32_e32 v16, v18, v16
	v_mul_f32_e32 v18, v17, v16
	v_fma_f32 v19, -v15, v18, v17
	v_fmac_f32_e32 v18, v19, v16
	v_fma_f32 v15, -v15, v18, v17
	v_div_fmas_f32 v15, v15, v16, v18
	v_div_fixup_f32 v14, v15, v3, v14
	v_min_f32_e32 v14, 0x43600000, v14
	v_max_f32_e32 v15, 0xc3600000, v14
	v_and_b32_e32 v16, 0x7fffffff, v15
	v_cmp_gt_u32_e32 vcc, s24, v16
	v_mov_b32_e32 v14, 0x80
	s_and_saveexec_b64 s[8:9], vcc
	s_cbranch_execz .LBB88_115
; %bb.110:                              ;   in Loop: Header=BB88_59 Depth=1
	v_cmp_lt_u32_e32 vcc, s25, v16
	s_mov_b64 s[10:11], 0
                                        ; implicit-def: $vgpr16
	s_and_saveexec_b64 s[12:13], vcc
	s_xor_b64 s[12:13], exec, s[12:13]
	s_cbranch_execnz .LBB88_172
; %bb.111:                              ;   in Loop: Header=BB88_59 Depth=1
	s_or_saveexec_b64 s[12:13], s[12:13]
                                        ; implicit-def: $sgpr16
	s_xor_b64 exec, exec, s[12:13]
	s_cbranch_execnz .LBB88_173
.LBB88_112:                             ;   in Loop: Header=BB88_59 Depth=1
	s_or_b64 exec, exec, s[12:13]
	v_mov_b32_e32 v14, s16
	s_and_saveexec_b64 s[12:13], s[10:11]
.LBB88_113:                             ;   in Loop: Header=BB88_59 Depth=1
	v_lshrrev_b32_e32 v14, 24, v15
	v_and_or_b32 v14, v14, s28, v16
.LBB88_114:                             ;   in Loop: Header=BB88_59 Depth=1
	s_or_b64 exec, exec, s[12:13]
.LBB88_115:                             ;   in Loop: Header=BB88_59 Depth=1
	s_or_b64 exec, exec, s[8:9]
	v_and_b32_e32 v15, 0xffff0000, v6
	v_mul_f32_e32 v15, v36, v15
	v_bfe_u32 v17, v15, 16, 1
	v_add3_u32 v17, v15, v17, s23
	v_and_b32_e32 v17, 0xffff0000, v17
	v_cmp_o_f32_e32 vcc, v15, v15
	v_and_b32_e32 v16, 0xffff0000, v8
	v_cndmask_b32_e32 v15, v12, v17, vcc
	v_mul_f32_e32 v15, v15, v16
	v_bfe_u32 v16, v15, 16, 1
	v_add3_u32 v16, v15, v16, s23
	v_and_b32_e32 v16, 0xffff0000, v16
	v_cmp_o_f32_e32 vcc, v15, v15
	v_cndmask_b32_e32 v15, v12, v16, vcc
	v_div_scale_f32 v16, s[8:9], v3, v3, v15
	v_rcp_f32_e32 v17, v16
	v_fma_f32 v18, -v16, v17, 1.0
	v_fmac_f32_e32 v17, v18, v17
	v_div_scale_f32 v18, vcc, v15, v3, v15
	v_mul_f32_e32 v19, v18, v17
	v_fma_f32 v20, -v16, v19, v18
	v_fmac_f32_e32 v19, v20, v17
	v_fma_f32 v16, -v16, v19, v18
	v_div_fmas_f32 v16, v16, v17, v19
	v_div_fixup_f32 v15, v16, v3, v15
	v_min_f32_e32 v15, 0x43600000, v15
	v_max_f32_e32 v15, 0xc3600000, v15
	v_and_b32_e32 v16, 0x7fffffff, v15
	v_cmp_gt_u32_e32 vcc, s24, v16
	s_and_saveexec_b64 s[8:9], vcc
	s_cbranch_execz .LBB88_121
; %bb.116:                              ;   in Loop: Header=BB88_59 Depth=1
	v_cmp_lt_u32_e32 vcc, s25, v16
	s_mov_b64 s[10:11], 0
                                        ; implicit-def: $vgpr16
	s_and_saveexec_b64 s[12:13], vcc
	s_xor_b64 s[12:13], exec, s[12:13]
	s_cbranch_execnz .LBB88_174
; %bb.117:                              ;   in Loop: Header=BB88_59 Depth=1
	s_or_saveexec_b64 s[12:13], s[12:13]
                                        ; implicit-def: $sgpr16
	s_xor_b64 exec, exec, s[12:13]
	s_cbranch_execnz .LBB88_175
.LBB88_118:                             ;   in Loop: Header=BB88_59 Depth=1
	s_or_b64 exec, exec, s[12:13]
	v_mov_b32_e32 v13, s16
	s_and_saveexec_b64 s[12:13], s[10:11]
.LBB88_119:                             ;   in Loop: Header=BB88_59 Depth=1
	v_lshrrev_b32_e32 v13, 24, v15
	v_and_or_b32 v13, v13, s28, v16
.LBB88_120:                             ;   in Loop: Header=BB88_59 Depth=1
	s_or_b64 exec, exec, s[12:13]
.LBB88_121:                             ;   in Loop: Header=BB88_59 Depth=1
	s_or_b64 exec, exec, s[8:9]
	v_alignbit_b32 v6, v7, v6, 16
	v_and_b32_e32 v6, 0xffff0000, v6
	v_mul_f32_e32 v6, v36, v6
	v_bfe_u32 v15, v6, 16, 1
	v_add3_u32 v15, v6, v15, s23
	v_and_b32_e32 v15, 0xffff0000, v15
	v_cmp_o_f32_e32 vcc, v6, v6
	v_alignbit_b32 v8, v9, v8, 16
	v_cndmask_b32_e32 v6, v12, v15, vcc
	v_and_b32_e32 v8, 0xffff0000, v8
	v_mul_f32_e32 v6, v6, v8
	v_bfe_u32 v8, v6, 16, 1
	v_add3_u32 v8, v6, v8, s23
	v_and_b32_e32 v8, 0xffff0000, v8
	v_cmp_o_f32_e32 vcc, v6, v6
	v_cndmask_b32_e32 v6, v12, v8, vcc
	v_div_scale_f32 v8, s[8:9], v3, v3, v6
	v_rcp_f32_e32 v15, v8
	v_fma_f32 v16, -v8, v15, 1.0
	v_fmac_f32_e32 v15, v16, v15
	v_div_scale_f32 v16, vcc, v6, v3, v6
	v_mul_f32_e32 v17, v16, v15
	v_fma_f32 v18, -v8, v17, v16
	v_fmac_f32_e32 v17, v18, v15
	v_fma_f32 v8, -v8, v17, v16
	v_div_fmas_f32 v8, v8, v15, v17
	v_div_fixup_f32 v6, v8, v3, v6
	v_min_f32_e32 v6, 0x43600000, v6
	v_max_f32_e32 v15, 0xc3600000, v6
	v_and_b32_e32 v16, 0x7fffffff, v15
	v_cmp_gt_u32_e32 vcc, s24, v16
	v_mov_b32_e32 v6, 0x80
	v_mov_b32_e32 v8, 0x80
	s_and_saveexec_b64 s[8:9], vcc
	s_cbranch_execz .LBB88_127
; %bb.122:                              ;   in Loop: Header=BB88_59 Depth=1
	v_cmp_lt_u32_e32 vcc, s25, v16
	s_mov_b64 s[10:11], 0
                                        ; implicit-def: $vgpr16
	s_and_saveexec_b64 s[12:13], vcc
	s_xor_b64 s[12:13], exec, s[12:13]
	s_cbranch_execnz .LBB88_176
; %bb.123:                              ;   in Loop: Header=BB88_59 Depth=1
	s_or_saveexec_b64 s[12:13], s[12:13]
                                        ; implicit-def: $sgpr16
	s_xor_b64 exec, exec, s[12:13]
	s_cbranch_execnz .LBB88_177
.LBB88_124:                             ;   in Loop: Header=BB88_59 Depth=1
	s_or_b64 exec, exec, s[12:13]
	v_mov_b32_e32 v8, s16
	s_and_saveexec_b64 s[12:13], s[10:11]
.LBB88_125:                             ;   in Loop: Header=BB88_59 Depth=1
	v_lshrrev_b32_e32 v8, 24, v15
	v_and_or_b32 v8, v8, s28, v16
.LBB88_126:                             ;   in Loop: Header=BB88_59 Depth=1
	s_or_b64 exec, exec, s[12:13]
.LBB88_127:                             ;   in Loop: Header=BB88_59 Depth=1
	s_or_b64 exec, exec, s[8:9]
	v_and_b32_e32 v7, 0xffff0000, v7
	v_mul_f32_e32 v7, v36, v7
	v_bfe_u32 v15, v7, 16, 1
	v_add3_u32 v15, v7, v15, s23
	v_and_b32_e32 v15, 0xffff0000, v15
	v_cmp_o_f32_e32 vcc, v7, v7
	v_cndmask_b32_e32 v7, v12, v15, vcc
	v_and_b32_e32 v9, 0xffff0000, v9
	v_mul_f32_e32 v7, v7, v9
	v_bfe_u32 v9, v7, 16, 1
	v_add3_u32 v9, v7, v9, s23
	v_and_b32_e32 v9, 0xffff0000, v9
	v_cmp_o_f32_e32 vcc, v7, v7
	v_cndmask_b32_e32 v7, v12, v9, vcc
	v_div_scale_f32 v9, s[8:9], v3, v3, v7
	v_rcp_f32_e32 v15, v9
	v_fma_f32 v16, -v9, v15, 1.0
	v_fmac_f32_e32 v15, v16, v15
	v_div_scale_f32 v16, vcc, v7, v3, v7
	v_mul_f32_e32 v17, v16, v15
	v_fma_f32 v18, -v9, v17, v16
	v_fmac_f32_e32 v17, v18, v15
	v_fma_f32 v9, -v9, v17, v16
	v_div_fmas_f32 v9, v9, v15, v17
	v_div_fixup_f32 v3, v9, v3, v7
	v_min_f32_e32 v3, 0x43600000, v3
	v_max_f32_e32 v3, 0xc3600000, v3
	v_and_b32_e32 v7, 0x7fffffff, v3
	v_cmp_gt_u32_e32 vcc, s24, v7
	s_and_saveexec_b64 s[8:9], vcc
	s_cbranch_execz .LBB88_133
; %bb.128:                              ;   in Loop: Header=BB88_59 Depth=1
	v_cmp_lt_u32_e32 vcc, s25, v7
	s_mov_b64 s[10:11], 0
                                        ; implicit-def: $vgpr7
	s_and_saveexec_b64 s[12:13], vcc
	s_xor_b64 s[12:13], exec, s[12:13]
	s_cbranch_execnz .LBB88_178
; %bb.129:                              ;   in Loop: Header=BB88_59 Depth=1
	s_or_saveexec_b64 s[12:13], s[12:13]
                                        ; implicit-def: $sgpr16
	s_xor_b64 exec, exec, s[12:13]
	s_cbranch_execnz .LBB88_179
.LBB88_130:                             ;   in Loop: Header=BB88_59 Depth=1
	s_or_b64 exec, exec, s[12:13]
	v_mov_b32_e32 v6, s16
	s_and_saveexec_b64 s[12:13], s[10:11]
.LBB88_131:                             ;   in Loop: Header=BB88_59 Depth=1
	v_lshrrev_b32_e32 v3, 24, v3
	v_and_or_b32 v6, v3, s28, v7
.LBB88_132:                             ;   in Loop: Header=BB88_59 Depth=1
	s_or_b64 exec, exec, s[12:13]
.LBB88_133:                             ;   in Loop: Header=BB88_59 Depth=1
	s_or_b64 exec, exec, s[8:9]
	v_lshlrev_b64 v[4:5], 2, v[4:5]
	v_mov_b32_e32 v3, s20
	v_add_co_u32_e32 v4, vcc, s19, v4
	v_addc_co_u32_e32 v5, vcc, v3, v5, vcc
	v_lshlrev_b32_e32 v3, 16, v8
	v_perm_b32 v3, v6, v3, s29
	v_lshlrev_b32_e32 v6, 8, v13
	v_and_b32_e32 v6, 0xff00, v6
	v_and_b32_e32 v7, 0xff, v14
	v_add_u32_e32 v0, s21, v0
	v_or3_b32 v3, v3, v6, v7
	v_cmp_gt_u32_e32 vcc, s18, v0
	s_mov_b64 s[10:11], -1
	global_store_dword v[4:5], v3, off
	s_and_saveexec_b64 s[8:9], vcc
	s_cbranch_execz .LBB88_56
; %bb.134:                              ;   in Loop: Header=BB88_59 Depth=1
	v_lshlrev_b64 v[6:7], 3, v[0:1]
	v_mov_b32_e32 v3, s42
	v_add_co_u32_e32 v4, vcc, s33, v6
	v_addc_co_u32_e32 v5, vcc, v3, v7, vcc
	global_load_dwordx2 v[4:5], v[4:5], off
	v_mov_b32_e32 v3, s15
	v_add_co_u32_e32 v6, vcc, s14, v6
	v_addc_co_u32_e32 v7, vcc, v3, v7, vcc
	global_load_dwordx2 v[6:7], v[6:7], off
	v_lshrrev_b32_e32 v3, 2, v0
	v_and_b32_e32 v3, 0xffffffc, v3
	global_load_dword v3, v3, s[0:1]
	s_waitcnt vmcnt(2)
	v_lshlrev_b32_e32 v8, 16, v4
	v_mul_f32_e32 v8, v36, v8
	v_bfe_u32 v13, v8, 16, 1
	v_add3_u32 v13, v8, v13, s23
	v_and_b32_e32 v13, 0xffff0000, v13
	v_cmp_o_f32_e32 vcc, v8, v8
	s_waitcnt vmcnt(1)
	v_lshlrev_b32_e32 v9, 16, v6
	v_cndmask_b32_e32 v8, v12, v13, vcc
	v_mul_f32_e32 v8, v8, v9
	v_bfe_u32 v9, v8, 16, 1
	v_add3_u32 v9, v8, v9, s23
	v_and_b32_e32 v9, 0xffff0000, v9
	v_cmp_o_f32_e32 vcc, v8, v8
	v_cndmask_b32_e32 v9, v12, v9, vcc
	s_waitcnt vmcnt(0)
	v_div_scale_f32 v13, s[10:11], v3, v3, v9
	v_rcp_f32_e32 v14, v13
	v_div_scale_f32 v15, vcc, v9, v3, v9
	v_mov_b32_e32 v8, 0x80
	v_fma_f32 v16, -v13, v14, 1.0
	v_fmac_f32_e32 v14, v16, v14
	v_mul_f32_e32 v16, v15, v14
	v_fma_f32 v17, -v13, v16, v15
	v_fmac_f32_e32 v16, v17, v14
	v_fma_f32 v13, -v13, v16, v15
	v_div_fmas_f32 v13, v13, v14, v16
	v_div_fixup_f32 v9, v13, v3, v9
	v_min_f32_e32 v9, 0x43600000, v9
	v_max_f32_e32 v13, 0xc3600000, v9
	v_and_b32_e32 v14, 0x7fffffff, v13
	v_cmp_gt_u32_e32 vcc, s24, v14
	v_mov_b32_e32 v9, 0x80
	s_and_saveexec_b64 s[10:11], vcc
	s_cbranch_execz .LBB88_140
; %bb.135:                              ;   in Loop: Header=BB88_59 Depth=1
	v_cmp_lt_u32_e32 vcc, s25, v14
	s_mov_b64 s[12:13], 0
                                        ; implicit-def: $vgpr14
	s_and_saveexec_b64 s[16:17], vcc
	s_xor_b64 s[16:17], exec, s[16:17]
	s_cbranch_execnz .LBB88_180
; %bb.136:                              ;   in Loop: Header=BB88_59 Depth=1
	s_or_saveexec_b64 s[16:17], s[16:17]
                                        ; implicit-def: $sgpr30
	s_xor_b64 exec, exec, s[16:17]
	s_cbranch_execnz .LBB88_181
.LBB88_137:                             ;   in Loop: Header=BB88_59 Depth=1
	s_or_b64 exec, exec, s[16:17]
	v_mov_b32_e32 v9, s30
	s_and_saveexec_b64 s[16:17], s[12:13]
.LBB88_138:                             ;   in Loop: Header=BB88_59 Depth=1
	v_lshrrev_b32_e32 v9, 24, v13
	v_and_or_b32 v9, v9, s28, v14
.LBB88_139:                             ;   in Loop: Header=BB88_59 Depth=1
	s_or_b64 exec, exec, s[16:17]
.LBB88_140:                             ;   in Loop: Header=BB88_59 Depth=1
	s_or_b64 exec, exec, s[10:11]
	v_and_b32_e32 v13, 0xffff0000, v4
	v_mul_f32_e32 v13, v36, v13
	v_bfe_u32 v15, v13, 16, 1
	v_add3_u32 v15, v13, v15, s23
	v_and_b32_e32 v15, 0xffff0000, v15
	v_cmp_o_f32_e32 vcc, v13, v13
	v_and_b32_e32 v14, 0xffff0000, v6
	v_cndmask_b32_e32 v13, v12, v15, vcc
	v_mul_f32_e32 v13, v13, v14
	v_bfe_u32 v14, v13, 16, 1
	v_add3_u32 v14, v13, v14, s23
	v_and_b32_e32 v14, 0xffff0000, v14
	v_cmp_o_f32_e32 vcc, v13, v13
	v_cndmask_b32_e32 v13, v12, v14, vcc
	v_div_scale_f32 v14, s[10:11], v3, v3, v13
	v_rcp_f32_e32 v15, v14
	v_fma_f32 v16, -v14, v15, 1.0
	v_fmac_f32_e32 v15, v16, v15
	v_div_scale_f32 v16, vcc, v13, v3, v13
	v_mul_f32_e32 v17, v16, v15
	v_fma_f32 v18, -v14, v17, v16
	v_fmac_f32_e32 v17, v18, v15
	v_fma_f32 v14, -v14, v17, v16
	v_div_fmas_f32 v14, v14, v15, v17
	v_div_fixup_f32 v13, v14, v3, v13
	v_min_f32_e32 v13, 0x43600000, v13
	v_max_f32_e32 v13, 0xc3600000, v13
	v_and_b32_e32 v14, 0x7fffffff, v13
	v_cmp_gt_u32_e32 vcc, s24, v14
	s_and_saveexec_b64 s[10:11], vcc
	s_cbranch_execz .LBB88_146
; %bb.141:                              ;   in Loop: Header=BB88_59 Depth=1
	v_cmp_lt_u32_e32 vcc, s25, v14
	s_mov_b64 s[12:13], 0
                                        ; implicit-def: $vgpr14
	s_and_saveexec_b64 s[16:17], vcc
	s_xor_b64 s[16:17], exec, s[16:17]
	s_cbranch_execnz .LBB88_182
; %bb.142:                              ;   in Loop: Header=BB88_59 Depth=1
	s_or_saveexec_b64 s[16:17], s[16:17]
                                        ; implicit-def: $sgpr30
	s_xor_b64 exec, exec, s[16:17]
	s_cbranch_execnz .LBB88_183
.LBB88_143:                             ;   in Loop: Header=BB88_59 Depth=1
	s_or_b64 exec, exec, s[16:17]
	v_mov_b32_e32 v8, s30
	s_and_saveexec_b64 s[16:17], s[12:13]
.LBB88_144:                             ;   in Loop: Header=BB88_59 Depth=1
	v_lshrrev_b32_e32 v8, 24, v13
	v_and_or_b32 v8, v8, s28, v14
.LBB88_145:                             ;   in Loop: Header=BB88_59 Depth=1
	s_or_b64 exec, exec, s[16:17]
.LBB88_146:                             ;   in Loop: Header=BB88_59 Depth=1
	s_or_b64 exec, exec, s[10:11]
	v_alignbit_b32 v4, v5, v4, 16
	v_and_b32_e32 v4, 0xffff0000, v4
	v_mul_f32_e32 v4, v36, v4
	v_bfe_u32 v13, v4, 16, 1
	v_add3_u32 v13, v4, v13, s23
	v_and_b32_e32 v13, 0xffff0000, v13
	v_cmp_o_f32_e32 vcc, v4, v4
	v_alignbit_b32 v6, v7, v6, 16
	v_cndmask_b32_e32 v4, v12, v13, vcc
	v_and_b32_e32 v6, 0xffff0000, v6
	v_mul_f32_e32 v4, v4, v6
	v_bfe_u32 v6, v4, 16, 1
	v_add3_u32 v6, v4, v6, s23
	v_and_b32_e32 v6, 0xffff0000, v6
	v_cmp_o_f32_e32 vcc, v4, v4
	v_cndmask_b32_e32 v4, v12, v6, vcc
	v_div_scale_f32 v6, s[10:11], v3, v3, v4
	v_rcp_f32_e32 v13, v6
	v_fma_f32 v14, -v6, v13, 1.0
	v_fmac_f32_e32 v13, v14, v13
	v_div_scale_f32 v14, vcc, v4, v3, v4
	v_mul_f32_e32 v15, v14, v13
	v_fma_f32 v16, -v6, v15, v14
	v_fmac_f32_e32 v15, v16, v13
	v_fma_f32 v6, -v6, v15, v14
	v_div_fmas_f32 v6, v6, v13, v15
	v_div_fixup_f32 v4, v6, v3, v4
	v_min_f32_e32 v4, 0x43600000, v4
	v_max_f32_e32 v13, 0xc3600000, v4
	v_and_b32_e32 v14, 0x7fffffff, v13
	v_cmp_gt_u32_e32 vcc, s24, v14
	v_mov_b32_e32 v4, 0x80
	v_mov_b32_e32 v6, 0x80
	s_and_saveexec_b64 s[10:11], vcc
	s_cbranch_execz .LBB88_152
; %bb.147:                              ;   in Loop: Header=BB88_59 Depth=1
	v_cmp_lt_u32_e32 vcc, s25, v14
	s_mov_b64 s[12:13], 0
                                        ; implicit-def: $vgpr14
	s_and_saveexec_b64 s[16:17], vcc
	s_xor_b64 s[16:17], exec, s[16:17]
	s_cbranch_execnz .LBB88_184
; %bb.148:                              ;   in Loop: Header=BB88_59 Depth=1
	s_or_saveexec_b64 s[16:17], s[16:17]
                                        ; implicit-def: $sgpr30
	s_xor_b64 exec, exec, s[16:17]
	s_cbranch_execnz .LBB88_185
.LBB88_149:                             ;   in Loop: Header=BB88_59 Depth=1
	s_or_b64 exec, exec, s[16:17]
	v_mov_b32_e32 v6, s30
	s_and_saveexec_b64 s[16:17], s[12:13]
.LBB88_150:                             ;   in Loop: Header=BB88_59 Depth=1
	v_lshrrev_b32_e32 v6, 24, v13
	v_and_or_b32 v6, v6, s28, v14
.LBB88_151:                             ;   in Loop: Header=BB88_59 Depth=1
	s_or_b64 exec, exec, s[16:17]
.LBB88_152:                             ;   in Loop: Header=BB88_59 Depth=1
	s_or_b64 exec, exec, s[10:11]
	v_and_b32_e32 v5, 0xffff0000, v5
	v_mul_f32_e32 v5, v36, v5
	v_bfe_u32 v13, v5, 16, 1
	v_add3_u32 v13, v5, v13, s23
	v_and_b32_e32 v13, 0xffff0000, v13
	v_cmp_o_f32_e32 vcc, v5, v5
	v_cndmask_b32_e32 v5, v12, v13, vcc
	v_and_b32_e32 v7, 0xffff0000, v7
	v_mul_f32_e32 v5, v5, v7
	v_bfe_u32 v7, v5, 16, 1
	v_add3_u32 v7, v5, v7, s23
	v_and_b32_e32 v7, 0xffff0000, v7
	v_cmp_o_f32_e32 vcc, v5, v5
	v_cndmask_b32_e32 v5, v12, v7, vcc
	v_div_scale_f32 v7, s[10:11], v3, v3, v5
	v_rcp_f32_e32 v13, v7
	v_fma_f32 v14, -v7, v13, 1.0
	v_fmac_f32_e32 v13, v14, v13
	v_div_scale_f32 v14, vcc, v5, v3, v5
	v_mul_f32_e32 v15, v14, v13
	v_fma_f32 v16, -v7, v15, v14
	v_fmac_f32_e32 v15, v16, v13
	v_fma_f32 v7, -v7, v15, v14
	v_div_fmas_f32 v7, v7, v13, v15
	v_div_fixup_f32 v3, v7, v3, v5
	v_min_f32_e32 v3, 0x43600000, v3
	v_max_f32_e32 v3, 0xc3600000, v3
	v_and_b32_e32 v5, 0x7fffffff, v3
	v_cmp_gt_u32_e32 vcc, s24, v5
	s_and_saveexec_b64 s[10:11], vcc
	s_cbranch_execz .LBB88_55
; %bb.153:                              ;   in Loop: Header=BB88_59 Depth=1
	v_cmp_lt_u32_e32 vcc, s25, v5
	s_mov_b64 s[12:13], 0
                                        ; implicit-def: $vgpr5
	s_and_saveexec_b64 s[16:17], vcc
	s_xor_b64 s[16:17], exec, s[16:17]
	s_cbranch_execnz .LBB88_186
; %bb.154:                              ;   in Loop: Header=BB88_59 Depth=1
	s_or_saveexec_b64 s[16:17], s[16:17]
                                        ; implicit-def: $sgpr30
	s_xor_b64 exec, exec, s[16:17]
	s_cbranch_execnz .LBB88_187
.LBB88_155:                             ;   in Loop: Header=BB88_59 Depth=1
	s_or_b64 exec, exec, s[16:17]
	v_mov_b32_e32 v4, s30
	s_and_saveexec_b64 s[16:17], s[12:13]
	s_cbranch_execz .LBB88_54
	s_branch .LBB88_188
.LBB88_156:                             ;   in Loop: Header=BB88_59 Depth=1
	v_bfe_u32 v8, v9, 20, 1
	v_add3_u32 v8, v9, v8, s26
	s_mov_b64 s[6:7], exec
	v_lshrrev_b32_e32 v13, 20, v8
	s_or_saveexec_b64 s[8:9], s[8:9]
                                        ; implicit-def: $sgpr10
	s_xor_b64 exec, exec, s[8:9]
	s_cbranch_execz .LBB88_62
.LBB88_157:                             ;   in Loop: Header=BB88_59 Depth=1
	v_add_f32_e64 v8, |v9|, s27
	v_and_b32_e32 v13, 0xff, v8
	v_cmp_ne_u32_e32 vcc, 0, v13
	s_andn2_b64 s[6:7], s[6:7], exec
	s_and_b64 s[12:13], vcc, exec
	s_mov_b32 s10, 0
	s_or_b64 s[6:7], s[6:7], s[12:13]
	s_or_b64 exec, exec, s[8:9]
	v_mov_b32_e32 v8, s10
	s_and_saveexec_b64 s[8:9], s[6:7]
	s_cbranch_execnz .LBB88_63
	s_branch .LBB88_64
.LBB88_158:                             ;   in Loop: Header=BB88_59 Depth=1
	v_bfe_u32 v7, v9, 20, 1
	v_add3_u32 v7, v9, v7, s26
	s_mov_b64 s[6:7], exec
	v_lshrrev_b32_e32 v13, 20, v7
	s_or_saveexec_b64 s[8:9], s[8:9]
                                        ; implicit-def: $sgpr10
	s_xor_b64 exec, exec, s[8:9]
	s_cbranch_execz .LBB88_68
.LBB88_159:                             ;   in Loop: Header=BB88_59 Depth=1
	v_add_f32_e64 v7, |v9|, s27
	v_and_b32_e32 v13, 0xff, v7
	v_cmp_ne_u32_e32 vcc, 0, v13
	s_andn2_b64 s[6:7], s[6:7], exec
	s_and_b64 s[12:13], vcc, exec
	s_mov_b32 s10, 0
	s_or_b64 s[6:7], s[6:7], s[12:13]
	s_or_b64 exec, exec, s[8:9]
	v_mov_b32_e32 v7, s10
	s_and_saveexec_b64 s[8:9], s[6:7]
	s_cbranch_execnz .LBB88_69
	s_branch .LBB88_70
.LBB88_160:                             ;   in Loop: Header=BB88_59 Depth=1
	v_bfe_u32 v4, v9, 20, 1
	v_add3_u32 v4, v9, v4, s26
	s_mov_b64 s[6:7], exec
	v_lshrrev_b32_e32 v13, 20, v4
	s_or_saveexec_b64 s[8:9], s[8:9]
                                        ; implicit-def: $sgpr10
	s_xor_b64 exec, exec, s[8:9]
	s_cbranch_execz .LBB88_74
.LBB88_161:                             ;   in Loop: Header=BB88_59 Depth=1
	v_add_f32_e64 v4, |v9|, s27
	v_and_b32_e32 v13, 0xff, v4
	v_cmp_ne_u32_e32 vcc, 0, v13
	s_andn2_b64 s[6:7], s[6:7], exec
	s_and_b64 s[12:13], vcc, exec
	s_mov_b32 s10, 0
	s_or_b64 s[6:7], s[6:7], s[12:13]
	s_or_b64 exec, exec, s[8:9]
	v_mov_b32_e32 v4, s10
	s_and_saveexec_b64 s[8:9], s[6:7]
	s_cbranch_execnz .LBB88_75
	s_branch .LBB88_76
.LBB88_162:                             ;   in Loop: Header=BB88_59 Depth=1
	v_bfe_u32 v2, v3, 20, 1
	v_add3_u32 v2, v3, v2, s26
	s_mov_b64 s[6:7], exec
	v_lshrrev_b32_e32 v5, 20, v2
	s_or_saveexec_b64 s[8:9], s[8:9]
                                        ; implicit-def: $sgpr10
	s_xor_b64 exec, exec, s[8:9]
	s_cbranch_execz .LBB88_80
.LBB88_163:                             ;   in Loop: Header=BB88_59 Depth=1
	v_add_f32_e64 v2, |v3|, s27
	v_and_b32_e32 v5, 0xff, v2
	v_cmp_ne_u32_e32 vcc, 0, v5
	s_andn2_b64 s[6:7], s[6:7], exec
	s_and_b64 s[12:13], vcc, exec
	s_mov_b32 s10, 0
	s_or_b64 s[6:7], s[6:7], s[12:13]
	s_or_b64 exec, exec, s[8:9]
	v_mov_b32_e32 v2, s10
	s_and_saveexec_b64 s[8:9], s[6:7]
	s_cbranch_execnz .LBB88_81
	s_branch .LBB88_82
.LBB88_164:                             ;   in Loop: Header=BB88_59 Depth=1
	v_bfe_u32 v13, v14, 20, 1
	v_add3_u32 v13, v14, v13, s26
	s_mov_b64 s[8:9], exec
	v_lshrrev_b32_e32 v15, 20, v13
	s_or_saveexec_b64 s[10:11], s[10:11]
                                        ; implicit-def: $sgpr12
	s_xor_b64 exec, exec, s[10:11]
	s_cbranch_execz .LBB88_87
.LBB88_165:                             ;   in Loop: Header=BB88_59 Depth=1
	v_add_f32_e64 v13, |v14|, s27
	v_and_b32_e32 v15, 0xff, v13
	v_cmp_ne_u32_e32 vcc, 0, v15
	s_andn2_b64 s[8:9], s[8:9], exec
	s_and_b64 s[16:17], vcc, exec
	s_mov_b32 s12, 0
	s_or_b64 s[8:9], s[8:9], s[16:17]
	s_or_b64 exec, exec, s[10:11]
	v_mov_b32_e32 v13, s12
	s_and_saveexec_b64 s[10:11], s[8:9]
	s_cbranch_execnz .LBB88_88
	s_branch .LBB88_89
.LBB88_166:                             ;   in Loop: Header=BB88_59 Depth=1
	v_bfe_u32 v9, v14, 20, 1
	v_add3_u32 v9, v14, v9, s26
	s_mov_b64 s[8:9], exec
	v_lshrrev_b32_e32 v15, 20, v9
	s_or_saveexec_b64 s[10:11], s[10:11]
                                        ; implicit-def: $sgpr12
	s_xor_b64 exec, exec, s[10:11]
	s_cbranch_execz .LBB88_93
.LBB88_167:                             ;   in Loop: Header=BB88_59 Depth=1
	v_add_f32_e64 v9, |v14|, s27
	v_and_b32_e32 v15, 0xff, v9
	v_cmp_ne_u32_e32 vcc, 0, v15
	s_andn2_b64 s[8:9], s[8:9], exec
	s_and_b64 s[16:17], vcc, exec
	s_mov_b32 s12, 0
	s_or_b64 s[8:9], s[8:9], s[16:17]
	s_or_b64 exec, exec, s[10:11]
	v_mov_b32_e32 v9, s12
	s_and_saveexec_b64 s[10:11], s[8:9]
	s_cbranch_execnz .LBB88_94
	s_branch .LBB88_95
.LBB88_168:                             ;   in Loop: Header=BB88_59 Depth=1
	v_bfe_u32 v6, v14, 20, 1
	v_add3_u32 v6, v14, v6, s26
	s_mov_b64 s[8:9], exec
	v_lshrrev_b32_e32 v15, 20, v6
	s_or_saveexec_b64 s[10:11], s[10:11]
                                        ; implicit-def: $sgpr12
	s_xor_b64 exec, exec, s[10:11]
	s_cbranch_execz .LBB88_99
.LBB88_169:                             ;   in Loop: Header=BB88_59 Depth=1
	v_add_f32_e64 v6, |v14|, s27
	v_and_b32_e32 v15, 0xff, v6
	v_cmp_ne_u32_e32 vcc, 0, v15
	s_andn2_b64 s[8:9], s[8:9], exec
	s_and_b64 s[16:17], vcc, exec
	s_mov_b32 s12, 0
	s_or_b64 s[8:9], s[8:9], s[16:17]
	s_or_b64 exec, exec, s[10:11]
	v_mov_b32_e32 v6, s12
	s_and_saveexec_b64 s[10:11], s[8:9]
	s_cbranch_execnz .LBB88_100
	s_branch .LBB88_101
.LBB88_170:                             ;   in Loop: Header=BB88_59 Depth=1
	v_bfe_u32 v4, v5, 20, 1
	v_add3_u32 v4, v5, v4, s26
	s_mov_b64 s[8:9], exec
	v_lshrrev_b32_e32 v7, 20, v4
	s_or_saveexec_b64 s[10:11], s[10:11]
                                        ; implicit-def: $sgpr12
	s_xor_b64 exec, exec, s[10:11]
	s_cbranch_execz .LBB88_105
.LBB88_171:                             ;   in Loop: Header=BB88_59 Depth=1
	v_add_f32_e64 v4, |v5|, s27
	v_and_b32_e32 v7, 0xff, v4
	v_cmp_ne_u32_e32 vcc, 0, v7
	s_andn2_b64 s[8:9], s[8:9], exec
	s_and_b64 s[16:17], vcc, exec
	s_mov_b32 s12, 0
	s_or_b64 s[8:9], s[8:9], s[16:17]
	s_or_b64 exec, exec, s[10:11]
	v_mov_b32_e32 v4, s12
	s_and_saveexec_b64 s[10:11], s[8:9]
	s_cbranch_execnz .LBB88_106
	s_branch .LBB88_107
.LBB88_172:                             ;   in Loop: Header=BB88_59 Depth=1
	v_bfe_u32 v14, v15, 20, 1
	v_add3_u32 v14, v15, v14, s26
	s_mov_b64 s[10:11], exec
	v_lshrrev_b32_e32 v16, 20, v14
	s_or_saveexec_b64 s[12:13], s[12:13]
                                        ; implicit-def: $sgpr16
	s_xor_b64 exec, exec, s[12:13]
	s_cbranch_execz .LBB88_112
.LBB88_173:                             ;   in Loop: Header=BB88_59 Depth=1
	v_add_f32_e64 v14, |v15|, s27
	v_and_b32_e32 v16, 0xff, v14
	v_cmp_ne_u32_e32 vcc, 0, v16
	s_andn2_b64 s[10:11], s[10:11], exec
	s_and_b64 s[30:31], vcc, exec
	s_mov_b32 s16, 0
	s_or_b64 s[10:11], s[10:11], s[30:31]
	s_or_b64 exec, exec, s[12:13]
	v_mov_b32_e32 v14, s16
	s_and_saveexec_b64 s[12:13], s[10:11]
	s_cbranch_execnz .LBB88_113
	s_branch .LBB88_114
.LBB88_174:                             ;   in Loop: Header=BB88_59 Depth=1
	v_bfe_u32 v13, v15, 20, 1
	v_add3_u32 v13, v15, v13, s26
	s_mov_b64 s[10:11], exec
	v_lshrrev_b32_e32 v16, 20, v13
	s_or_saveexec_b64 s[12:13], s[12:13]
                                        ; implicit-def: $sgpr16
	s_xor_b64 exec, exec, s[12:13]
	s_cbranch_execz .LBB88_118
.LBB88_175:                             ;   in Loop: Header=BB88_59 Depth=1
	v_add_f32_e64 v13, |v15|, s27
	v_and_b32_e32 v16, 0xff, v13
	v_cmp_ne_u32_e32 vcc, 0, v16
	s_andn2_b64 s[10:11], s[10:11], exec
	s_and_b64 s[30:31], vcc, exec
	s_mov_b32 s16, 0
	s_or_b64 s[10:11], s[10:11], s[30:31]
	s_or_b64 exec, exec, s[12:13]
	v_mov_b32_e32 v13, s16
	s_and_saveexec_b64 s[12:13], s[10:11]
	s_cbranch_execnz .LBB88_119
	s_branch .LBB88_120
.LBB88_176:                             ;   in Loop: Header=BB88_59 Depth=1
	v_bfe_u32 v8, v15, 20, 1
	v_add3_u32 v8, v15, v8, s26
	s_mov_b64 s[10:11], exec
	v_lshrrev_b32_e32 v16, 20, v8
	s_or_saveexec_b64 s[12:13], s[12:13]
                                        ; implicit-def: $sgpr16
	s_xor_b64 exec, exec, s[12:13]
	s_cbranch_execz .LBB88_124
.LBB88_177:                             ;   in Loop: Header=BB88_59 Depth=1
	v_add_f32_e64 v8, |v15|, s27
	v_and_b32_e32 v16, 0xff, v8
	v_cmp_ne_u32_e32 vcc, 0, v16
	s_andn2_b64 s[10:11], s[10:11], exec
	s_and_b64 s[30:31], vcc, exec
	s_mov_b32 s16, 0
	s_or_b64 s[10:11], s[10:11], s[30:31]
	s_or_b64 exec, exec, s[12:13]
	v_mov_b32_e32 v8, s16
	s_and_saveexec_b64 s[12:13], s[10:11]
	s_cbranch_execnz .LBB88_125
	s_branch .LBB88_126
.LBB88_178:                             ;   in Loop: Header=BB88_59 Depth=1
	v_bfe_u32 v6, v3, 20, 1
	v_add3_u32 v6, v3, v6, s26
	s_mov_b64 s[10:11], exec
	v_lshrrev_b32_e32 v7, 20, v6
	s_or_saveexec_b64 s[12:13], s[12:13]
                                        ; implicit-def: $sgpr16
	s_xor_b64 exec, exec, s[12:13]
	s_cbranch_execz .LBB88_130
.LBB88_179:                             ;   in Loop: Header=BB88_59 Depth=1
	v_add_f32_e64 v6, |v3|, s27
	v_and_b32_e32 v7, 0xff, v6
	v_cmp_ne_u32_e32 vcc, 0, v7
	s_andn2_b64 s[10:11], s[10:11], exec
	s_and_b64 s[30:31], vcc, exec
	s_mov_b32 s16, 0
	s_or_b64 s[10:11], s[10:11], s[30:31]
	s_or_b64 exec, exec, s[12:13]
	v_mov_b32_e32 v6, s16
	s_and_saveexec_b64 s[12:13], s[10:11]
	s_cbranch_execnz .LBB88_131
	s_branch .LBB88_132
.LBB88_180:                             ;   in Loop: Header=BB88_59 Depth=1
	v_bfe_u32 v9, v13, 20, 1
	v_add3_u32 v9, v13, v9, s26
	s_mov_b64 s[12:13], exec
	v_lshrrev_b32_e32 v14, 20, v9
	s_or_saveexec_b64 s[16:17], s[16:17]
                                        ; implicit-def: $sgpr30
	s_xor_b64 exec, exec, s[16:17]
	s_cbranch_execz .LBB88_137
.LBB88_181:                             ;   in Loop: Header=BB88_59 Depth=1
	v_add_f32_e64 v9, |v13|, s27
	v_and_b32_e32 v14, 0xff, v9
	v_cmp_ne_u32_e32 vcc, 0, v14
	s_andn2_b64 s[12:13], s[12:13], exec
	s_and_b64 s[34:35], vcc, exec
	s_mov_b32 s30, 0
	s_or_b64 s[12:13], s[12:13], s[34:35]
	s_or_b64 exec, exec, s[16:17]
	v_mov_b32_e32 v9, s30
	s_and_saveexec_b64 s[16:17], s[12:13]
	s_cbranch_execnz .LBB88_138
	s_branch .LBB88_139
.LBB88_182:                             ;   in Loop: Header=BB88_59 Depth=1
	v_bfe_u32 v8, v13, 20, 1
	v_add3_u32 v8, v13, v8, s26
	s_mov_b64 s[12:13], exec
	v_lshrrev_b32_e32 v14, 20, v8
	s_or_saveexec_b64 s[16:17], s[16:17]
                                        ; implicit-def: $sgpr30
	s_xor_b64 exec, exec, s[16:17]
	s_cbranch_execz .LBB88_143
.LBB88_183:                             ;   in Loop: Header=BB88_59 Depth=1
	v_add_f32_e64 v8, |v13|, s27
	v_and_b32_e32 v14, 0xff, v8
	v_cmp_ne_u32_e32 vcc, 0, v14
	s_andn2_b64 s[12:13], s[12:13], exec
	s_and_b64 s[34:35], vcc, exec
	s_mov_b32 s30, 0
	s_or_b64 s[12:13], s[12:13], s[34:35]
	s_or_b64 exec, exec, s[16:17]
	v_mov_b32_e32 v8, s30
	s_and_saveexec_b64 s[16:17], s[12:13]
	s_cbranch_execnz .LBB88_144
	s_branch .LBB88_145
.LBB88_184:                             ;   in Loop: Header=BB88_59 Depth=1
	v_bfe_u32 v6, v13, 20, 1
	v_add3_u32 v6, v13, v6, s26
	s_mov_b64 s[12:13], exec
	v_lshrrev_b32_e32 v14, 20, v6
	s_or_saveexec_b64 s[16:17], s[16:17]
                                        ; implicit-def: $sgpr30
	s_xor_b64 exec, exec, s[16:17]
	s_cbranch_execz .LBB88_149
.LBB88_185:                             ;   in Loop: Header=BB88_59 Depth=1
	v_add_f32_e64 v6, |v13|, s27
	v_and_b32_e32 v14, 0xff, v6
	v_cmp_ne_u32_e32 vcc, 0, v14
	s_andn2_b64 s[12:13], s[12:13], exec
	s_and_b64 s[34:35], vcc, exec
	s_mov_b32 s30, 0
	s_or_b64 s[12:13], s[12:13], s[34:35]
	s_or_b64 exec, exec, s[16:17]
	v_mov_b32_e32 v6, s30
	s_and_saveexec_b64 s[16:17], s[12:13]
	s_cbranch_execnz .LBB88_150
	s_branch .LBB88_151
.LBB88_186:                             ;   in Loop: Header=BB88_59 Depth=1
	v_bfe_u32 v4, v3, 20, 1
	v_add3_u32 v4, v3, v4, s26
	s_mov_b64 s[12:13], exec
	v_lshrrev_b32_e32 v5, 20, v4
	s_or_saveexec_b64 s[16:17], s[16:17]
                                        ; implicit-def: $sgpr30
	s_xor_b64 exec, exec, s[16:17]
	s_cbranch_execz .LBB88_155
.LBB88_187:                             ;   in Loop: Header=BB88_59 Depth=1
	v_add_f32_e64 v4, |v3|, s27
	v_and_b32_e32 v5, 0xff, v4
	v_cmp_ne_u32_e32 vcc, 0, v5
	s_andn2_b64 s[12:13], s[12:13], exec
	s_and_b64 s[34:35], vcc, exec
	s_mov_b32 s30, 0
	s_or_b64 s[12:13], s[12:13], s[34:35]
	s_or_b64 exec, exec, s[16:17]
	v_mov_b32_e32 v4, s30
	s_and_saveexec_b64 s[16:17], s[12:13]
	s_cbranch_execz .LBB88_54
.LBB88_188:                             ;   in Loop: Header=BB88_59 Depth=1
	v_lshrrev_b32_e32 v3, 24, v3
	v_and_or_b32 v4, v3, s28, v5
	s_branch .LBB88_54
.LBB88_189:
	s_endpgm
	.section	.rodata,"a",@progbits
	.p2align	6, 0x0
	.amdhsa_kernel _ZN4vllm31rms_norm_per_block_quant_kernelIN3c108BFloat16ENS1_15Float8_e4m3fnuzELb0ELb0ELi64EEEvPT0_PfPKT_S9_PKffiiPS7_l
		.amdhsa_group_segment_fixed_size 4164
		.amdhsa_private_segment_fixed_size 0
		.amdhsa_kernarg_size 328
		.amdhsa_user_sgpr_count 6
		.amdhsa_user_sgpr_private_segment_buffer 1
		.amdhsa_user_sgpr_dispatch_ptr 0
		.amdhsa_user_sgpr_queue_ptr 0
		.amdhsa_user_sgpr_kernarg_segment_ptr 1
		.amdhsa_user_sgpr_dispatch_id 0
		.amdhsa_user_sgpr_flat_scratch_init 0
		.amdhsa_user_sgpr_kernarg_preload_length 0
		.amdhsa_user_sgpr_kernarg_preload_offset 0
		.amdhsa_user_sgpr_private_segment_size 0
		.amdhsa_uses_dynamic_stack 0
		.amdhsa_system_sgpr_private_segment_wavefront_offset 0
		.amdhsa_system_sgpr_workgroup_id_x 1
		.amdhsa_system_sgpr_workgroup_id_y 0
		.amdhsa_system_sgpr_workgroup_id_z 0
		.amdhsa_system_sgpr_workgroup_info 0
		.amdhsa_system_vgpr_workitem_id 0
		.amdhsa_next_free_vgpr 48
		.amdhsa_next_free_sgpr 44
		.amdhsa_accum_offset 48
		.amdhsa_reserve_vcc 1
		.amdhsa_reserve_flat_scratch 0
		.amdhsa_float_round_mode_32 0
		.amdhsa_float_round_mode_16_64 0
		.amdhsa_float_denorm_mode_32 3
		.amdhsa_float_denorm_mode_16_64 3
		.amdhsa_dx10_clamp 1
		.amdhsa_ieee_mode 1
		.amdhsa_fp16_overflow 0
		.amdhsa_tg_split 0
		.amdhsa_exception_fp_ieee_invalid_op 0
		.amdhsa_exception_fp_denorm_src 0
		.amdhsa_exception_fp_ieee_div_zero 0
		.amdhsa_exception_fp_ieee_overflow 0
		.amdhsa_exception_fp_ieee_underflow 0
		.amdhsa_exception_fp_ieee_inexact 0
		.amdhsa_exception_int_div_zero 0
	.end_amdhsa_kernel
	.section	.text._ZN4vllm31rms_norm_per_block_quant_kernelIN3c108BFloat16ENS1_15Float8_e4m3fnuzELb0ELb0ELi64EEEvPT0_PfPKT_S9_PKffiiPS7_l,"axG",@progbits,_ZN4vllm31rms_norm_per_block_quant_kernelIN3c108BFloat16ENS1_15Float8_e4m3fnuzELb0ELb0ELi64EEEvPT0_PfPKT_S9_PKffiiPS7_l,comdat
.Lfunc_end88:
	.size	_ZN4vllm31rms_norm_per_block_quant_kernelIN3c108BFloat16ENS1_15Float8_e4m3fnuzELb0ELb0ELi64EEEvPT0_PfPKT_S9_PKffiiPS7_l, .Lfunc_end88-_ZN4vllm31rms_norm_per_block_quant_kernelIN3c108BFloat16ENS1_15Float8_e4m3fnuzELb0ELb0ELi64EEEvPT0_PfPKT_S9_PKffiiPS7_l
                                        ; -- End function
	.section	.AMDGPU.csdata,"",@progbits
; Kernel info:
; codeLenInByte = 12136
; NumSgprs: 48
; NumVgprs: 48
; NumAgprs: 0
; TotalNumVgprs: 48
; ScratchSize: 0
; MemoryBound: 0
; FloatMode: 240
; IeeeMode: 1
; LDSByteSize: 4164 bytes/workgroup (compile time only)
; SGPRBlocks: 5
; VGPRBlocks: 5
; NumSGPRsForWavesPerEU: 48
; NumVGPRsForWavesPerEU: 48
; AccumOffset: 48
; Occupancy: 8
; WaveLimiterHint : 0
; COMPUTE_PGM_RSRC2:SCRATCH_EN: 0
; COMPUTE_PGM_RSRC2:USER_SGPR: 6
; COMPUTE_PGM_RSRC2:TRAP_HANDLER: 0
; COMPUTE_PGM_RSRC2:TGID_X_EN: 1
; COMPUTE_PGM_RSRC2:TGID_Y_EN: 0
; COMPUTE_PGM_RSRC2:TGID_Z_EN: 0
; COMPUTE_PGM_RSRC2:TIDIG_COMP_CNT: 0
; COMPUTE_PGM_RSRC3_GFX90A:ACCUM_OFFSET: 11
; COMPUTE_PGM_RSRC3_GFX90A:TG_SPLIT: 0
	.section	.text._ZN4vllm31rms_norm_per_block_quant_kernelIN3c108BFloat16EaLb0ELb0ELi64EEEvPT0_PfPKT_S8_PKffiiPS6_l,"axG",@progbits,_ZN4vllm31rms_norm_per_block_quant_kernelIN3c108BFloat16EaLb0ELb0ELi64EEEvPT0_PfPKT_S8_PKffiiPS6_l,comdat
	.protected	_ZN4vllm31rms_norm_per_block_quant_kernelIN3c108BFloat16EaLb0ELb0ELi64EEEvPT0_PfPKT_S8_PKffiiPS6_l ; -- Begin function _ZN4vllm31rms_norm_per_block_quant_kernelIN3c108BFloat16EaLb0ELb0ELi64EEEvPT0_PfPKT_S8_PKffiiPS6_l
	.globl	_ZN4vllm31rms_norm_per_block_quant_kernelIN3c108BFloat16EaLb0ELb0ELi64EEEvPT0_PfPKT_S8_PKffiiPS6_l
	.p2align	8
	.type	_ZN4vllm31rms_norm_per_block_quant_kernelIN3c108BFloat16EaLb0ELb0ELi64EEEvPT0_PfPKT_S8_PKffiiPS6_l,@function
_ZN4vllm31rms_norm_per_block_quant_kernelIN3c108BFloat16EaLb0ELb0ELi64EEEvPT0_PfPKT_S8_PKffiiPS6_l: ; @_ZN4vllm31rms_norm_per_block_quant_kernelIN3c108BFloat16EaLb0ELb0ELi64EEEvPT0_PfPKT_S8_PKffiiPS6_l
; %bb.0:
	s_load_dwordx4 s[16:19], s[4:5], 0x28
	s_load_dwordx8 s[8:15], s[4:5], 0x0
	v_mov_b32_e32 v1, 0
	s_waitcnt lgkmcnt(0)
	s_ashr_i32 s0, s18, 31
	s_mul_hi_u32 s1, s18, s6
	s_mul_i32 s0, s0, s6
	s_add_i32 s1, s1, s0
	s_mul_i32 s0, s18, s6
	s_lshl_b64 s[28:29], s[0:1], 1
	s_add_u32 s33, s12, s28
	s_addc_u32 s42, s13, s29
	s_ashr_i32 s18, s17, 2
	s_add_u32 s2, s4, 0x48
	s_mov_b32 s20, s17
	v_cmp_gt_u32_e64 s[0:1], s18, v0
	s_addc_u32 s3, s5, 0
	s_and_saveexec_b64 s[22:23], s[0:1]
	s_cbranch_execz .LBB89_10
; %bb.1:
	s_load_dword s7, s[2:3], 0x0
	v_mov_b32_e32 v3, 0
	v_mov_b32_e32 v9, s42
	;; [unrolled: 1-line block ×3, first 2 shown]
                                        ; implicit-def: $sgpr26_sgpr27
	s_waitcnt lgkmcnt(0)
	s_cmp_lt_u32 s6, s7
	s_cselect_b32 s7, 12, 18
	s_add_u32 s24, s2, s7
	s_addc_u32 s25, s3, 0
	global_load_ushort v8, v3, s[24:25]
	s_mov_b64 s[24:25], 0
	s_waitcnt vmcnt(0)
	v_add_u32_e32 v1, v8, v8
	v_mul_lo_u32 v10, v8, 3
	v_lshlrev_b32_e32 v11, 1, v8
	v_add_u32_e32 v12, v1, v8
	v_mov_b32_e32 v1, v3
	s_branch .LBB89_5
.LBB89_2:                               ;   in Loop: Header=BB89_5 Depth=1
	s_or_b64 exec, exec, s[36:37]
	s_orn2_b64 s[36:37], s[38:39], exec
.LBB89_3:                               ;   in Loop: Header=BB89_5 Depth=1
	s_or_b64 exec, exec, s[34:35]
	s_andn2_b64 s[26:27], s[26:27], exec
	s_and_b64 s[34:35], s[36:37], exec
	s_or_b64 s[26:27], s[26:27], s[34:35]
.LBB89_4:                               ;   in Loop: Header=BB89_5 Depth=1
	s_or_b64 exec, exec, s[30:31]
	s_and_b64 s[30:31], exec, s[26:27]
	s_or_b64 s[24:25], s[30:31], s[24:25]
	s_andn2_b64 exec, exec, s[24:25]
	s_cbranch_execz .LBB89_9
.LBB89_5:                               ; =>This Inner Loop Header: Depth=1
	v_lshlrev_b64 v[4:5], 3, v[2:3]
	v_add_co_u32_e32 v4, vcc, s33, v4
	v_addc_co_u32_e32 v5, vcc, v9, v5, vcc
	global_load_dwordx2 v[6:7], v[4:5], off
	v_add_u32_e32 v4, v2, v8
	v_cmp_gt_u32_e32 vcc, s18, v4
	s_or_b64 s[26:27], s[26:27], exec
	s_waitcnt vmcnt(0)
	v_lshlrev_b32_e32 v13, 16, v6
	v_and_b32_e32 v5, 0xffff0000, v6
	v_alignbit_b32 v6, v7, v6, 16
	v_fmac_f32_e32 v1, v13, v13
	v_and_b32_e32 v6, 0xffff0000, v6
	v_fmac_f32_e32 v1, v5, v5
	v_and_b32_e32 v7, 0xffff0000, v7
	v_fmac_f32_e32 v1, v6, v6
	v_fmac_f32_e32 v1, v7, v7
	s_and_saveexec_b64 s[30:31], vcc
	s_cbranch_execz .LBB89_4
; %bb.6:                                ;   in Loop: Header=BB89_5 Depth=1
	v_mov_b32_e32 v5, v3
	v_lshlrev_b64 v[6:7], 3, v[4:5]
	v_add_co_u32_e32 v6, vcc, s33, v6
	v_addc_co_u32_e32 v7, vcc, v9, v7, vcc
	global_load_dwordx2 v[14:15], v[6:7], off
	v_add_u32_e32 v6, v11, v2
	v_cmp_gt_u32_e32 vcc, s18, v6
	s_mov_b64 s[36:37], -1
	s_waitcnt vmcnt(0)
	v_lshlrev_b32_e32 v7, 16, v14
	v_and_b32_e32 v5, 0xffff0000, v14
	v_alignbit_b32 v13, v15, v14, 16
	v_fmac_f32_e32 v1, v7, v7
	v_and_b32_e32 v13, 0xffff0000, v13
	v_fmac_f32_e32 v1, v5, v5
	v_and_b32_e32 v14, 0xffff0000, v15
	v_fmac_f32_e32 v1, v13, v13
	v_fmac_f32_e32 v1, v14, v14
	s_and_saveexec_b64 s[34:35], vcc
	s_cbranch_execz .LBB89_3
; %bb.7:                                ;   in Loop: Header=BB89_5 Depth=1
	v_mov_b32_e32 v7, v3
	v_lshlrev_b64 v[6:7], 3, v[6:7]
	v_add_co_u32_e32 v6, vcc, s33, v6
	v_addc_co_u32_e32 v7, vcc, v9, v7, vcc
	global_load_dwordx2 v[6:7], v[6:7], off
	v_add_u32_e32 v2, v10, v2
	v_cmp_gt_u32_e32 vcc, s18, v2
	s_mov_b64 s[38:39], -1
	s_waitcnt vmcnt(0)
	v_lshlrev_b32_e32 v13, 16, v6
	v_and_b32_e32 v5, 0xffff0000, v6
	v_alignbit_b32 v6, v7, v6, 16
	v_fmac_f32_e32 v1, v13, v13
	v_and_b32_e32 v6, 0xffff0000, v6
	v_fmac_f32_e32 v1, v5, v5
	v_and_b32_e32 v7, 0xffff0000, v7
	v_fmac_f32_e32 v1, v6, v6
	v_fmac_f32_e32 v1, v7, v7
	s_and_saveexec_b64 s[36:37], vcc
	s_xor_b64 s[36:37], exec, s[36:37]
	s_cbranch_execz .LBB89_2
; %bb.8:                                ;   in Loop: Header=BB89_5 Depth=1
	v_lshlrev_b64 v[6:7], 3, v[2:3]
	v_add_co_u32_e32 v6, vcc, s33, v6
	v_addc_co_u32_e32 v7, vcc, v9, v7, vcc
	global_load_dwordx2 v[6:7], v[6:7], off
	v_add_u32_e32 v2, v12, v4
	v_cmp_le_u32_e32 vcc, s18, v2
	s_orn2_b64 s[38:39], vcc, exec
	s_waitcnt vmcnt(0)
	v_lshlrev_b32_e32 v5, 16, v6
	v_and_b32_e32 v4, 0xffff0000, v6
	v_alignbit_b32 v6, v7, v6, 16
	v_fmac_f32_e32 v1, v5, v5
	v_and_b32_e32 v6, 0xffff0000, v6
	v_fmac_f32_e32 v1, v4, v4
	v_and_b32_e32 v7, 0xffff0000, v7
	v_fmac_f32_e32 v1, v6, v6
	v_fmac_f32_e32 v1, v7, v7
	s_branch .LBB89_2
.LBB89_9:
	s_or_b64 exec, exec, s[24:25]
.LBB89_10:
	s_or_b64 exec, exec, s[22:23]
	v_mbcnt_lo_u32_b32 v2, -1, 0
	v_mbcnt_hi_u32_b32 v2, -1, v2
	v_and_b32_e32 v3, 63, v2
	v_cmp_ne_u32_e32 vcc, 63, v3
	s_load_dword s2, s[2:3], 0xc
	v_addc_co_u32_e32 v4, vcc, 0, v2, vcc
	v_lshlrev_b32_e32 v4, 2, v4
	ds_bpermute_b32 v4, v4, v1
	s_waitcnt lgkmcnt(0)
	s_and_b32 s43, s2, 0xffff
	v_and_b32_e32 v5, 0x3c0, v0
	v_sub_u32_e64 v5, s43, v5 clamp
	v_add_u32_e32 v6, 1, v2
	v_add_f32_e32 v4, v1, v4
	v_cmp_lt_u32_e32 vcc, v6, v5
	v_cndmask_b32_e32 v1, v1, v4, vcc
	v_cmp_gt_u32_e32 vcc, 62, v3
	v_cndmask_b32_e64 v4, 0, 1, vcc
	v_lshlrev_b32_e32 v4, 1, v4
	v_add_lshl_u32 v4, v4, v2, 2
	ds_bpermute_b32 v4, v4, v1
	v_add_u32_e32 v6, 2, v2
	v_cmp_lt_u32_e32 vcc, v6, v5
	v_add_u32_e32 v6, 4, v2
	s_waitcnt lgkmcnt(0)
	v_add_f32_e32 v4, v1, v4
	v_cndmask_b32_e32 v1, v1, v4, vcc
	v_cmp_gt_u32_e32 vcc, 60, v3
	v_cndmask_b32_e64 v4, 0, 1, vcc
	v_lshlrev_b32_e32 v4, 2, v4
	v_add_lshl_u32 v4, v4, v2, 2
	ds_bpermute_b32 v4, v4, v1
	v_cmp_lt_u32_e32 vcc, v6, v5
	v_add_u32_e32 v6, 8, v2
	s_waitcnt lgkmcnt(0)
	v_add_f32_e32 v4, v1, v4
	v_cndmask_b32_e32 v1, v1, v4, vcc
	v_cmp_gt_u32_e32 vcc, 56, v3
	v_cndmask_b32_e64 v4, 0, 1, vcc
	v_lshlrev_b32_e32 v4, 3, v4
	v_add_lshl_u32 v4, v4, v2, 2
	ds_bpermute_b32 v4, v4, v1
	;; [unrolled: 10-line block ×3, first 2 shown]
	v_cmp_lt_u32_e32 vcc, v6, v5
	s_waitcnt lgkmcnt(0)
	v_add_f32_e32 v4, v1, v4
	v_cndmask_b32_e32 v1, v1, v4, vcc
	v_cmp_gt_u32_e32 vcc, 32, v3
	v_cndmask_b32_e64 v3, 0, 1, vcc
	v_lshlrev_b32_e32 v3, 5, v3
	v_add_lshl_u32 v3, v3, v2, 2
	ds_bpermute_b32 v3, v3, v1
	v_add_u32_e32 v4, 32, v2
	v_cmp_lt_u32_e32 vcc, v4, v5
	s_waitcnt lgkmcnt(0)
	v_add_f32_e32 v3, v1, v3
	v_cndmask_b32_e32 v1, v1, v3, vcc
	v_cmp_eq_u32_e32 vcc, 0, v2
	s_and_saveexec_b64 s[2:3], vcc
	s_cbranch_execz .LBB89_12
; %bb.11:
	v_lshrrev_b32_e32 v3, 4, v0
	v_and_b32_e32 v3, 60, v3
	ds_write_b32 v3, v1 offset:4096
.LBB89_12:
	s_or_b64 exec, exec, s[2:3]
	v_cmp_gt_u32_e32 vcc, 16, v0
	s_waitcnt lgkmcnt(0)
	s_barrier
	s_and_saveexec_b64 s[22:23], vcc
	s_cbranch_execz .LBB89_14
; %bb.13:
	v_lshlrev_b32_e32 v1, 2, v2
	ds_read_b32 v1, v1 offset:4096
	v_and_b32_e32 v3, 15, v2
	v_cmp_ne_u32_e32 vcc, 15, v3
	v_addc_co_u32_e32 v4, vcc, 0, v2, vcc
	v_lshlrev_b32_e32 v4, 2, v4
	s_waitcnt lgkmcnt(0)
	ds_bpermute_b32 v4, v4, v1
	s_add_i32 s2, s43, 63
	s_lshr_b32 s7, s2, 6
	v_add_u32_e32 v5, 1, v3
	v_cmp_gt_u32_e64 s[2:3], 14, v3
	v_cmp_gt_u32_e32 vcc, s7, v5
	v_cndmask_b32_e64 v5, 0, 1, s[2:3]
	s_waitcnt lgkmcnt(0)
	v_add_f32_e32 v4, v1, v4
	v_lshlrev_b32_e32 v5, 1, v5
	v_cndmask_b32_e32 v4, v1, v4, vcc
	v_add_lshl_u32 v5, v5, v2, 2
	ds_bpermute_b32 v5, v5, v4
	v_add_u32_e32 v6, 2, v3
	v_cmp_gt_u32_e64 s[2:3], s7, v6
	v_add_u32_e32 v6, 4, v3
	s_waitcnt lgkmcnt(0)
	v_add_f32_e32 v5, v4, v5
	v_cndmask_b32_e64 v4, v4, v5, s[2:3]
	v_cmp_gt_u32_e64 s[2:3], 12, v3
	v_cndmask_b32_e64 v5, 0, 1, s[2:3]
	v_lshlrev_b32_e32 v5, 2, v5
	v_add_lshl_u32 v5, v5, v2, 2
	ds_bpermute_b32 v5, v5, v4
	v_cmp_gt_u32_e64 s[2:3], s7, v6
	s_waitcnt lgkmcnt(0)
	v_add_f32_e32 v5, v4, v5
	v_cndmask_b32_e64 v4, v4, v5, s[2:3]
	v_cmp_gt_u32_e64 s[2:3], 8, v3
	v_cndmask_b32_e64 v5, 0, 1, s[2:3]
	v_lshlrev_b32_e32 v5, 3, v5
	v_add_lshl_u32 v2, v5, v2, 2
	ds_bpermute_b32 v2, v2, v4
	v_add_u32_e32 v3, 8, v3
	v_cmp_gt_u32_e64 s[2:3], s7, v3
	s_waitcnt lgkmcnt(0)
	v_add_f32_e32 v2, v4, v2
	v_cndmask_b32_e64 v2, v4, v2, s[2:3]
	v_cndmask_b32_e32 v1, v1, v2, vcc
.LBB89_14:
	s_or_b64 exec, exec, s[22:23]
	v_cmp_eq_u32_e32 vcc, 0, v0
	s_and_saveexec_b64 s[2:3], vcc
	s_cbranch_execz .LBB89_16
; %bb.15:
	v_cvt_f32_i32_e32 v2, s17
	s_mov_b32 s7, 0x800000
	v_div_scale_f32 v3, s[22:23], v2, v2, v1
	v_rcp_f32_e32 v4, v3
	v_div_scale_f32 v5, vcc, v1, v2, v1
	v_fma_f32 v6, -v3, v4, 1.0
	v_fmac_f32_e32 v4, v6, v4
	v_mul_f32_e32 v6, v5, v4
	v_fma_f32 v7, -v3, v6, v5
	v_fmac_f32_e32 v6, v7, v4
	v_fma_f32 v3, -v3, v6, v5
	v_div_fmas_f32 v3, v3, v4, v6
	v_div_fixup_f32 v1, v3, v2, v1
	v_add_f32_e32 v1, s16, v1
	v_mul_f32_e32 v2, 0x4b800000, v1
	v_cmp_gt_f32_e32 vcc, s7, v1
	v_cndmask_b32_e32 v1, v1, v2, vcc
	v_rsq_f32_e32 v1, v1
	v_mul_f32_e32 v2, 0x45800000, v1
	v_cndmask_b32_e32 v1, v1, v2, vcc
	v_mov_b32_e32 v2, 0
	ds_write_b32 v2, v1 offset:4160
.LBB89_16:
	s_or_b64 exec, exec, s[2:3]
	s_ashr_i32 s21, s17, 31
	s_lshr_b32 s2, s21, 26
	s_add_i32 s2, s17, s2
	s_ashr_i32 s22, s2, 6
	s_abs_i32 s3, s22
	v_cvt_f32_u32_e32 v1, s3
	s_sub_i32 s7, 0, s3
	s_ashr_i32 s2, s2, 31
	v_mov_b32_e32 v5, 0
	v_rcp_iflag_f32_e32 v1, v1
	s_waitcnt lgkmcnt(0)
	s_barrier
	v_mul_f32_e32 v1, 0x4f7ffffe, v1
	v_cvt_u32_f32_e32 v1, v1
	ds_read_b32 v36, v5 offset:4160
	v_readfirstlane_b32 s16, v1
	s_mul_i32 s7, s7, s16
	s_mul_hi_u32 s7, s16, s7
	s_add_i32 s16, s16, s7
	s_mul_hi_u32 s7, s43, s16
	s_mul_i32 s16, s7, s3
	s_sub_i32 s16, s43, s16
	s_add_i32 s19, s7, 1
	s_sub_i32 s23, s16, s3
	s_cmp_ge_u32 s16, s3
	s_cselect_b32 s7, s19, s7
	s_cselect_b32 s16, s23, s16
	s_add_i32 s19, s7, 1
	s_cmp_ge_u32 s16, s3
	s_cselect_b32 s3, s19, s7
	s_xor_b32 s3, s3, s2
	s_sub_i32 s24, s3, s2
	s_abs_i32 s2, s24
	v_cvt_f32_u32_e32 v1, s2
	s_sub_i32 s3, 0, s2
	s_ashr_i32 s25, s24, 31
	s_ashr_i32 s19, s18, 31
	v_rcp_iflag_f32_e32 v1, v1
	v_mul_f32_e32 v1, 0x4f7ffffe, v1
	v_cvt_u32_f32_e32 v1, v1
	v_mul_lo_u32 v2, s3, v1
	v_mul_hi_u32 v2, v1, v2
	v_add_u32_e32 v1, v1, v2
	v_mul_hi_u32 v1, v0, v1
	v_mul_lo_u32 v2, v1, s2
	v_sub_u32_e32 v2, v0, v2
	v_add_u32_e32 v3, 1, v1
	v_cmp_le_u32_e32 vcc, s2, v2
	v_cndmask_b32_e32 v1, v1, v3, vcc
	v_subrev_u32_e32 v3, s2, v2
	v_cndmask_b32_e32 v2, v2, v3, vcc
	v_add_u32_e32 v3, 1, v1
	v_cmp_le_u32_e32 vcc, s2, v2
	v_cndmask_b32_e32 v1, v1, v3, vcc
	v_xor_b32_e32 v1, s25, v1
	v_subrev_u32_e32 v2, s25, v1
	v_mul_lo_u32 v1, v2, s24
	v_ashrrev_i32_e32 v3, 31, v2
	v_sub_u32_e32 v4, v0, v1
	v_lshlrev_b64 v[8:9], 4, v[2:3]
	v_add_co_u32_e32 v6, vcc, v8, v4
	v_addc_co_u32_e32 v7, vcc, 0, v9, vcc
	v_add_co_u32_e32 v8, vcc, 16, v8
	v_addc_co_u32_e32 v9, vcc, 0, v9, vcc
	v_mov_b32_e32 v1, s19
	v_cmp_gt_i64_e32 vcc, s[18:19], v[8:9]
	v_cndmask_b32_e32 v9, v1, v9, vcc
	v_mov_b32_e32 v1, s18
	v_cndmask_b32_e32 v8, v1, v8, vcc
	v_ashrrev_i32_e32 v11, 31, v8
	v_mov_b32_e32 v10, v8
	v_cmp_lt_i64_e32 vcc, v[6:7], v[10:11]
	s_and_saveexec_b64 s[26:27], vcc
	s_cbranch_execz .LBB89_26
; %bb.17:
	v_lshlrev_b64 v[28:29], 7, v[2:3]
	s_mul_i32 s16, s24, 24
	v_lshlrev_b64 v[12:13], 3, v[4:5]
	v_mov_b32_e32 v1, s29
	v_add_co_u32_e32 v5, vcc, s28, v28
	s_mul_hi_i32 s7, s24, 24
	s_add_u32 s2, s12, s16
	v_addc_co_u32_e32 v19, vcc, v1, v29, vcc
	s_addc_u32 s3, s13, s7
	v_mov_b32_e32 v1, s3
	v_add_co_u32_e32 v14, vcc, s2, v5
	s_lshl_b64 s[28:29], s[24:25], 5
	s_lshl_b64 s[2:3], s[24:25], 4
	s_add_u32 s19, s12, s2
	v_addc_co_u32_e32 v1, vcc, v1, v19, vcc
	s_addc_u32 s23, s13, s3
	s_lshl_b64 s[30:31], s[24:25], 3
	v_mov_b32_e32 v15, s23
	v_add_co_u32_e32 v16, vcc, s19, v5
	s_add_u32 s19, s12, s30
	v_addc_co_u32_e32 v15, vcc, v15, v19, vcc
	s_addc_u32 s23, s13, s31
	v_mov_b32_e32 v17, s23
	v_add_co_u32_e32 v18, vcc, s19, v5
	v_addc_co_u32_e32 v17, vcc, v17, v19, vcc
	v_mov_b32_e32 v21, s13
	v_add_co_u32_e32 v20, vcc, s12, v5
	s_add_u32 s12, s14, s16
	v_addc_co_u32_e32 v19, vcc, v21, v19, vcc
	s_addc_u32 s7, s15, s7
	v_mov_b32_e32 v5, s7
	v_add_co_u32_e32 v22, vcc, s12, v28
	s_add_u32 s2, s14, s2
	v_addc_co_u32_e32 v21, vcc, v5, v29, vcc
	s_addc_u32 s3, s15, s3
	;; [unrolled: 5-line block ×3, first 2 shown]
	v_mov_b32_e32 v5, s3
	v_add_co_u32_e32 v26, vcc, s2, v28
	v_addc_co_u32_e32 v25, vcc, v5, v29, vcc
	v_mov_b32_e32 v5, s15
	v_add_co_u32_e32 v28, vcc, s14, v28
	v_addc_co_u32_e32 v27, vcc, v5, v29, vcc
	s_mul_hi_i32 s7, s24, 3
	s_mul_i32 s16, s24, 3
	s_lshl_b64 s[30:31], s[24:25], 1
	s_mov_b64 s[12:13], 0
	v_mov_b32_e32 v5, 0
	s_movk_i32 s19, 0x7fff
	v_mov_b32_e32 v29, 0x7fc00000
	v_mov_b32_e32 v34, s25
	v_pk_mov_b32 v[30:31], v[6:7], v[6:7] op_sel:[0,1]
                                        ; implicit-def: $sgpr34_sgpr35
	s_branch .LBB89_21
.LBB89_18:                              ;   in Loop: Header=BB89_21 Depth=1
	s_or_b64 exec, exec, s[2:3]
	s_orn2_b64 s[2:3], s[40:41], exec
.LBB89_19:                              ;   in Loop: Header=BB89_21 Depth=1
	s_or_b64 exec, exec, s[38:39]
	s_andn2_b64 s[34:35], s[34:35], exec
	s_and_b64 s[2:3], s[2:3], exec
	s_or_b64 s[34:35], s[34:35], s[2:3]
.LBB89_20:                              ;   in Loop: Header=BB89_21 Depth=1
	s_or_b64 exec, exec, s[36:37]
	s_and_b64 s[2:3], exec, s[34:35]
	s_or_b64 s[12:13], s[2:3], s[12:13]
	s_andn2_b64 exec, exec, s[12:13]
	s_cbranch_execz .LBB89_25
.LBB89_21:                              ; =>This Inner Loop Header: Depth=1
	v_add_co_u32_e32 v32, vcc, v20, v12
	v_addc_co_u32_e32 v33, vcc, v19, v13, vcc
	global_load_dwordx2 v[38:39], v[32:33], off
	v_add_co_u32_e32 v32, vcc, v28, v12
	v_addc_co_u32_e32 v33, vcc, v27, v13, vcc
	global_load_dwordx2 v[40:41], v[32:33], off
	v_add_co_u32_e32 v32, vcc, s24, v30
	v_addc_co_u32_e32 v33, vcc, v31, v34, vcc
	v_cmp_lt_i64_e32 vcc, v[32:33], v[10:11]
	s_or_b64 s[34:35], s[34:35], exec
	s_waitcnt vmcnt(1)
	v_lshlrev_b32_e32 v42, 16, v38
	v_and_b32_e32 v35, 0xffff0000, v38
	s_waitcnt lgkmcnt(0)
	v_mul_f32_e32 v42, v36, v42
	v_alignbit_b32 v38, v39, v38, 16
	v_and_b32_e32 v39, 0xffff0000, v39
	v_mul_f32_e32 v35, v36, v35
	v_bfe_u32 v44, v42, 16, 1
	v_mul_f32_e32 v39, v36, v39
	v_bfe_u32 v45, v35, 16, 1
	v_add3_u32 v44, v42, v44, s19
	v_and_b32_e32 v38, 0xffff0000, v38
	v_bfe_u32 v46, v39, 16, 1
	v_add3_u32 v45, v35, v45, s19
	v_and_b32_e32 v44, 0xffff0000, v44
	v_cmp_o_f32_e64 s[2:3], v42, v42
	v_mul_f32_e32 v38, v36, v38
	v_add3_u32 v46, v39, v46, s19
	v_and_b32_e32 v45, 0xffff0000, v45
	v_cndmask_b32_e64 v42, v29, v44, s[2:3]
	v_cmp_o_f32_e64 s[2:3], v35, v35
	s_waitcnt vmcnt(0)
	v_lshlrev_b32_e32 v43, 16, v40
	v_bfe_u32 v47, v38, 16, 1
	v_and_b32_e32 v46, 0xffff0000, v46
	v_cndmask_b32_e64 v35, v29, v45, s[2:3]
	v_cmp_o_f32_e64 s[2:3], v39, v39
	v_and_b32_e32 v37, 0xffff0000, v40
	v_alignbit_b32 v40, v41, v40, 16
	v_and_b32_e32 v41, 0xffff0000, v41
	v_add3_u32 v47, v38, v47, s19
	v_cndmask_b32_e64 v39, v29, v46, s[2:3]
	v_mul_f32_e32 v42, v42, v43
	v_and_b32_e32 v44, 0xffff0000, v47
	v_mul_f32_e32 v35, v35, v37
	v_cmp_o_f32_e64 s[2:3], v38, v38
	v_mul_f32_e32 v38, v39, v41
	v_bfe_u32 v39, v42, 16, 1
	v_and_b32_e32 v40, 0xffff0000, v40
	v_cndmask_b32_e64 v37, v29, v44, s[2:3]
	v_bfe_u32 v41, v35, 16, 1
	v_add3_u32 v39, v42, v39, s19
	v_mul_f32_e32 v37, v37, v40
	v_bfe_u32 v40, v38, 16, 1
	v_add3_u32 v41, v35, v41, s19
	v_and_b32_e32 v39, 0xffff0000, v39
	v_cmp_o_f32_e64 s[2:3], v42, v42
	v_bfe_u32 v43, v37, 16, 1
	v_add3_u32 v40, v38, v40, s19
	v_and_b32_e32 v41, 0xffff0000, v41
	v_cndmask_b32_e64 v39, v29, |v39|, s[2:3]
	v_cmp_o_f32_e64 s[2:3], v35, v35
	v_add3_u32 v43, v37, v43, s19
	v_and_b32_e32 v40, 0xffff0000, v40
	v_cndmask_b32_e64 v35, v29, |v41|, s[2:3]
	v_cmp_o_f32_e64 s[2:3], v38, v38
	v_and_b32_e32 v41, 0xffff0000, v43
	v_cndmask_b32_e64 v38, v29, |v40|, s[2:3]
	v_cmp_o_f32_e64 s[2:3], v37, v37
	v_max3_f32 v5, v5, v39, v35
	v_cndmask_b32_e64 v35, v29, |v41|, s[2:3]
	v_max3_f32 v5, v5, v35, v38
	s_and_saveexec_b64 s[36:37], vcc
	s_cbranch_execz .LBB89_20
; %bb.22:                               ;   in Loop: Header=BB89_21 Depth=1
	v_add_co_u32_e32 v38, vcc, v18, v12
	v_addc_co_u32_e32 v39, vcc, v17, v13, vcc
	global_load_dwordx2 v[38:39], v[38:39], off
	v_add_co_u32_e32 v40, vcc, v26, v12
	v_addc_co_u32_e32 v41, vcc, v25, v13, vcc
	global_load_dwordx2 v[40:41], v[40:41], off
	v_mov_b32_e32 v35, s31
	v_add_co_u32_e32 v42, vcc, s30, v30
	v_addc_co_u32_e32 v43, vcc, v35, v31, vcc
	v_cmp_lt_i64_e32 vcc, v[42:43], v[10:11]
	s_waitcnt vmcnt(1)
	v_lshlrev_b32_e32 v42, 16, v38
	v_and_b32_e32 v35, 0xffff0000, v38
	v_mul_f32_e32 v42, v36, v42
	v_alignbit_b32 v38, v39, v38, 16
	v_and_b32_e32 v39, 0xffff0000, v39
	v_mul_f32_e32 v35, v36, v35
	v_bfe_u32 v44, v42, 16, 1
	v_mul_f32_e32 v39, v36, v39
	v_bfe_u32 v45, v35, 16, 1
	v_add3_u32 v44, v42, v44, s19
	v_and_b32_e32 v38, 0xffff0000, v38
	v_bfe_u32 v46, v39, 16, 1
	v_add3_u32 v45, v35, v45, s19
	v_and_b32_e32 v44, 0xffff0000, v44
	v_cmp_o_f32_e64 s[2:3], v42, v42
	v_mul_f32_e32 v38, v36, v38
	v_add3_u32 v46, v39, v46, s19
	v_and_b32_e32 v45, 0xffff0000, v45
	v_cndmask_b32_e64 v42, v29, v44, s[2:3]
	v_cmp_o_f32_e64 s[2:3], v35, v35
	s_waitcnt vmcnt(0)
	v_lshlrev_b32_e32 v43, 16, v40
	v_bfe_u32 v47, v38, 16, 1
	v_and_b32_e32 v46, 0xffff0000, v46
	v_cndmask_b32_e64 v35, v29, v45, s[2:3]
	v_cmp_o_f32_e64 s[2:3], v39, v39
	v_and_b32_e32 v37, 0xffff0000, v40
	v_alignbit_b32 v40, v41, v40, 16
	v_and_b32_e32 v41, 0xffff0000, v41
	v_add3_u32 v47, v38, v47, s19
	v_cndmask_b32_e64 v39, v29, v46, s[2:3]
	v_mul_f32_e32 v42, v42, v43
	v_and_b32_e32 v44, 0xffff0000, v47
	v_mul_f32_e32 v35, v35, v37
	v_cmp_o_f32_e64 s[2:3], v38, v38
	v_mul_f32_e32 v38, v39, v41
	v_bfe_u32 v39, v42, 16, 1
	v_and_b32_e32 v40, 0xffff0000, v40
	v_cndmask_b32_e64 v37, v29, v44, s[2:3]
	v_bfe_u32 v41, v35, 16, 1
	v_add3_u32 v39, v42, v39, s19
	v_mul_f32_e32 v37, v37, v40
	v_bfe_u32 v40, v38, 16, 1
	v_add3_u32 v41, v35, v41, s19
	v_and_b32_e32 v39, 0xffff0000, v39
	v_cmp_o_f32_e64 s[2:3], v42, v42
	v_bfe_u32 v43, v37, 16, 1
	v_add3_u32 v40, v38, v40, s19
	v_and_b32_e32 v41, 0xffff0000, v41
	v_cndmask_b32_e64 v39, v29, |v39|, s[2:3]
	v_cmp_o_f32_e64 s[2:3], v35, v35
	v_add3_u32 v43, v37, v43, s19
	v_and_b32_e32 v40, 0xffff0000, v40
	v_cndmask_b32_e64 v35, v29, |v41|, s[2:3]
	v_cmp_o_f32_e64 s[2:3], v38, v38
	v_and_b32_e32 v41, 0xffff0000, v43
	v_cndmask_b32_e64 v38, v29, |v40|, s[2:3]
	v_cmp_o_f32_e64 s[2:3], v37, v37
	v_max3_f32 v5, v5, v39, v35
	v_cndmask_b32_e64 v35, v29, |v41|, s[2:3]
	v_max3_f32 v5, v5, v35, v38
	s_mov_b64 s[2:3], -1
	s_and_saveexec_b64 s[38:39], vcc
	s_cbranch_execz .LBB89_19
; %bb.23:                               ;   in Loop: Header=BB89_21 Depth=1
	v_add_co_u32_e32 v38, vcc, v16, v12
	v_addc_co_u32_e32 v39, vcc, v15, v13, vcc
	global_load_dwordx2 v[38:39], v[38:39], off
	v_add_co_u32_e32 v40, vcc, v24, v12
	v_addc_co_u32_e32 v41, vcc, v23, v13, vcc
	global_load_dwordx2 v[40:41], v[40:41], off
	v_mov_b32_e32 v35, s7
	v_add_co_u32_e32 v30, vcc, s16, v30
	v_addc_co_u32_e32 v31, vcc, v35, v31, vcc
	v_cmp_lt_i64_e32 vcc, v[30:31], v[10:11]
	s_mov_b64 s[40:41], -1
	s_waitcnt vmcnt(1)
	v_lshlrev_b32_e32 v35, 16, v38
	v_and_b32_e32 v30, 0xffff0000, v38
	v_mul_f32_e32 v35, v36, v35
	v_alignbit_b32 v37, v39, v38, 16
	v_and_b32_e32 v38, 0xffff0000, v39
	v_mul_f32_e32 v30, v36, v30
	v_bfe_u32 v42, v35, 16, 1
	v_mul_f32_e32 v38, v36, v38
	v_bfe_u32 v43, v30, 16, 1
	v_add3_u32 v42, v35, v42, s19
	v_and_b32_e32 v37, 0xffff0000, v37
	v_bfe_u32 v44, v38, 16, 1
	v_add3_u32 v43, v30, v43, s19
	v_and_b32_e32 v42, 0xffff0000, v42
	v_cmp_o_f32_e64 s[2:3], v35, v35
	v_mul_f32_e32 v37, v36, v37
	v_add3_u32 v44, v38, v44, s19
	v_and_b32_e32 v43, 0xffff0000, v43
	v_cndmask_b32_e64 v35, v29, v42, s[2:3]
	v_cmp_o_f32_e64 s[2:3], v30, v30
	s_waitcnt vmcnt(0)
	v_lshlrev_b32_e32 v39, 16, v40
	v_bfe_u32 v45, v37, 16, 1
	v_and_b32_e32 v44, 0xffff0000, v44
	v_cndmask_b32_e64 v30, v29, v43, s[2:3]
	v_cmp_o_f32_e64 s[2:3], v38, v38
	v_and_b32_e32 v31, 0xffff0000, v40
	v_alignbit_b32 v40, v41, v40, 16
	v_and_b32_e32 v41, 0xffff0000, v41
	v_add3_u32 v45, v37, v45, s19
	v_cndmask_b32_e64 v38, v29, v44, s[2:3]
	v_mul_f32_e32 v35, v35, v39
	v_and_b32_e32 v42, 0xffff0000, v45
	v_mul_f32_e32 v30, v30, v31
	v_cmp_o_f32_e64 s[2:3], v37, v37
	v_mul_f32_e32 v37, v38, v41
	v_bfe_u32 v38, v35, 16, 1
	v_and_b32_e32 v40, 0xffff0000, v40
	v_cndmask_b32_e64 v31, v29, v42, s[2:3]
	v_bfe_u32 v39, v30, 16, 1
	v_add3_u32 v38, v35, v38, s19
	v_mul_f32_e32 v31, v31, v40
	v_bfe_u32 v40, v37, 16, 1
	v_add3_u32 v39, v30, v39, s19
	v_and_b32_e32 v38, 0xffff0000, v38
	v_cmp_o_f32_e64 s[2:3], v35, v35
	v_bfe_u32 v41, v31, 16, 1
	v_add3_u32 v40, v37, v40, s19
	v_and_b32_e32 v39, 0xffff0000, v39
	v_cndmask_b32_e64 v35, v29, |v38|, s[2:3]
	v_cmp_o_f32_e64 s[2:3], v30, v30
	v_add3_u32 v41, v31, v41, s19
	v_and_b32_e32 v40, 0xffff0000, v40
	v_cndmask_b32_e64 v30, v29, |v39|, s[2:3]
	v_cmp_o_f32_e64 s[2:3], v37, v37
	v_and_b32_e32 v38, 0xffff0000, v41
	v_cndmask_b32_e64 v37, v29, |v40|, s[2:3]
	v_cmp_o_f32_e64 s[2:3], v31, v31
	v_max3_f32 v5, v5, v35, v30
	v_cndmask_b32_e64 v30, v29, |v38|, s[2:3]
	v_max3_f32 v5, v5, v30, v37
                                        ; implicit-def: $vgpr30_vgpr31
	s_and_saveexec_b64 s[2:3], vcc
	s_xor_b64 s[2:3], exec, s[2:3]
	s_cbranch_execz .LBB89_18
; %bb.24:                               ;   in Loop: Header=BB89_21 Depth=1
	v_add_co_u32_e32 v30, vcc, v14, v12
	v_addc_co_u32_e32 v31, vcc, v1, v13, vcc
	global_load_dwordx2 v[38:39], v[30:31], off
	v_add_co_u32_e32 v30, vcc, v22, v12
	v_addc_co_u32_e32 v31, vcc, v21, v13, vcc
	global_load_dwordx2 v[40:41], v[30:31], off
	v_mov_b32_e32 v35, s29
	v_add_co_u32_e32 v14, vcc, s28, v14
	v_addc_co_u32_e32 v1, vcc, v1, v35, vcc
	v_add_co_u32_e32 v16, vcc, s28, v16
	s_add_u32 s23, s24, s24
	v_addc_co_u32_e32 v15, vcc, v15, v35, vcc
	s_addc_u32 s40, s25, s25
	v_add_co_u32_e32 v18, vcc, s28, v18
	v_addc_co_u32_e32 v17, vcc, v17, v35, vcc
	s_add_u32 s23, s23, s24
	s_addc_u32 s40, s40, s25
	v_add_co_u32_e32 v30, vcc, s23, v32
	v_mov_b32_e32 v31, s40
	v_addc_co_u32_e32 v31, vcc, v31, v33, vcc
	s_waitcnt vmcnt(1)
	v_lshlrev_b32_e32 v37, 16, v38
	v_and_b32_e32 v32, 0xffff0000, v38
	v_mul_f32_e32 v37, v36, v37
	v_alignbit_b32 v38, v39, v38, 16
	v_and_b32_e32 v39, 0xffff0000, v39
	v_mul_f32_e32 v32, v36, v32
	v_bfe_u32 v43, v37, 16, 1
	v_mul_f32_e32 v39, v36, v39
	v_bfe_u32 v44, v32, 16, 1
	v_add3_u32 v43, v37, v43, s19
	v_and_b32_e32 v38, 0xffff0000, v38
	v_bfe_u32 v45, v39, 16, 1
	v_add3_u32 v44, v32, v44, s19
	v_and_b32_e32 v43, 0xffff0000, v43
	v_cmp_o_f32_e32 vcc, v37, v37
	v_mul_f32_e32 v38, v36, v38
	v_add3_u32 v45, v39, v45, s19
	v_and_b32_e32 v44, 0xffff0000, v44
	v_cndmask_b32_e32 v37, v29, v43, vcc
	v_cmp_o_f32_e32 vcc, v32, v32
	s_waitcnt vmcnt(0)
	v_lshlrev_b32_e32 v42, 16, v40
	v_bfe_u32 v46, v38, 16, 1
	v_and_b32_e32 v45, 0xffff0000, v45
	v_cndmask_b32_e32 v32, v29, v44, vcc
	v_cmp_o_f32_e32 vcc, v39, v39
	v_and_b32_e32 v33, 0xffff0000, v40
	v_alignbit_b32 v40, v41, v40, 16
	v_and_b32_e32 v41, 0xffff0000, v41
	v_add3_u32 v46, v38, v46, s19
	v_cndmask_b32_e32 v39, v29, v45, vcc
	v_mul_f32_e32 v37, v37, v42
	v_and_b32_e32 v43, 0xffff0000, v46
	v_mul_f32_e32 v32, v32, v33
	v_cmp_o_f32_e32 vcc, v38, v38
	v_mul_f32_e32 v38, v39, v41
	v_bfe_u32 v39, v37, 16, 1
	v_and_b32_e32 v40, 0xffff0000, v40
	v_cndmask_b32_e32 v33, v29, v43, vcc
	v_bfe_u32 v41, v32, 16, 1
	v_add3_u32 v39, v37, v39, s19
	v_mul_f32_e32 v33, v33, v40
	v_bfe_u32 v40, v38, 16, 1
	v_add3_u32 v41, v32, v41, s19
	v_and_b32_e32 v39, 0xffff0000, v39
	v_cmp_o_f32_e32 vcc, v37, v37
	v_bfe_u32 v42, v33, 16, 1
	v_add3_u32 v40, v38, v40, s19
	v_and_b32_e32 v41, 0xffff0000, v41
	v_cndmask_b32_e64 v37, v29, |v39|, vcc
	v_cmp_o_f32_e32 vcc, v32, v32
	v_add3_u32 v42, v33, v42, s19
	v_and_b32_e32 v40, 0xffff0000, v40
	v_cndmask_b32_e64 v32, v29, |v41|, vcc
	v_cmp_o_f32_e32 vcc, v38, v38
	v_and_b32_e32 v39, 0xffff0000, v42
	v_cndmask_b32_e64 v38, v29, |v40|, vcc
	v_cmp_o_f32_e32 vcc, v33, v33
	v_max3_f32 v5, v5, v37, v32
	v_cndmask_b32_e64 v32, v29, |v39|, vcc
	v_add_co_u32_e32 v20, vcc, s28, v20
	v_addc_co_u32_e32 v19, vcc, v19, v35, vcc
	v_add_co_u32_e32 v22, vcc, s28, v22
	v_addc_co_u32_e32 v21, vcc, v21, v35, vcc
	;; [unrolled: 2-line block ×5, first 2 shown]
	v_cmp_ge_i64_e32 vcc, v[30:31], v[10:11]
	v_max3_f32 v5, v5, v32, v38
	s_orn2_b64 s[40:41], vcc, exec
	s_branch .LBB89_18
.LBB89_25:
	s_or_b64 exec, exec, s[12:13]
.LBB89_26:
	s_or_b64 exec, exec, s[26:27]
	s_lshr_b32 s7, s43, 6
	v_cvt_f32_u32_e32 v10, s7
	v_lshlrev_b32_e32 v1, 2, v0
	ds_write_b32 v1, v5
	s_sub_i32 s12, 0, s7
	v_rcp_iflag_f32_e32 v5, v10
	s_add_i32 s2, s22, s7
	s_add_i32 s2, s2, -1
	s_ashr_i32 s3, s2, 31
	v_mul_f32_e32 v5, 0x4f7ffffe, v5
	v_cvt_u32_f32_e32 v5, v5
	s_abs_i32 s2, s2
	s_ashr_i32 s23, s22, 31
	s_waitcnt lgkmcnt(0)
	v_readfirstlane_b32 s13, v5
	s_mul_i32 s12, s12, s13
	s_mul_hi_u32 s12, s13, s12
	s_add_i32 s13, s13, s12
	s_mul_hi_u32 s12, s2, s13
	s_mul_i32 s13, s12, s7
	s_sub_i32 s2, s2, s13
	s_add_i32 s13, s12, 1
	s_sub_i32 s16, s2, s7
	s_cmp_ge_u32 s2, s7
	s_cselect_b32 s12, s13, s12
	s_cselect_b32 s2, s16, s2
	s_add_i32 s13, s12, 1
	s_cmp_ge_u32 s2, s7
	s_cselect_b32 s2, s13, s12
	s_xor_b32 s2, s2, s3
	s_sub_i32 s2, s2, s3
	s_ashr_i32 s3, s2, 31
	v_cmp_lt_i64_e64 s[12:13], s[2:3], 1
	s_and_b64 vcc, exec, s[12:13]
	s_barrier
	s_cbranch_vccnz .LBB89_48
; %bb.27:
	v_and_b32_e32 v12, 63, v0
	v_add_co_u32_e32 v14, vcc, 32, v12
	v_addc_co_u32_e64 v15, s[12:13], 0, 0, vcc
	v_add_co_u32_e32 v16, vcc, 16, v12
	v_addc_co_u32_e64 v17, s[12:13], 0, 0, vcc
	;; [unrolled: 2-line block ×4, first 2 shown]
	v_add_co_u32_e32 v22, vcc, 2, v12
	v_lshrrev_b32_e32 v10, 6, v0
	v_addc_co_u32_e64 v23, s[12:13], 0, 0, vcc
	v_add_co_u32_e32 v24, vcc, 1, v12
	v_addc_co_u32_e64 v25, s[12:13], 0, 0, vcc
	v_mul_lo_u32 v5, s24, v10
	v_lshlrev_b32_e32 v5, 2, v5
	v_lshlrev_b32_e32 v26, 2, v12
	s_movk_i32 s12, 0x100
	v_mov_b32_e32 v11, 0
	v_add3_u32 v5, v5, v26, s12
	s_mul_i32 s12, s24, s7
	v_mov_b32_e32 v13, v11
	s_lshl_b32 s16, s12, 2
	s_mov_b64 s[12:13], 0
	v_mov_b32_e32 v37, s7
	s_mov_b64 s[26:27], src_shared_base
	s_branch .LBB89_30
.LBB89_28:                              ;   in Loop: Header=BB89_30 Depth=1
	s_or_b64 exec, exec, s[30:31]
	v_mov_b32_e32 v27, s27
	flat_load_dword v26, v[26:27] glc
	s_waitcnt vmcnt(0)
.LBB89_29:                              ;   in Loop: Header=BB89_30 Depth=1
	s_or_b64 exec, exec, s[28:29]
	s_add_u32 s12, s12, 1
	s_addc_u32 s13, s13, 0
	s_cmp_eq_u64 s[12:13], s[2:3]
	v_add_u32_e32 v5, s16, v5
	s_cbranch_scc1 .LBB89_48
.LBB89_30:                              ; =>This Loop Header: Depth=1
                                        ;     Child Loop BB89_33 Depth 2
	v_mad_u64_u32 v[30:31], s[28:29], s12, v37, v[10:11]
	s_mul_i32 s19, s13, s7
	v_add_u32_e32 v31, s19, v31
	v_cmp_gt_i64_e32 vcc, s[22:23], v[30:31]
	s_and_saveexec_b64 s[28:29], vcc
	s_cbranch_execz .LBB89_29
; %bb.31:                               ;   in Loop: Header=BB89_30 Depth=1
	v_pk_mov_b32 v[32:33], s[24:25], s[24:25] op_sel:[0,1]
	v_mul_lo_u32 v29, v31, s24
	v_mul_lo_u32 v38, v30, s25
	v_mad_u64_u32 v[32:33], s[30:31], v30, s24, v[32:33]
	v_add3_u32 v33, v29, v33, v38
	v_mov_b32_e32 v28, s21
	v_cmp_gt_i64_e32 vcc, s[20:21], v[32:33]
	s_waitcnt lgkmcnt(0)
	v_mad_u64_u32 v[26:27], s[30:31], v30, s24, v[12:13]
	v_cndmask_b32_e32 v33, v28, v33, vcc
	v_mov_b32_e32 v28, s17
	v_add3_u32 v27, v29, v27, v38
	v_cndmask_b32_e32 v32, v28, v32, vcc
	v_add_co_u32_e32 v34, vcc, 64, v26
	v_addc_co_u32_e32 v35, vcc, 0, v27, vcc
	v_cmp_lt_i64_e32 vcc, v[34:35], v[32:33]
	v_lshlrev_b32_e32 v28, 2, v26
	s_and_saveexec_b64 s[30:31], vcc
	s_cbranch_execz .LBB89_34
; %bb.32:                               ;   in Loop: Header=BB89_30 Depth=1
	ds_read_b32 v31, v28
	s_mov_b64 s[34:35], 0
	v_mov_b32_e32 v27, v5
.LBB89_33:                              ;   Parent Loop BB89_30 Depth=1
                                        ; =>  This Inner Loop Header: Depth=2
	ds_read_b32 v39, v27
	v_add_co_u32_e32 v34, vcc, 64, v34
	v_addc_co_u32_e32 v35, vcc, 0, v35, vcc
	s_waitcnt lgkmcnt(1)
	v_max_f32_e32 v31, v31, v31
	v_cmp_ge_i64_e32 vcc, v[34:35], v[32:33]
	s_waitcnt lgkmcnt(0)
	v_max_f32_e32 v39, v39, v39
	v_add_u32_e32 v27, 0x100, v27
	s_or_b64 s[34:35], vcc, s[34:35]
	v_max_f32_e32 v31, v31, v39
	ds_write_b32 v28, v31
	s_andn2_b64 exec, exec, s[34:35]
	s_cbranch_execnz .LBB89_33
.LBB89_34:                              ;   in Loop: Header=BB89_30 Depth=1
	s_or_b64 exec, exec, s[30:31]
	v_mad_u64_u32 v[30:31], s[30:31], v30, s24, 0
	v_add3_u32 v27, v31, v38, v29
	v_sub_co_u32_e32 v30, vcc, v32, v30
	v_subb_co_u32_e32 v31, vcc, v33, v27, vcc
	v_cmp_gt_i64_e32 vcc, 64, v[30:31]
	v_cndmask_b32_e32 v31, 0, v31, vcc
	v_cndmask_b32_e32 v30, 64, v30, vcc
	v_cmp_lt_i64_e32 vcc, v[14:15], v[30:31]
	s_and_saveexec_b64 s[30:31], vcc
	s_cbranch_execnz .LBB89_46
; %bb.35:                               ;   in Loop: Header=BB89_30 Depth=1
	s_or_b64 exec, exec, s[30:31]
	v_cmp_lt_i64_e32 vcc, v[16:17], v[30:31]
	s_and_saveexec_b64 s[30:31], vcc
	s_cbranch_execnz .LBB89_47
.LBB89_36:                              ;   in Loop: Header=BB89_30 Depth=1
	s_or_b64 exec, exec, s[30:31]
	v_cmp_lt_i64_e32 vcc, v[18:19], v[30:31]
	s_and_saveexec_b64 s[30:31], vcc
	s_cbranch_execz .LBB89_38
.LBB89_37:                              ;   in Loop: Header=BB89_30 Depth=1
	v_mov_b32_e32 v29, s27
	v_add_u32_e32 v32, 32, v28
	v_mov_b32_e32 v33, s27
	flat_load_dword v27, v[28:29] glc
	s_waitcnt vmcnt(0)
	flat_load_dword v34, v[32:33] glc
	s_waitcnt vmcnt(0) lgkmcnt(0)
	v_max_f32_e32 v27, v27, v27
	v_max_f32_e32 v32, v34, v34
	;; [unrolled: 1-line block ×3, first 2 shown]
	flat_store_dword v[28:29], v27
	s_waitcnt vmcnt(0)
.LBB89_38:                              ;   in Loop: Header=BB89_30 Depth=1
	s_or_b64 exec, exec, s[30:31]
	v_cmp_ge_i64_e32 vcc, v[20:21], v[30:31]
	s_and_saveexec_b64 s[30:31], vcc
	s_xor_b64 s[30:31], exec, s[30:31]
; %bb.39:                               ;   in Loop: Header=BB89_30 Depth=1
                                        ; implicit-def: $vgpr28
; %bb.40:                               ;   in Loop: Header=BB89_30 Depth=1
	s_andn2_saveexec_b64 s[30:31], s[30:31]
	s_cbranch_execz .LBB89_42
; %bb.41:                               ;   in Loop: Header=BB89_30 Depth=1
	v_mov_b32_e32 v29, s27
	v_add_u32_e32 v32, 16, v28
	v_mov_b32_e32 v33, s27
	flat_load_dword v27, v[28:29] glc
	s_waitcnt vmcnt(0)
	flat_load_dword v34, v[32:33] glc
	s_waitcnt vmcnt(0) lgkmcnt(0)
	v_max_f32_e32 v27, v27, v27
	v_max_f32_e32 v32, v34, v34
	;; [unrolled: 1-line block ×3, first 2 shown]
	flat_store_dword v[28:29], v27
	s_waitcnt vmcnt(0)
.LBB89_42:                              ;   in Loop: Header=BB89_30 Depth=1
	s_or_b64 exec, exec, s[30:31]
	v_cmp_lt_i64_e32 vcc, v[22:23], v[30:31]
	v_lshlrev_b32_e32 v26, 2, v26
	s_and_saveexec_b64 s[30:31], vcc
	s_cbranch_execz .LBB89_44
; %bb.43:                               ;   in Loop: Header=BB89_30 Depth=1
	v_mov_b32_e32 v27, s27
	v_add_u32_e32 v28, 8, v26
	v_mov_b32_e32 v29, s27
	flat_load_dword v32, v[26:27] glc
	s_waitcnt vmcnt(0)
	flat_load_dword v33, v[28:29] glc
	s_waitcnt vmcnt(0) lgkmcnt(0)
	v_max_f32_e32 v28, v32, v32
	v_max_f32_e32 v29, v33, v33
	;; [unrolled: 1-line block ×3, first 2 shown]
	flat_store_dword v[26:27], v28
	s_waitcnt vmcnt(0)
.LBB89_44:                              ;   in Loop: Header=BB89_30 Depth=1
	s_or_b64 exec, exec, s[30:31]
	v_cmp_lt_i64_e32 vcc, v[24:25], v[30:31]
	s_and_saveexec_b64 s[30:31], vcc
	s_cbranch_execz .LBB89_28
; %bb.45:                               ;   in Loop: Header=BB89_30 Depth=1
	v_mov_b32_e32 v27, s27
	v_add_u32_e32 v28, 4, v26
	v_mov_b32_e32 v29, s27
	flat_load_dword v30, v[26:27] glc
	s_waitcnt vmcnt(0)
	flat_load_dword v31, v[28:29] glc
	s_waitcnt vmcnt(0) lgkmcnt(0)
	v_max_f32_e32 v28, v30, v30
	v_max_f32_e32 v29, v31, v31
	;; [unrolled: 1-line block ×3, first 2 shown]
	flat_store_dword v[26:27], v28
	s_waitcnt vmcnt(0)
	s_branch .LBB89_28
.LBB89_46:                              ;   in Loop: Header=BB89_30 Depth=1
	v_mov_b32_e32 v29, s27
	v_add_u32_e32 v32, 0x80, v28
	v_mov_b32_e32 v33, s27
	flat_load_dword v27, v[28:29] glc
	s_waitcnt vmcnt(0)
	flat_load_dword v34, v[32:33] glc
	s_waitcnt vmcnt(0) lgkmcnt(0)
	v_max_f32_e32 v27, v27, v27
	v_max_f32_e32 v32, v34, v34
	;; [unrolled: 1-line block ×3, first 2 shown]
	flat_store_dword v[28:29], v27
	s_waitcnt vmcnt(0)
	s_or_b64 exec, exec, s[30:31]
	v_cmp_lt_i64_e32 vcc, v[16:17], v[30:31]
	s_and_saveexec_b64 s[30:31], vcc
	s_cbranch_execz .LBB89_36
.LBB89_47:                              ;   in Loop: Header=BB89_30 Depth=1
	v_mov_b32_e32 v29, s27
	v_add_u32_e32 v32, 64, v28
	v_mov_b32_e32 v33, s27
	flat_load_dword v27, v[28:29] glc
	s_waitcnt vmcnt(0)
	flat_load_dword v34, v[32:33] glc
	s_waitcnt vmcnt(0) lgkmcnt(0)
	v_max_f32_e32 v27, v27, v27
	v_max_f32_e32 v32, v34, v34
	;; [unrolled: 1-line block ×3, first 2 shown]
	flat_store_dword v[28:29], v27
	s_waitcnt vmcnt(0)
	s_or_b64 exec, exec, s[30:31]
	v_cmp_lt_i64_e32 vcc, v[18:19], v[30:31]
	s_and_saveexec_b64 s[30:31], vcc
	s_cbranch_execnz .LBB89_37
	s_branch .LBB89_38
.LBB89_48:
	v_cmp_eq_u32_e32 vcc, 0, v4
	v_cmp_lt_i64_e64 s[2:3], v[6:7], v[8:9]
	s_and_b64 s[24:25], vcc, s[2:3]
	s_mul_i32 s7, s23, s6
	s_mul_hi_u32 s19, s22, s6
	s_mul_i32 s2, s22, s6
	s_waitcnt lgkmcnt(0)
	s_barrier
	s_and_saveexec_b64 s[12:13], s[24:25]
	s_cbranch_execz .LBB89_52
; %bb.49:
	s_load_dwordx2 s[4:5], s[4:5], 0x20
	ds_read_b32 v1, v1
	s_waitcnt lgkmcnt(0)
	s_cmp_eq_u64 s[4:5], 0
	s_cbranch_scc1 .LBB89_51
; %bb.50:
	s_load_dword s3, s[4:5], 0x0
	v_max_f32_e32 v1, v1, v1
	s_waitcnt lgkmcnt(0)
	v_max_f32_e64 v4, s3, s3
	v_min_f32_e32 v1, v1, v4
.LBB89_51:
	s_mov_b32 s3, 0x42fe0000
	v_div_scale_f32 v4, s[4:5], s3, s3, v1
	v_rcp_f32_e32 v5, v4
	v_div_scale_f32 v6, vcc, v1, s3, v1
	v_lshlrev_b64 v[2:3], 2, v[2:3]
	v_fma_f32 v7, -v4, v5, 1.0
	v_fmac_f32_e32 v5, v7, v5
	v_mul_f32_e32 v7, v6, v5
	v_fma_f32 v8, -v4, v7, v6
	v_fmac_f32_e32 v7, v8, v5
	v_fma_f32 v4, -v4, v7, v6
	v_div_fmas_f32 v4, v4, v5, v7
	v_div_fixup_f32 v1, v4, s3, v1
	s_add_i32 s3, s19, s7
	s_lshl_b64 s[4:5], s[2:3], 2
	s_add_u32 s3, s10, s4
	s_addc_u32 s4, s11, s5
	v_mov_b32_e32 v4, s4
	v_add_co_u32_e32 v2, vcc, s3, v2
	v_max_f32_e32 v1, 0x34000000, v1
	v_addc_co_u32_e32 v3, vcc, v4, v3, vcc
	global_store_dword v[2:3], v1, off
.LBB89_52:
	s_or_b64 exec, exec, s[12:13]
	s_barrier
	s_and_saveexec_b64 s[4:5], s[0:1]
	s_cbranch_execz .LBB89_61
; %bb.53:
	s_mul_i32 s0, s21, s6
	s_mul_hi_u32 s1, s17, s6
	s_add_i32 s1, s1, s0
	s_mul_i32 s0, s17, s6
	s_add_u32 s16, s8, s0
	s_addc_u32 s17, s9, s1
	s_add_i32 s3, s19, s7
	s_lshl_b64 s[0:1], s[2:3], 2
	s_add_u32 s2, s10, s0
	s_addc_u32 s3, s11, s1
	s_add_i32 s24, s43, s43
	s_mul_i32 s19, s43, 3
	s_lshl_b32 s20, s43, 1
	s_mov_b64 s[4:5], 0
	v_mov_b32_e32 v1, 0
	v_mov_b32_e32 v6, s42
	;; [unrolled: 1-line block ×3, first 2 shown]
	s_movk_i32 s21, 0x7fff
	v_mov_b32_e32 v8, 0x7fc00000
	s_mov_b32 s22, 0x42fe0000
	v_mov_b32_e32 v9, 0x42fe0000
	s_mov_b32 s23, 0xc3000000
	v_mov_b32_e32 v10, 0xc3000000
	v_mov_b32_e32 v11, s17
	s_add_i32 s24, s24, s43
	v_mov_b32_e32 v12, 8
                                        ; implicit-def: $sgpr6_sgpr7
	s_branch .LBB89_57
.LBB89_54:                              ;   in Loop: Header=BB89_57 Depth=1
	s_or_b64 exec, exec, s[12:13]
	s_orn2_b64 s[0:1], s[0:1], exec
.LBB89_55:                              ;   in Loop: Header=BB89_57 Depth=1
	s_or_b64 exec, exec, s[10:11]
	s_andn2_b64 s[6:7], s[6:7], exec
	s_and_b64 s[0:1], s[0:1], exec
	s_or_b64 s[6:7], s[6:7], s[0:1]
.LBB89_56:                              ;   in Loop: Header=BB89_57 Depth=1
	s_or_b64 exec, exec, s[8:9]
	s_and_b64 s[0:1], exec, s[6:7]
	s_or_b64 s[4:5], s[0:1], s[4:5]
	s_andn2_b64 exec, exec, s[4:5]
	s_cbranch_execz .LBB89_61
.LBB89_57:                              ; =>This Inner Loop Header: Depth=1
	v_lshlrev_b64 v[2:3], 3, v[0:1]
	v_add_co_u32_e32 v4, vcc, s33, v2
	v_addc_co_u32_e32 v5, vcc, v6, v3, vcc
	v_lshrrev_b32_e32 v13, 2, v0
	v_add_co_u32_e32 v2, vcc, s14, v2
	global_load_dwordx2 v[4:5], v[4:5], off
	v_and_b32_e32 v13, 0xffffffc, v13
	v_addc_co_u32_e32 v3, vcc, v7, v3, vcc
	global_load_dword v13, v13, s[2:3]
	v_lshlrev_b64 v[14:15], 2, v[0:1]
	global_load_dwordx2 v[2:3], v[2:3], off
	v_add_co_u32_e32 v14, vcc, s16, v14
	v_addc_co_u32_e32 v15, vcc, v11, v15, vcc
	s_or_b64 s[6:7], s[6:7], exec
	s_waitcnt vmcnt(2)
	v_lshlrev_b32_e32 v17, 16, v4
	v_and_b32_e32 v16, 0xffff0000, v4
	v_alignbit_b32 v18, v5, v4, 16
	v_and_b32_e32 v19, 0xffff0000, v5
	s_waitcnt vmcnt(1)
	v_div_scale_f32 v20, s[0:1], v13, v13, 1.0
	s_waitcnt vmcnt(0)
	v_alignbit_b32 v23, v3, v2, 16
	v_and_b32_e32 v4, 0xffff0000, v3
	v_mul_f32_e32 v3, v36, v17
	v_lshlrev_b32_e32 v22, 16, v2
	v_and_b32_e32 v5, 0xffff0000, v2
	v_and_b32_e32 v2, 0xffff0000, v18
	v_rcp_f32_e32 v18, v20
	v_mul_f32_e32 v16, v36, v16
	v_and_b32_e32 v17, 0xffff0000, v23
	v_bfe_u32 v23, v3, 16, 1
	v_mul_f32_e32 v19, v36, v19
	v_bfe_u32 v24, v16, 16, 1
	v_add3_u32 v23, v3, v23, s21
	v_mul_f32_e32 v25, v36, v2
	v_bfe_u32 v2, v19, 16, 1
	v_add3_u32 v24, v16, v24, s21
	v_and_b32_e32 v23, 0xffff0000, v23
	v_cmp_o_f32_e64 s[0:1], v3, v3
	v_add3_u32 v2, v19, v2, s21
	v_and_b32_e32 v24, 0xffff0000, v24
	v_cndmask_b32_e64 v23, v8, v23, s[0:1]
	v_cmp_o_f32_e64 s[0:1], v16, v16
	v_bfe_u32 v26, v25, 16, 1
	v_and_b32_e32 v2, 0xffff0000, v2
	v_fma_f32 v27, -v20, v18, 1.0
	v_cndmask_b32_e64 v3, v8, v24, s[0:1]
	v_cmp_o_f32_e64 s[0:1], v19, v19
	v_div_scale_f32 v21, vcc, 1.0, v13, 1.0
	v_add3_u32 v26, v25, v26, s21
	v_cndmask_b32_e64 v2, v8, v2, s[0:1]
	v_fmac_f32_e32 v18, v27, v18
	v_and_b32_e32 v26, 0xffff0000, v26
	v_cmp_o_f32_e64 s[0:1], v25, v25
	v_pk_mul_f32 v[2:3], v[2:3], v[4:5]
	v_mul_f32_e32 v4, v21, v18
	v_mul_f32_e32 v16, v23, v22
	v_cndmask_b32_e64 v19, v8, v26, s[0:1]
	v_fma_f32 v23, -v20, v4, v21
	v_bfe_u32 v5, v16, 16, 1
	v_mul_f32_e32 v17, v19, v17
	v_fmac_f32_e32 v4, v23, v18
	v_add3_u32 v5, v16, v5, s21
	v_bfe_u32 v24, v17, 16, 1
	v_fma_f32 v20, -v20, v4, v21
	v_and_b32_e32 v5, 0xffff0000, v5
	v_add3_u32 v23, v17, v24, s21
	v_cmp_o_f32_e64 s[0:1], v16, v16
	v_div_fmas_f32 v4, v20, v18, v4
	v_cndmask_b32_e64 v5, v8, v5, s[0:1]
	v_and_b32_e32 v16, 0xffff0000, v23
	v_cmp_o_f32_e32 vcc, v17, v17
	v_div_fixup_f32 v4, v4, v13, 1.0
	v_cndmask_b32_e32 v16, v8, v16, vcc
	v_mul_f32_e32 v5, v4, v5
	v_mul_f32_e32 v13, v4, v16
	v_rndne_f32_e32 v5, v5
	v_rndne_f32_e32 v13, v13
	v_cmp_nlt_f32_e32 vcc, s22, v5
	v_cndmask_b32_e32 v16, v9, v5, vcc
	v_cmp_nlt_f32_e32 vcc, s22, v13
	v_cndmask_b32_e32 v17, v9, v13, vcc
	v_cmp_ngt_f32_e32 vcc, s23, v5
	v_bfe_u32 v22, v3, 16, 1
	v_cndmask_b32_e32 v5, v10, v16, vcc
	v_bfe_u32 v19, v2, 16, 1
	v_add3_u32 v22, v3, v22, s21
	v_cmp_ngt_f32_e32 vcc, s23, v13
	v_cvt_i32_f32_e32 v5, v5
	v_add3_u32 v19, v2, v19, s21
	v_and_b32_e32 v22, 0xffff0000, v22
	v_cndmask_b32_e32 v13, v10, v17, vcc
	v_cmp_o_f32_e32 vcc, v3, v3
	v_and_b32_e32 v19, 0xffff0000, v19
	v_cndmask_b32_e32 v3, v8, v22, vcc
	v_cmp_o_f32_e32 vcc, v2, v2
	v_cndmask_b32_e32 v2, v8, v19, vcc
	v_pk_mul_f32 v[2:3], v[4:5], v[2:3] op_sel_hi:[0,1]
	v_rndne_f32_e32 v2, v2
	v_rndne_f32_e32 v3, v3
	v_cmp_nlt_f32_e32 vcc, s22, v2
	v_cndmask_b32_e32 v4, v9, v2, vcc
	v_cmp_nlt_f32_e32 vcc, s22, v3
	v_cndmask_b32_e32 v16, v9, v3, vcc
	v_cmp_ngt_f32_e32 vcc, s23, v3
	v_cvt_i32_f32_e32 v13, v13
	v_cndmask_b32_e32 v3, v10, v16, vcc
	v_cmp_ngt_f32_e32 vcc, s23, v2
	v_cndmask_b32_e32 v2, v10, v4, vcc
	v_cvt_i32_f32_e32 v3, v3
	v_cvt_i32_f32_e32 v2, v2
	v_and_b32_e32 v4, 0xff, v13
	v_lshlrev_b32_e32 v4, 16, v4
	v_lshlrev_b32_sdwa v3, v12, v3 dst_sel:DWORD dst_unused:UNUSED_PAD src0_sel:DWORD src1_sel:BYTE_0
	v_lshl_or_b32 v2, v2, 24, v4
	v_and_b32_e32 v4, 0xff, v5
	v_or3_b32 v2, v2, v3, v4
	global_store_dword v[14:15], v2, off
	v_add_u32_e32 v2, s43, v0
	v_cmp_gt_u32_e32 vcc, s18, v2
	s_and_saveexec_b64 s[8:9], vcc
	s_cbranch_execz .LBB89_56
; %bb.58:                               ;   in Loop: Header=BB89_57 Depth=1
	v_mov_b32_e32 v3, v1
	v_lshlrev_b64 v[4:5], 3, v[2:3]
	v_add_co_u32_e32 v14, vcc, s33, v4
	v_lshrrev_b32_e32 v13, 2, v2
	v_addc_co_u32_e32 v15, vcc, v6, v5, vcc
	v_and_b32_e32 v13, 0xffffffc, v13
	v_add_co_u32_e32 v4, vcc, s14, v4
	global_load_dword v13, v13, s[2:3]
	v_addc_co_u32_e32 v5, vcc, v7, v5, vcc
	global_load_dwordx2 v[14:15], v[14:15], off
	v_lshlrev_b64 v[16:17], 2, v[2:3]
	global_load_dwordx2 v[4:5], v[4:5], off
	v_add_co_u32_e32 v16, vcc, s16, v16
	v_addc_co_u32_e32 v17, vcc, v11, v17, vcc
	s_waitcnt vmcnt(2)
	v_div_scale_f32 v3, s[0:1], v13, v13, 1.0
	v_rcp_f32_e32 v23, v3
	s_waitcnt vmcnt(1)
	v_lshlrev_b32_e32 v20, 16, v14
	v_and_b32_e32 v19, 0xffff0000, v14
	v_alignbit_b32 v21, v15, v14, 16
	v_and_b32_e32 v22, 0xffff0000, v15
	s_waitcnt vmcnt(0)
	v_alignbit_b32 v25, v5, v4, 16
	v_and_b32_e32 v14, 0xffff0000, v5
	v_mul_f32_e32 v5, v36, v20
	v_lshlrev_b32_e32 v24, 16, v4
	v_and_b32_e32 v15, 0xffff0000, v4
	v_and_b32_e32 v4, 0xffff0000, v21
	v_mul_f32_e32 v19, v36, v19
	v_mul_f32_e32 v21, v36, v22
	v_bfe_u32 v22, v5, 16, 1
	v_and_b32_e32 v20, 0xffff0000, v25
	v_bfe_u32 v25, v19, 16, 1
	v_add3_u32 v22, v5, v22, s21
	v_mul_f32_e32 v26, v36, v4
	v_bfe_u32 v4, v21, 16, 1
	v_add3_u32 v25, v19, v25, s21
	v_and_b32_e32 v22, 0xffff0000, v22
	v_cmp_o_f32_e64 s[0:1], v5, v5
	v_bfe_u32 v27, v26, 16, 1
	v_add3_u32 v4, v21, v4, s21
	v_fma_f32 v28, -v3, v23, 1.0
	v_and_b32_e32 v25, 0xffff0000, v25
	v_cndmask_b32_e64 v22, v8, v22, s[0:1]
	v_cmp_o_f32_e64 s[0:1], v19, v19
	v_div_scale_f32 v18, vcc, 1.0, v13, 1.0
	v_add3_u32 v27, v26, v27, s21
	v_and_b32_e32 v4, 0xffff0000, v4
	v_fmac_f32_e32 v23, v28, v23
	v_cndmask_b32_e64 v5, v8, v25, s[0:1]
	v_cmp_o_f32_e64 s[0:1], v21, v21
	v_and_b32_e32 v27, 0xffff0000, v27
	v_cndmask_b32_e64 v4, v8, v4, s[0:1]
	v_mul_f32_e32 v19, v18, v23
	v_cmp_o_f32_e64 s[0:1], v26, v26
	v_mul_f32_e32 v21, v22, v24
	v_cndmask_b32_e64 v22, v8, v27, s[0:1]
	v_pk_mul_f32 v[4:5], v[4:5], v[14:15]
	v_fma_f32 v14, -v3, v19, v18
	v_bfe_u32 v15, v21, 16, 1
	v_mul_f32_e32 v20, v22, v20
	v_fmac_f32_e32 v19, v14, v23
	v_add3_u32 v14, v21, v15, s21
	v_bfe_u32 v15, v20, 16, 1
	v_fma_f32 v3, -v3, v19, v18
	v_and_b32_e32 v14, 0xffff0000, v14
	v_add3_u32 v15, v20, v15, s21
	v_div_fmas_f32 v3, v3, v23, v19
	v_cmp_o_f32_e32 vcc, v21, v21
	v_cndmask_b32_e32 v19, v8, v14, vcc
	v_and_b32_e32 v15, 0xffff0000, v15
	v_div_fixup_f32 v14, v3, v13, 1.0
	v_cmp_o_f32_e32 vcc, v20, v20
	v_cndmask_b32_e32 v3, v8, v15, vcc
	v_mul_f32_e32 v13, v14, v19
	v_mul_f32_e32 v3, v14, v3
	v_rndne_f32_e32 v13, v13
	v_rndne_f32_e32 v3, v3
	v_cmp_nlt_f32_e32 vcc, s22, v13
	v_cndmask_b32_e32 v15, v9, v13, vcc
	v_cmp_nlt_f32_e32 vcc, s22, v3
	v_bfe_u32 v24, v5, 16, 1
	v_cndmask_b32_e32 v19, v9, v3, vcc
	v_cmp_ngt_f32_e32 vcc, s23, v13
	v_bfe_u32 v22, v4, 16, 1
	v_add3_u32 v24, v5, v24, s21
	v_cndmask_b32_e32 v13, v10, v15, vcc
	v_cmp_ngt_f32_e32 vcc, s23, v3
	v_add3_u32 v22, v4, v22, s21
	v_cndmask_b32_e32 v3, v10, v19, vcc
	v_and_b32_e32 v15, 0xffff0000, v24
	v_cmp_o_f32_e32 vcc, v5, v5
	v_and_b32_e32 v18, 0xffff0000, v22
	v_cndmask_b32_e32 v5, v8, v15, vcc
	v_cmp_o_f32_e32 vcc, v4, v4
	v_cndmask_b32_e32 v4, v8, v18, vcc
	v_pk_mul_f32 v[4:5], v[14:15], v[4:5] op_sel_hi:[0,1]
	v_rndne_f32_e32 v4, v4
	v_rndne_f32_e32 v5, v5
	v_cmp_nlt_f32_e32 vcc, s22, v4
	v_cndmask_b32_e32 v14, v9, v4, vcc
	v_cmp_nlt_f32_e32 vcc, s22, v5
	v_cndmask_b32_e32 v15, v9, v5, vcc
	v_cmp_ngt_f32_e32 vcc, s23, v5
	v_cvt_i32_f32_e32 v3, v3
	v_cndmask_b32_e32 v5, v10, v15, vcc
	v_cmp_ngt_f32_e32 vcc, s23, v4
	v_cndmask_b32_e32 v4, v10, v14, vcc
	v_cvt_i32_f32_e32 v13, v13
	v_cvt_i32_f32_e32 v5, v5
	;; [unrolled: 1-line block ×3, first 2 shown]
	v_and_b32_e32 v3, 0xff, v3
	v_lshlrev_b32_e32 v3, 16, v3
	v_lshlrev_b32_sdwa v5, v12, v5 dst_sel:DWORD dst_unused:UNUSED_PAD src0_sel:DWORD src1_sel:BYTE_0
	v_lshl_or_b32 v3, v4, 24, v3
	v_and_b32_e32 v4, 0xff, v13
	v_or3_b32 v3, v3, v5, v4
	v_add_u32_e32 v4, s20, v0
	v_cmp_gt_u32_e32 vcc, s18, v4
	s_mov_b64 s[0:1], -1
	global_store_dword v[16:17], v3, off
	s_and_saveexec_b64 s[10:11], vcc
	s_cbranch_execz .LBB89_55
; %bb.59:                               ;   in Loop: Header=BB89_57 Depth=1
	v_mov_b32_e32 v5, v1
	v_lshlrev_b64 v[14:15], 3, v[4:5]
	v_mov_b32_e32 v3, s42
	v_add_co_u32_e32 v16, vcc, s33, v14
	v_lshrrev_b32_e32 v13, 2, v4
	v_addc_co_u32_e32 v17, vcc, v3, v15, vcc
	v_and_b32_e32 v13, 0xffffffc, v13
	v_mov_b32_e32 v3, s15
	v_add_co_u32_e32 v14, vcc, s14, v14
	global_load_dword v13, v13, s[2:3]
	v_addc_co_u32_e32 v15, vcc, v3, v15, vcc
	global_load_dwordx2 v[16:17], v[16:17], off
	v_lshlrev_b64 v[4:5], 2, v[4:5]
	global_load_dwordx2 v[14:15], v[14:15], off
	v_mov_b32_e32 v3, s17
	v_add_co_u32_e32 v4, vcc, s16, v4
	v_addc_co_u32_e32 v5, vcc, v3, v5, vcc
	v_add_u32_e32 v0, s19, v0
	s_waitcnt vmcnt(2)
	v_div_scale_f32 v3, s[0:1], v13, v13, 1.0
	v_rcp_f32_e32 v23, v3
	s_waitcnt vmcnt(1)
	v_lshlrev_b32_e32 v20, 16, v16
	v_and_b32_e32 v19, 0xffff0000, v16
	v_alignbit_b32 v21, v17, v16, 16
	v_and_b32_e32 v22, 0xffff0000, v17
	s_waitcnt vmcnt(0)
	v_alignbit_b32 v25, v15, v14, 16
	v_and_b32_e32 v16, 0xffff0000, v15
	v_mul_f32_e32 v15, v36, v20
	v_lshlrev_b32_e32 v24, 16, v14
	v_and_b32_e32 v17, 0xffff0000, v14
	v_and_b32_e32 v14, 0xffff0000, v21
	v_mul_f32_e32 v19, v36, v19
	v_mul_f32_e32 v21, v36, v22
	v_bfe_u32 v22, v15, 16, 1
	v_and_b32_e32 v20, 0xffff0000, v25
	v_bfe_u32 v25, v19, 16, 1
	v_add3_u32 v22, v15, v22, s21
	v_mul_f32_e32 v26, v36, v14
	v_bfe_u32 v14, v21, 16, 1
	v_add3_u32 v25, v19, v25, s21
	v_and_b32_e32 v22, 0xffff0000, v22
	v_cmp_o_f32_e64 s[0:1], v15, v15
	v_bfe_u32 v27, v26, 16, 1
	v_add3_u32 v14, v21, v14, s21
	v_fma_f32 v28, -v3, v23, 1.0
	v_and_b32_e32 v25, 0xffff0000, v25
	v_cndmask_b32_e64 v22, v8, v22, s[0:1]
	v_cmp_o_f32_e64 s[0:1], v19, v19
	v_div_scale_f32 v18, vcc, 1.0, v13, 1.0
	v_add3_u32 v27, v26, v27, s21
	v_and_b32_e32 v14, 0xffff0000, v14
	v_fmac_f32_e32 v23, v28, v23
	v_cndmask_b32_e64 v15, v8, v25, s[0:1]
	v_cmp_o_f32_e64 s[0:1], v21, v21
	v_and_b32_e32 v27, 0xffff0000, v27
	v_cndmask_b32_e64 v14, v8, v14, s[0:1]
	v_mul_f32_e32 v19, v18, v23
	v_cmp_o_f32_e64 s[0:1], v26, v26
	v_mul_f32_e32 v21, v22, v24
	v_cndmask_b32_e64 v22, v8, v27, s[0:1]
	v_pk_mul_f32 v[14:15], v[14:15], v[16:17]
	v_fma_f32 v16, -v3, v19, v18
	v_bfe_u32 v17, v21, 16, 1
	v_mul_f32_e32 v20, v22, v20
	v_fmac_f32_e32 v19, v16, v23
	v_add3_u32 v16, v21, v17, s21
	v_bfe_u32 v17, v20, 16, 1
	v_fma_f32 v3, -v3, v19, v18
	v_and_b32_e32 v16, 0xffff0000, v16
	v_add3_u32 v17, v20, v17, s21
	v_div_fmas_f32 v3, v3, v23, v19
	v_cmp_o_f32_e32 vcc, v21, v21
	v_cndmask_b32_e32 v18, v8, v16, vcc
	v_and_b32_e32 v17, 0xffff0000, v17
	v_div_fixup_f32 v16, v3, v13, 1.0
	v_cmp_o_f32_e32 vcc, v20, v20
	v_cndmask_b32_e32 v3, v8, v17, vcc
	v_mul_f32_e32 v13, v16, v18
	v_mul_f32_e32 v3, v16, v3
	v_rndne_f32_e32 v13, v13
	v_rndne_f32_e32 v3, v3
	v_cmp_nlt_f32_e32 vcc, s22, v13
	v_cndmask_b32_e32 v17, v9, v13, vcc
	v_cmp_nlt_f32_e32 vcc, s22, v3
	v_bfe_u32 v24, v15, 16, 1
	v_cndmask_b32_e32 v18, v9, v3, vcc
	v_cmp_ngt_f32_e32 vcc, s23, v13
	v_bfe_u32 v22, v14, 16, 1
	v_cndmask_b32_e32 v13, v10, v17, vcc
	v_cmp_ngt_f32_e32 vcc, s23, v3
	v_add3_u32 v17, v15, v24, s21
	v_cndmask_b32_e32 v3, v10, v18, vcc
	v_add3_u32 v18, v14, v22, s21
	v_and_b32_e32 v17, 0xffff0000, v17
	v_cmp_o_f32_e32 vcc, v15, v15
	v_and_b32_e32 v18, 0xffff0000, v18
	v_cndmask_b32_e32 v15, v8, v17, vcc
	v_cmp_o_f32_e32 vcc, v14, v14
	v_cndmask_b32_e32 v14, v8, v18, vcc
	v_pk_mul_f32 v[14:15], v[16:17], v[14:15] op_sel_hi:[0,1]
	v_rndne_f32_e32 v14, v14
	v_rndne_f32_e32 v15, v15
	v_cmp_nlt_f32_e32 vcc, s22, v14
	v_cndmask_b32_e32 v16, v9, v14, vcc
	v_cmp_nlt_f32_e32 vcc, s22, v15
	v_cndmask_b32_e32 v17, v9, v15, vcc
	v_cmp_ngt_f32_e32 vcc, s23, v15
	v_cvt_i32_f32_e32 v3, v3
	v_cndmask_b32_e32 v15, v10, v17, vcc
	v_cmp_ngt_f32_e32 vcc, s23, v14
	v_cndmask_b32_e32 v14, v10, v16, vcc
	v_cvt_i32_f32_e32 v13, v13
	v_cvt_i32_f32_e32 v15, v15
	;; [unrolled: 1-line block ×3, first 2 shown]
	v_and_b32_e32 v3, 0xff, v3
	v_lshlrev_b32_e32 v3, 16, v3
	v_lshlrev_b32_sdwa v15, v12, v15 dst_sel:DWORD dst_unused:UNUSED_PAD src0_sel:DWORD src1_sel:BYTE_0
	v_lshl_or_b32 v3, v14, 24, v3
	v_and_b32_e32 v13, 0xff, v13
	v_or3_b32 v3, v3, v15, v13
	v_cmp_gt_u32_e32 vcc, s18, v0
	s_mov_b64 s[0:1], -1
	global_store_dword v[4:5], v3, off
	s_and_saveexec_b64 s[12:13], vcc
	s_cbranch_execz .LBB89_54
; %bb.60:                               ;   in Loop: Header=BB89_57 Depth=1
	v_lshlrev_b64 v[4:5], 3, v[0:1]
	v_mov_b32_e32 v3, s42
	v_add_co_u32_e32 v14, vcc, s33, v4
	v_addc_co_u32_e32 v15, vcc, v3, v5, vcc
	v_lshrrev_b32_e32 v13, 2, v0
	global_load_dwordx2 v[14:15], v[14:15], off
	v_mov_b32_e32 v3, s15
	v_and_b32_e32 v13, 0xffffffc, v13
	v_add_co_u32_e32 v4, vcc, s14, v4
	global_load_dword v13, v13, s[2:3]
	v_addc_co_u32_e32 v5, vcc, v3, v5, vcc
	global_load_dwordx2 v[4:5], v[4:5], off
	v_lshlrev_b64 v[16:17], 2, v[0:1]
	v_mov_b32_e32 v0, s17
	v_add_co_u32_e32 v16, vcc, s16, v16
	v_addc_co_u32_e32 v17, vcc, v0, v17, vcc
	s_waitcnt vmcnt(2)
	v_lshlrev_b32_e32 v3, 16, v14
	v_and_b32_e32 v0, 0xffff0000, v14
	v_alignbit_b32 v18, v15, v14, 16
	v_mul_f32_e32 v3, v36, v3
	v_and_b32_e32 v19, 0xffff0000, v15
	s_waitcnt vmcnt(1)
	v_div_scale_f32 v20, s[0:1], v13, v13, 1.0
	v_mul_f32_e32 v0, v36, v0
	s_waitcnt vmcnt(0)
	v_lshlrev_b32_e32 v22, 16, v4
	v_alignbit_b32 v23, v5, v4, 16
	v_and_b32_e32 v15, 0xffff0000, v4
	v_and_b32_e32 v14, 0xffff0000, v5
	;; [unrolled: 1-line block ×3, first 2 shown]
	v_rcp_f32_e32 v18, v20
	v_bfe_u32 v5, v3, 16, 1
	v_mul_f32_e32 v19, v36, v19
	v_bfe_u32 v24, v0, 16, 1
	v_add3_u32 v5, v3, v5, s21
	v_mul_f32_e32 v25, v36, v4
	v_bfe_u32 v4, v19, 16, 1
	v_add3_u32 v24, v0, v24, s21
	v_and_b32_e32 v5, 0xffff0000, v5
	v_cmp_o_f32_e64 s[0:1], v3, v3
	v_bfe_u32 v26, v25, 16, 1
	v_add3_u32 v4, v19, v4, s21
	v_and_b32_e32 v24, 0xffff0000, v24
	v_cndmask_b32_e64 v3, v8, v5, s[0:1]
	v_cmp_o_f32_e64 s[0:1], v0, v0
	v_add3_u32 v26, v25, v26, s21
	v_and_b32_e32 v4, 0xffff0000, v4
	v_fma_f32 v27, -v20, v18, 1.0
	v_cndmask_b32_e64 v5, v8, v24, s[0:1]
	v_cmp_o_f32_e64 s[0:1], v19, v19
	v_div_scale_f32 v21, vcc, 1.0, v13, 1.0
	v_and_b32_e32 v26, 0xffff0000, v26
	v_cndmask_b32_e64 v4, v8, v4, s[0:1]
	v_fmac_f32_e32 v18, v27, v18
	v_cmp_o_f32_e64 s[0:1], v25, v25
	v_and_b32_e32 v23, 0xffff0000, v23
	v_mul_f32_e32 v0, v3, v22
	v_cndmask_b32_e64 v3, v8, v26, s[0:1]
	v_pk_mul_f32 v[4:5], v[4:5], v[14:15]
	v_mul_f32_e32 v14, v21, v18
	v_mul_f32_e32 v3, v3, v23
	v_fma_f32 v23, -v20, v14, v21
	v_bfe_u32 v15, v0, 16, 1
	v_bfe_u32 v24, v3, 16, 1
	v_fmac_f32_e32 v14, v23, v18
	v_add3_u32 v15, v0, v15, s21
	v_add3_u32 v23, v3, v24, s21
	v_fma_f32 v20, -v20, v14, v21
	v_and_b32_e32 v15, 0xffff0000, v15
	v_cmp_o_f32_e64 s[0:1], v0, v0
	v_and_b32_e32 v0, 0xffff0000, v23
	v_div_fmas_f32 v14, v20, v18, v14
	v_cmp_o_f32_e32 vcc, v3, v3
	v_cndmask_b32_e64 v15, v8, v15, s[0:1]
	v_cndmask_b32_e32 v3, v8, v0, vcc
	v_div_fixup_f32 v0, v14, v13, 1.0
	v_mul_f32_e32 v13, v0, v15
	v_mul_f32_e32 v3, v0, v3
	v_rndne_f32_e32 v13, v13
	v_rndne_f32_e32 v3, v3
	v_cmp_nlt_f32_e32 vcc, s22, v13
	v_cndmask_b32_e32 v14, v9, v13, vcc
	v_cmp_nlt_f32_e32 vcc, s22, v3
	v_bfe_u32 v22, v5, 16, 1
	v_cndmask_b32_e32 v15, v9, v3, vcc
	v_cmp_ngt_f32_e32 vcc, s23, v13
	v_bfe_u32 v19, v4, 16, 1
	v_add3_u32 v22, v5, v22, s21
	v_cndmask_b32_e32 v13, v10, v14, vcc
	v_cmp_ngt_f32_e32 vcc, s23, v3
	v_cndmask_b32_e32 v3, v10, v15, vcc
	v_add3_u32 v14, v4, v19, s21
	v_and_b32_e32 v15, 0xffff0000, v22
	v_cmp_o_f32_e32 vcc, v5, v5
	v_and_b32_e32 v14, 0xffff0000, v14
	v_cndmask_b32_e32 v5, v8, v15, vcc
	v_cmp_o_f32_e32 vcc, v4, v4
	v_cndmask_b32_e32 v4, v8, v14, vcc
	v_pk_mul_f32 v[4:5], v[0:1], v[4:5] op_sel_hi:[0,1]
	v_rndne_f32_e32 v4, v4
	v_rndne_f32_e32 v0, v5
	v_cmp_nlt_f32_e32 vcc, s22, v4
	v_cndmask_b32_e32 v5, v9, v4, vcc
	v_cmp_nlt_f32_e32 vcc, s22, v0
	v_cndmask_b32_e32 v14, v9, v0, vcc
	v_cmp_ngt_f32_e32 vcc, s23, v0
	v_cvt_i32_f32_e32 v3, v3
	v_cndmask_b32_e32 v0, v10, v14, vcc
	v_cmp_ngt_f32_e32 vcc, s23, v4
	v_cndmask_b32_e32 v4, v10, v5, vcc
	v_cvt_i32_f32_e32 v13, v13
	v_cvt_i32_f32_e32 v0, v0
	;; [unrolled: 1-line block ×3, first 2 shown]
	v_and_b32_e32 v3, 0xff, v3
	v_lshlrev_b32_e32 v3, 16, v3
	v_lshlrev_b32_sdwa v0, v12, v0 dst_sel:DWORD dst_unused:UNUSED_PAD src0_sel:DWORD src1_sel:BYTE_0
	v_lshl_or_b32 v3, v4, 24, v3
	v_and_b32_e32 v4, 0xff, v13
	v_or3_b32 v0, v3, v0, v4
	global_store_dword v[16:17], v0, off
	v_add_u32_e32 v0, s24, v2
	v_cmp_le_u32_e32 vcc, s18, v0
	s_orn2_b64 s[0:1], vcc, exec
	s_branch .LBB89_54
.LBB89_61:
	s_endpgm
	.section	.rodata,"a",@progbits
	.p2align	6, 0x0
	.amdhsa_kernel _ZN4vllm31rms_norm_per_block_quant_kernelIN3c108BFloat16EaLb0ELb0ELi64EEEvPT0_PfPKT_S8_PKffiiPS6_l
		.amdhsa_group_segment_fixed_size 4164
		.amdhsa_private_segment_fixed_size 0
		.amdhsa_kernarg_size 328
		.amdhsa_user_sgpr_count 6
		.amdhsa_user_sgpr_private_segment_buffer 1
		.amdhsa_user_sgpr_dispatch_ptr 0
		.amdhsa_user_sgpr_queue_ptr 0
		.amdhsa_user_sgpr_kernarg_segment_ptr 1
		.amdhsa_user_sgpr_dispatch_id 0
		.amdhsa_user_sgpr_flat_scratch_init 0
		.amdhsa_user_sgpr_kernarg_preload_length 0
		.amdhsa_user_sgpr_kernarg_preload_offset 0
		.amdhsa_user_sgpr_private_segment_size 0
		.amdhsa_uses_dynamic_stack 0
		.amdhsa_system_sgpr_private_segment_wavefront_offset 0
		.amdhsa_system_sgpr_workgroup_id_x 1
		.amdhsa_system_sgpr_workgroup_id_y 0
		.amdhsa_system_sgpr_workgroup_id_z 0
		.amdhsa_system_sgpr_workgroup_info 0
		.amdhsa_system_vgpr_workitem_id 0
		.amdhsa_next_free_vgpr 48
		.amdhsa_next_free_sgpr 44
		.amdhsa_accum_offset 48
		.amdhsa_reserve_vcc 1
		.amdhsa_reserve_flat_scratch 0
		.amdhsa_float_round_mode_32 0
		.amdhsa_float_round_mode_16_64 0
		.amdhsa_float_denorm_mode_32 3
		.amdhsa_float_denorm_mode_16_64 3
		.amdhsa_dx10_clamp 1
		.amdhsa_ieee_mode 1
		.amdhsa_fp16_overflow 0
		.amdhsa_tg_split 0
		.amdhsa_exception_fp_ieee_invalid_op 0
		.amdhsa_exception_fp_denorm_src 0
		.amdhsa_exception_fp_ieee_div_zero 0
		.amdhsa_exception_fp_ieee_overflow 0
		.amdhsa_exception_fp_ieee_underflow 0
		.amdhsa_exception_fp_ieee_inexact 0
		.amdhsa_exception_int_div_zero 0
	.end_amdhsa_kernel
	.section	.text._ZN4vllm31rms_norm_per_block_quant_kernelIN3c108BFloat16EaLb0ELb0ELi64EEEvPT0_PfPKT_S8_PKffiiPS6_l,"axG",@progbits,_ZN4vllm31rms_norm_per_block_quant_kernelIN3c108BFloat16EaLb0ELb0ELi64EEEvPT0_PfPKT_S8_PKffiiPS6_l,comdat
.Lfunc_end89:
	.size	_ZN4vllm31rms_norm_per_block_quant_kernelIN3c108BFloat16EaLb0ELb0ELi64EEEvPT0_PfPKT_S8_PKffiiPS6_l, .Lfunc_end89-_ZN4vllm31rms_norm_per_block_quant_kernelIN3c108BFloat16EaLb0ELb0ELi64EEEvPT0_PfPKT_S8_PKffiiPS6_l
                                        ; -- End function
	.section	.AMDGPU.csdata,"",@progbits
; Kernel info:
; codeLenInByte = 8664
; NumSgprs: 48
; NumVgprs: 48
; NumAgprs: 0
; TotalNumVgprs: 48
; ScratchSize: 0
; MemoryBound: 0
; FloatMode: 240
; IeeeMode: 1
; LDSByteSize: 4164 bytes/workgroup (compile time only)
; SGPRBlocks: 5
; VGPRBlocks: 5
; NumSGPRsForWavesPerEU: 48
; NumVGPRsForWavesPerEU: 48
; AccumOffset: 48
; Occupancy: 8
; WaveLimiterHint : 0
; COMPUTE_PGM_RSRC2:SCRATCH_EN: 0
; COMPUTE_PGM_RSRC2:USER_SGPR: 6
; COMPUTE_PGM_RSRC2:TRAP_HANDLER: 0
; COMPUTE_PGM_RSRC2:TGID_X_EN: 1
; COMPUTE_PGM_RSRC2:TGID_Y_EN: 0
; COMPUTE_PGM_RSRC2:TGID_Z_EN: 0
; COMPUTE_PGM_RSRC2:TIDIG_COMP_CNT: 0
; COMPUTE_PGM_RSRC3_GFX90A:ACCUM_OFFSET: 11
; COMPUTE_PGM_RSRC3_GFX90A:TG_SPLIT: 0
	.text
	.p2alignl 6, 3212836864
	.fill 256, 4, 3212836864
	.type	__hip_cuid_70f06508beb433b1,@object ; @__hip_cuid_70f06508beb433b1
	.section	.bss,"aw",@nobits
	.globl	__hip_cuid_70f06508beb433b1
__hip_cuid_70f06508beb433b1:
	.byte	0                               ; 0x0
	.size	__hip_cuid_70f06508beb433b1, 1

	.ident	"AMD clang version 19.0.0git (https://github.com/RadeonOpenCompute/llvm-project roc-6.4.0 25133 c7fe45cf4b819c5991fe208aaa96edf142730f1d)"
	.section	".note.GNU-stack","",@progbits
	.addrsig
	.addrsig_sym __hip_cuid_70f06508beb433b1
	.amdgpu_metadata
---
amdhsa.kernels:
  - .agpr_count:     0
    .args:
      - .actual_access:  write_only
        .address_space:  global
        .offset:         0
        .size:           8
        .value_kind:     global_buffer
      - .actual_access:  write_only
        .address_space:  global
        .offset:         8
        .size:           8
        .value_kind:     global_buffer
      - .actual_access:  read_only
        .address_space:  global
        .offset:         16
        .size:           8
        .value_kind:     global_buffer
      - .actual_access:  read_only
        .address_space:  global
        .offset:         24
        .size:           8
        .value_kind:     global_buffer
      - .address_space:  global
        .offset:         32
        .size:           8
        .value_kind:     global_buffer
      - .offset:         40
        .size:           4
        .value_kind:     by_value
      - .offset:         44
        .size:           4
        .value_kind:     by_value
      - .offset:         48
        .size:           4
        .value_kind:     by_value
      - .address_space:  global
        .offset:         56
        .size:           8
        .value_kind:     global_buffer
      - .offset:         64
        .size:           4
        .value_kind:     hidden_block_count_x
      - .offset:         68
        .size:           4
        .value_kind:     hidden_block_count_y
      - .offset:         72
        .size:           4
        .value_kind:     hidden_block_count_z
      - .offset:         76
        .size:           2
        .value_kind:     hidden_group_size_x
      - .offset:         78
        .size:           2
        .value_kind:     hidden_group_size_y
      - .offset:         80
        .size:           2
        .value_kind:     hidden_group_size_z
      - .offset:         82
        .size:           2
        .value_kind:     hidden_remainder_x
      - .offset:         84
        .size:           2
        .value_kind:     hidden_remainder_y
      - .offset:         86
        .size:           2
        .value_kind:     hidden_remainder_z
      - .offset:         104
        .size:           8
        .value_kind:     hidden_global_offset_x
      - .offset:         112
        .size:           8
        .value_kind:     hidden_global_offset_y
      - .offset:         120
        .size:           8
        .value_kind:     hidden_global_offset_z
      - .offset:         128
        .size:           2
        .value_kind:     hidden_grid_dims
    .group_segment_fixed_size: 272
    .kernarg_segment_align: 8
    .kernarg_segment_size: 320
    .language:       OpenCL C
    .language_version:
      - 2
      - 0
    .max_flat_workgroup_size: 1024
    .name:           _ZN4vllm39rms_norm_dynamic_per_token_quant_kernelIfN3c1013Float8_e4m3fnELb1EEEvPT0_PfPKT_S8_PKffiiPS6_
    .private_segment_fixed_size: 0
    .sgpr_count:     60
    .sgpr_spill_count: 0
    .symbol:         _ZN4vllm39rms_norm_dynamic_per_token_quant_kernelIfN3c1013Float8_e4m3fnELb1EEEvPT0_PfPKT_S8_PKffiiPS6_.kd
    .uniform_work_group_size: 1
    .uses_dynamic_stack: false
    .vgpr_count:     32
    .vgpr_spill_count: 0
    .wavefront_size: 64
  - .agpr_count:     0
    .args:
      - .actual_access:  write_only
        .address_space:  global
        .offset:         0
        .size:           8
        .value_kind:     global_buffer
      - .actual_access:  write_only
        .address_space:  global
        .offset:         8
        .size:           8
        .value_kind:     global_buffer
      - .actual_access:  read_only
        .address_space:  global
        .offset:         16
        .size:           8
        .value_kind:     global_buffer
      - .actual_access:  read_only
        .address_space:  global
        .offset:         24
        .size:           8
        .value_kind:     global_buffer
      - .address_space:  global
        .offset:         32
        .size:           8
        .value_kind:     global_buffer
      - .offset:         40
        .size:           4
        .value_kind:     by_value
      - .offset:         44
        .size:           4
        .value_kind:     by_value
      - .offset:         48
        .size:           4
        .value_kind:     by_value
      - .address_space:  global
        .offset:         56
        .size:           8
        .value_kind:     global_buffer
      - .offset:         64
        .size:           4
        .value_kind:     hidden_block_count_x
      - .offset:         68
        .size:           4
        .value_kind:     hidden_block_count_y
      - .offset:         72
        .size:           4
        .value_kind:     hidden_block_count_z
      - .offset:         76
        .size:           2
        .value_kind:     hidden_group_size_x
      - .offset:         78
        .size:           2
        .value_kind:     hidden_group_size_y
      - .offset:         80
        .size:           2
        .value_kind:     hidden_group_size_z
      - .offset:         82
        .size:           2
        .value_kind:     hidden_remainder_x
      - .offset:         84
        .size:           2
        .value_kind:     hidden_remainder_y
      - .offset:         86
        .size:           2
        .value_kind:     hidden_remainder_z
      - .offset:         104
        .size:           8
        .value_kind:     hidden_global_offset_x
      - .offset:         112
        .size:           8
        .value_kind:     hidden_global_offset_y
      - .offset:         120
        .size:           8
        .value_kind:     hidden_global_offset_z
      - .offset:         128
        .size:           2
        .value_kind:     hidden_grid_dims
    .group_segment_fixed_size: 272
    .kernarg_segment_align: 8
    .kernarg_segment_size: 320
    .language:       OpenCL C
    .language_version:
      - 2
      - 0
    .max_flat_workgroup_size: 1024
    .name:           _ZN4vllm39rms_norm_dynamic_per_token_quant_kernelIfN3c1015Float8_e4m3fnuzELb1EEEvPT0_PfPKT_S8_PKffiiPS6_
    .private_segment_fixed_size: 0
    .sgpr_count:     60
    .sgpr_spill_count: 0
    .symbol:         _ZN4vllm39rms_norm_dynamic_per_token_quant_kernelIfN3c1015Float8_e4m3fnuzELb1EEEvPT0_PfPKT_S8_PKffiiPS6_.kd
    .uniform_work_group_size: 1
    .uses_dynamic_stack: false
    .vgpr_count:     32
    .vgpr_spill_count: 0
    .wavefront_size: 64
  - .agpr_count:     0
    .args:
      - .actual_access:  write_only
        .address_space:  global
        .offset:         0
        .size:           8
        .value_kind:     global_buffer
      - .actual_access:  write_only
        .address_space:  global
        .offset:         8
        .size:           8
        .value_kind:     global_buffer
      - .actual_access:  read_only
        .address_space:  global
        .offset:         16
        .size:           8
        .value_kind:     global_buffer
      - .actual_access:  read_only
        .address_space:  global
        .offset:         24
        .size:           8
        .value_kind:     global_buffer
      - .address_space:  global
        .offset:         32
        .size:           8
        .value_kind:     global_buffer
      - .offset:         40
        .size:           4
        .value_kind:     by_value
      - .offset:         44
        .size:           4
        .value_kind:     by_value
      - .offset:         48
        .size:           4
        .value_kind:     by_value
      - .address_space:  global
        .offset:         56
        .size:           8
        .value_kind:     global_buffer
      - .offset:         64
        .size:           4
        .value_kind:     hidden_block_count_x
      - .offset:         68
        .size:           4
        .value_kind:     hidden_block_count_y
      - .offset:         72
        .size:           4
        .value_kind:     hidden_block_count_z
      - .offset:         76
        .size:           2
        .value_kind:     hidden_group_size_x
      - .offset:         78
        .size:           2
        .value_kind:     hidden_group_size_y
      - .offset:         80
        .size:           2
        .value_kind:     hidden_group_size_z
      - .offset:         82
        .size:           2
        .value_kind:     hidden_remainder_x
      - .offset:         84
        .size:           2
        .value_kind:     hidden_remainder_y
      - .offset:         86
        .size:           2
        .value_kind:     hidden_remainder_z
      - .offset:         104
        .size:           8
        .value_kind:     hidden_global_offset_x
      - .offset:         112
        .size:           8
        .value_kind:     hidden_global_offset_y
      - .offset:         120
        .size:           8
        .value_kind:     hidden_global_offset_z
      - .offset:         128
        .size:           2
        .value_kind:     hidden_grid_dims
    .group_segment_fixed_size: 272
    .kernarg_segment_align: 8
    .kernarg_segment_size: 320
    .language:       OpenCL C
    .language_version:
      - 2
      - 0
    .max_flat_workgroup_size: 1024
    .name:           _ZN4vllm39rms_norm_dynamic_per_token_quant_kernelIfaLb1EEEvPT0_PfPKT_S6_PKffiiPS4_
    .private_segment_fixed_size: 0
    .sgpr_count:     60
    .sgpr_spill_count: 0
    .symbol:         _ZN4vllm39rms_norm_dynamic_per_token_quant_kernelIfaLb1EEEvPT0_PfPKT_S6_PKffiiPS4_.kd
    .uniform_work_group_size: 1
    .uses_dynamic_stack: false
    .vgpr_count:     32
    .vgpr_spill_count: 0
    .wavefront_size: 64
  - .agpr_count:     0
    .args:
      - .actual_access:  write_only
        .address_space:  global
        .offset:         0
        .size:           8
        .value_kind:     global_buffer
      - .actual_access:  write_only
        .address_space:  global
        .offset:         8
        .size:           8
        .value_kind:     global_buffer
      - .actual_access:  read_only
        .address_space:  global
        .offset:         16
        .size:           8
        .value_kind:     global_buffer
      - .actual_access:  read_only
        .address_space:  global
        .offset:         24
        .size:           8
        .value_kind:     global_buffer
      - .address_space:  global
        .offset:         32
        .size:           8
        .value_kind:     global_buffer
      - .offset:         40
        .size:           4
        .value_kind:     by_value
      - .offset:         44
        .size:           4
        .value_kind:     by_value
      - .offset:         48
        .size:           4
        .value_kind:     by_value
      - .actual_access:  read_only
        .address_space:  global
        .offset:         56
        .size:           8
        .value_kind:     global_buffer
      - .offset:         64
        .size:           4
        .value_kind:     hidden_block_count_x
      - .offset:         68
        .size:           4
        .value_kind:     hidden_block_count_y
      - .offset:         72
        .size:           4
        .value_kind:     hidden_block_count_z
      - .offset:         76
        .size:           2
        .value_kind:     hidden_group_size_x
      - .offset:         78
        .size:           2
        .value_kind:     hidden_group_size_y
      - .offset:         80
        .size:           2
        .value_kind:     hidden_group_size_z
      - .offset:         82
        .size:           2
        .value_kind:     hidden_remainder_x
      - .offset:         84
        .size:           2
        .value_kind:     hidden_remainder_y
      - .offset:         86
        .size:           2
        .value_kind:     hidden_remainder_z
      - .offset:         104
        .size:           8
        .value_kind:     hidden_global_offset_x
      - .offset:         112
        .size:           8
        .value_kind:     hidden_global_offset_y
      - .offset:         120
        .size:           8
        .value_kind:     hidden_global_offset_z
      - .offset:         128
        .size:           2
        .value_kind:     hidden_grid_dims
    .group_segment_fixed_size: 272
    .kernarg_segment_align: 8
    .kernarg_segment_size: 320
    .language:       OpenCL C
    .language_version:
      - 2
      - 0
    .max_flat_workgroup_size: 1024
    .name:           _ZN4vllm39rms_norm_dynamic_per_token_quant_kernelIfN3c1013Float8_e4m3fnELb0EEEvPT0_PfPKT_S8_PKffiiPS6_
    .private_segment_fixed_size: 0
    .sgpr_count:     57
    .sgpr_spill_count: 0
    .symbol:         _ZN4vllm39rms_norm_dynamic_per_token_quant_kernelIfN3c1013Float8_e4m3fnELb0EEEvPT0_PfPKT_S8_PKffiiPS6_.kd
    .uniform_work_group_size: 1
    .uses_dynamic_stack: false
    .vgpr_count:     29
    .vgpr_spill_count: 0
    .wavefront_size: 64
  - .agpr_count:     0
    .args:
      - .actual_access:  write_only
        .address_space:  global
        .offset:         0
        .size:           8
        .value_kind:     global_buffer
      - .actual_access:  write_only
        .address_space:  global
        .offset:         8
        .size:           8
        .value_kind:     global_buffer
      - .actual_access:  read_only
        .address_space:  global
        .offset:         16
        .size:           8
        .value_kind:     global_buffer
      - .actual_access:  read_only
        .address_space:  global
        .offset:         24
        .size:           8
        .value_kind:     global_buffer
      - .address_space:  global
        .offset:         32
        .size:           8
        .value_kind:     global_buffer
      - .offset:         40
        .size:           4
        .value_kind:     by_value
      - .offset:         44
        .size:           4
        .value_kind:     by_value
      - .offset:         48
        .size:           4
        .value_kind:     by_value
      - .actual_access:  read_only
        .address_space:  global
        .offset:         56
        .size:           8
        .value_kind:     global_buffer
      - .offset:         64
        .size:           4
        .value_kind:     hidden_block_count_x
      - .offset:         68
        .size:           4
        .value_kind:     hidden_block_count_y
      - .offset:         72
        .size:           4
        .value_kind:     hidden_block_count_z
      - .offset:         76
        .size:           2
        .value_kind:     hidden_group_size_x
      - .offset:         78
        .size:           2
        .value_kind:     hidden_group_size_y
      - .offset:         80
        .size:           2
        .value_kind:     hidden_group_size_z
      - .offset:         82
        .size:           2
        .value_kind:     hidden_remainder_x
      - .offset:         84
        .size:           2
        .value_kind:     hidden_remainder_y
      - .offset:         86
        .size:           2
        .value_kind:     hidden_remainder_z
      - .offset:         104
        .size:           8
        .value_kind:     hidden_global_offset_x
      - .offset:         112
        .size:           8
        .value_kind:     hidden_global_offset_y
      - .offset:         120
        .size:           8
        .value_kind:     hidden_global_offset_z
      - .offset:         128
        .size:           2
        .value_kind:     hidden_grid_dims
    .group_segment_fixed_size: 272
    .kernarg_segment_align: 8
    .kernarg_segment_size: 320
    .language:       OpenCL C
    .language_version:
      - 2
      - 0
    .max_flat_workgroup_size: 1024
    .name:           _ZN4vllm39rms_norm_dynamic_per_token_quant_kernelIfN3c1015Float8_e4m3fnuzELb0EEEvPT0_PfPKT_S8_PKffiiPS6_
    .private_segment_fixed_size: 0
    .sgpr_count:     57
    .sgpr_spill_count: 0
    .symbol:         _ZN4vllm39rms_norm_dynamic_per_token_quant_kernelIfN3c1015Float8_e4m3fnuzELb0EEEvPT0_PfPKT_S8_PKffiiPS6_.kd
    .uniform_work_group_size: 1
    .uses_dynamic_stack: false
    .vgpr_count:     29
    .vgpr_spill_count: 0
    .wavefront_size: 64
  - .agpr_count:     0
    .args:
      - .actual_access:  write_only
        .address_space:  global
        .offset:         0
        .size:           8
        .value_kind:     global_buffer
      - .actual_access:  write_only
        .address_space:  global
        .offset:         8
        .size:           8
        .value_kind:     global_buffer
      - .actual_access:  read_only
        .address_space:  global
        .offset:         16
        .size:           8
        .value_kind:     global_buffer
      - .actual_access:  read_only
        .address_space:  global
        .offset:         24
        .size:           8
        .value_kind:     global_buffer
      - .address_space:  global
        .offset:         32
        .size:           8
        .value_kind:     global_buffer
      - .offset:         40
        .size:           4
        .value_kind:     by_value
      - .offset:         44
        .size:           4
        .value_kind:     by_value
      - .offset:         48
        .size:           4
        .value_kind:     by_value
      - .actual_access:  read_only
        .address_space:  global
        .offset:         56
        .size:           8
        .value_kind:     global_buffer
      - .offset:         64
        .size:           4
        .value_kind:     hidden_block_count_x
      - .offset:         68
        .size:           4
        .value_kind:     hidden_block_count_y
      - .offset:         72
        .size:           4
        .value_kind:     hidden_block_count_z
      - .offset:         76
        .size:           2
        .value_kind:     hidden_group_size_x
      - .offset:         78
        .size:           2
        .value_kind:     hidden_group_size_y
      - .offset:         80
        .size:           2
        .value_kind:     hidden_group_size_z
      - .offset:         82
        .size:           2
        .value_kind:     hidden_remainder_x
      - .offset:         84
        .size:           2
        .value_kind:     hidden_remainder_y
      - .offset:         86
        .size:           2
        .value_kind:     hidden_remainder_z
      - .offset:         104
        .size:           8
        .value_kind:     hidden_global_offset_x
      - .offset:         112
        .size:           8
        .value_kind:     hidden_global_offset_y
      - .offset:         120
        .size:           8
        .value_kind:     hidden_global_offset_z
      - .offset:         128
        .size:           2
        .value_kind:     hidden_grid_dims
    .group_segment_fixed_size: 272
    .kernarg_segment_align: 8
    .kernarg_segment_size: 320
    .language:       OpenCL C
    .language_version:
      - 2
      - 0
    .max_flat_workgroup_size: 1024
    .name:           _ZN4vllm39rms_norm_dynamic_per_token_quant_kernelIfaLb0EEEvPT0_PfPKT_S6_PKffiiPS4_
    .private_segment_fixed_size: 0
    .sgpr_count:     57
    .sgpr_spill_count: 0
    .symbol:         _ZN4vllm39rms_norm_dynamic_per_token_quant_kernelIfaLb0EEEvPT0_PfPKT_S6_PKffiiPS4_.kd
    .uniform_work_group_size: 1
    .uses_dynamic_stack: false
    .vgpr_count:     29
    .vgpr_spill_count: 0
    .wavefront_size: 64
  - .agpr_count:     0
    .args:
      - .actual_access:  write_only
        .address_space:  global
        .offset:         0
        .size:           8
        .value_kind:     global_buffer
      - .actual_access:  write_only
        .address_space:  global
        .offset:         8
        .size:           8
        .value_kind:     global_buffer
      - .actual_access:  read_only
        .address_space:  global
        .offset:         16
        .size:           8
        .value_kind:     global_buffer
      - .actual_access:  read_only
        .address_space:  global
        .offset:         24
        .size:           8
        .value_kind:     global_buffer
      - .address_space:  global
        .offset:         32
        .size:           8
        .value_kind:     global_buffer
      - .offset:         40
        .size:           4
        .value_kind:     by_value
      - .offset:         44
        .size:           4
        .value_kind:     by_value
      - .offset:         48
        .size:           4
        .value_kind:     by_value
      - .address_space:  global
        .offset:         56
        .size:           8
        .value_kind:     global_buffer
      - .offset:         64
        .size:           4
        .value_kind:     hidden_block_count_x
      - .offset:         68
        .size:           4
        .value_kind:     hidden_block_count_y
      - .offset:         72
        .size:           4
        .value_kind:     hidden_block_count_z
      - .offset:         76
        .size:           2
        .value_kind:     hidden_group_size_x
      - .offset:         78
        .size:           2
        .value_kind:     hidden_group_size_y
      - .offset:         80
        .size:           2
        .value_kind:     hidden_group_size_z
      - .offset:         82
        .size:           2
        .value_kind:     hidden_remainder_x
      - .offset:         84
        .size:           2
        .value_kind:     hidden_remainder_y
      - .offset:         86
        .size:           2
        .value_kind:     hidden_remainder_z
      - .offset:         104
        .size:           8
        .value_kind:     hidden_global_offset_x
      - .offset:         112
        .size:           8
        .value_kind:     hidden_global_offset_y
      - .offset:         120
        .size:           8
        .value_kind:     hidden_global_offset_z
      - .offset:         128
        .size:           2
        .value_kind:     hidden_grid_dims
    .group_segment_fixed_size: 272
    .kernarg_segment_align: 8
    .kernarg_segment_size: 320
    .language:       OpenCL C
    .language_version:
      - 2
      - 0
    .max_flat_workgroup_size: 1024
    .name:           _ZN4vllm39rms_norm_dynamic_per_token_quant_kernelIN3c104HalfENS1_13Float8_e4m3fnELb1EEEvPT0_PfPKT_S9_PKffiiPS7_
    .private_segment_fixed_size: 0
    .sgpr_count:     60
    .sgpr_spill_count: 0
    .symbol:         _ZN4vllm39rms_norm_dynamic_per_token_quant_kernelIN3c104HalfENS1_13Float8_e4m3fnELb1EEEvPT0_PfPKT_S9_PKffiiPS7_.kd
    .uniform_work_group_size: 1
    .uses_dynamic_stack: false
    .vgpr_count:     32
    .vgpr_spill_count: 0
    .wavefront_size: 64
  - .agpr_count:     0
    .args:
      - .actual_access:  write_only
        .address_space:  global
        .offset:         0
        .size:           8
        .value_kind:     global_buffer
      - .actual_access:  write_only
        .address_space:  global
        .offset:         8
        .size:           8
        .value_kind:     global_buffer
      - .actual_access:  read_only
        .address_space:  global
        .offset:         16
        .size:           8
        .value_kind:     global_buffer
      - .actual_access:  read_only
        .address_space:  global
        .offset:         24
        .size:           8
        .value_kind:     global_buffer
      - .address_space:  global
        .offset:         32
        .size:           8
        .value_kind:     global_buffer
      - .offset:         40
        .size:           4
        .value_kind:     by_value
      - .offset:         44
        .size:           4
        .value_kind:     by_value
      - .offset:         48
        .size:           4
        .value_kind:     by_value
      - .address_space:  global
        .offset:         56
        .size:           8
        .value_kind:     global_buffer
      - .offset:         64
        .size:           4
        .value_kind:     hidden_block_count_x
      - .offset:         68
        .size:           4
        .value_kind:     hidden_block_count_y
      - .offset:         72
        .size:           4
        .value_kind:     hidden_block_count_z
      - .offset:         76
        .size:           2
        .value_kind:     hidden_group_size_x
      - .offset:         78
        .size:           2
        .value_kind:     hidden_group_size_y
      - .offset:         80
        .size:           2
        .value_kind:     hidden_group_size_z
      - .offset:         82
        .size:           2
        .value_kind:     hidden_remainder_x
      - .offset:         84
        .size:           2
        .value_kind:     hidden_remainder_y
      - .offset:         86
        .size:           2
        .value_kind:     hidden_remainder_z
      - .offset:         104
        .size:           8
        .value_kind:     hidden_global_offset_x
      - .offset:         112
        .size:           8
        .value_kind:     hidden_global_offset_y
      - .offset:         120
        .size:           8
        .value_kind:     hidden_global_offset_z
      - .offset:         128
        .size:           2
        .value_kind:     hidden_grid_dims
    .group_segment_fixed_size: 272
    .kernarg_segment_align: 8
    .kernarg_segment_size: 320
    .language:       OpenCL C
    .language_version:
      - 2
      - 0
    .max_flat_workgroup_size: 1024
    .name:           _ZN4vllm39rms_norm_dynamic_per_token_quant_kernelIN3c104HalfENS1_15Float8_e4m3fnuzELb1EEEvPT0_PfPKT_S9_PKffiiPS7_
    .private_segment_fixed_size: 0
    .sgpr_count:     60
    .sgpr_spill_count: 0
    .symbol:         _ZN4vllm39rms_norm_dynamic_per_token_quant_kernelIN3c104HalfENS1_15Float8_e4m3fnuzELb1EEEvPT0_PfPKT_S9_PKffiiPS7_.kd
    .uniform_work_group_size: 1
    .uses_dynamic_stack: false
    .vgpr_count:     32
    .vgpr_spill_count: 0
    .wavefront_size: 64
  - .agpr_count:     0
    .args:
      - .actual_access:  write_only
        .address_space:  global
        .offset:         0
        .size:           8
        .value_kind:     global_buffer
      - .actual_access:  write_only
        .address_space:  global
        .offset:         8
        .size:           8
        .value_kind:     global_buffer
      - .actual_access:  read_only
        .address_space:  global
        .offset:         16
        .size:           8
        .value_kind:     global_buffer
      - .actual_access:  read_only
        .address_space:  global
        .offset:         24
        .size:           8
        .value_kind:     global_buffer
      - .address_space:  global
        .offset:         32
        .size:           8
        .value_kind:     global_buffer
      - .offset:         40
        .size:           4
        .value_kind:     by_value
      - .offset:         44
        .size:           4
        .value_kind:     by_value
      - .offset:         48
        .size:           4
        .value_kind:     by_value
      - .address_space:  global
        .offset:         56
        .size:           8
        .value_kind:     global_buffer
      - .offset:         64
        .size:           4
        .value_kind:     hidden_block_count_x
      - .offset:         68
        .size:           4
        .value_kind:     hidden_block_count_y
      - .offset:         72
        .size:           4
        .value_kind:     hidden_block_count_z
      - .offset:         76
        .size:           2
        .value_kind:     hidden_group_size_x
      - .offset:         78
        .size:           2
        .value_kind:     hidden_group_size_y
      - .offset:         80
        .size:           2
        .value_kind:     hidden_group_size_z
      - .offset:         82
        .size:           2
        .value_kind:     hidden_remainder_x
      - .offset:         84
        .size:           2
        .value_kind:     hidden_remainder_y
      - .offset:         86
        .size:           2
        .value_kind:     hidden_remainder_z
      - .offset:         104
        .size:           8
        .value_kind:     hidden_global_offset_x
      - .offset:         112
        .size:           8
        .value_kind:     hidden_global_offset_y
      - .offset:         120
        .size:           8
        .value_kind:     hidden_global_offset_z
      - .offset:         128
        .size:           2
        .value_kind:     hidden_grid_dims
    .group_segment_fixed_size: 272
    .kernarg_segment_align: 8
    .kernarg_segment_size: 320
    .language:       OpenCL C
    .language_version:
      - 2
      - 0
    .max_flat_workgroup_size: 1024
    .name:           _ZN4vllm39rms_norm_dynamic_per_token_quant_kernelIN3c104HalfEaLb1EEEvPT0_PfPKT_S8_PKffiiPS6_
    .private_segment_fixed_size: 0
    .sgpr_count:     60
    .sgpr_spill_count: 0
    .symbol:         _ZN4vllm39rms_norm_dynamic_per_token_quant_kernelIN3c104HalfEaLb1EEEvPT0_PfPKT_S8_PKffiiPS6_.kd
    .uniform_work_group_size: 1
    .uses_dynamic_stack: false
    .vgpr_count:     32
    .vgpr_spill_count: 0
    .wavefront_size: 64
  - .agpr_count:     0
    .args:
      - .actual_access:  write_only
        .address_space:  global
        .offset:         0
        .size:           8
        .value_kind:     global_buffer
      - .actual_access:  write_only
        .address_space:  global
        .offset:         8
        .size:           8
        .value_kind:     global_buffer
      - .actual_access:  read_only
        .address_space:  global
        .offset:         16
        .size:           8
        .value_kind:     global_buffer
      - .actual_access:  read_only
        .address_space:  global
        .offset:         24
        .size:           8
        .value_kind:     global_buffer
      - .address_space:  global
        .offset:         32
        .size:           8
        .value_kind:     global_buffer
      - .offset:         40
        .size:           4
        .value_kind:     by_value
      - .offset:         44
        .size:           4
        .value_kind:     by_value
      - .offset:         48
        .size:           4
        .value_kind:     by_value
      - .actual_access:  read_only
        .address_space:  global
        .offset:         56
        .size:           8
        .value_kind:     global_buffer
      - .offset:         64
        .size:           4
        .value_kind:     hidden_block_count_x
      - .offset:         68
        .size:           4
        .value_kind:     hidden_block_count_y
      - .offset:         72
        .size:           4
        .value_kind:     hidden_block_count_z
      - .offset:         76
        .size:           2
        .value_kind:     hidden_group_size_x
      - .offset:         78
        .size:           2
        .value_kind:     hidden_group_size_y
      - .offset:         80
        .size:           2
        .value_kind:     hidden_group_size_z
      - .offset:         82
        .size:           2
        .value_kind:     hidden_remainder_x
      - .offset:         84
        .size:           2
        .value_kind:     hidden_remainder_y
      - .offset:         86
        .size:           2
        .value_kind:     hidden_remainder_z
      - .offset:         104
        .size:           8
        .value_kind:     hidden_global_offset_x
      - .offset:         112
        .size:           8
        .value_kind:     hidden_global_offset_y
      - .offset:         120
        .size:           8
        .value_kind:     hidden_global_offset_z
      - .offset:         128
        .size:           2
        .value_kind:     hidden_grid_dims
    .group_segment_fixed_size: 272
    .kernarg_segment_align: 8
    .kernarg_segment_size: 320
    .language:       OpenCL C
    .language_version:
      - 2
      - 0
    .max_flat_workgroup_size: 1024
    .name:           _ZN4vllm39rms_norm_dynamic_per_token_quant_kernelIN3c104HalfENS1_13Float8_e4m3fnELb0EEEvPT0_PfPKT_S9_PKffiiPS7_
    .private_segment_fixed_size: 0
    .sgpr_count:     57
    .sgpr_spill_count: 0
    .symbol:         _ZN4vllm39rms_norm_dynamic_per_token_quant_kernelIN3c104HalfENS1_13Float8_e4m3fnELb0EEEvPT0_PfPKT_S9_PKffiiPS7_.kd
    .uniform_work_group_size: 1
    .uses_dynamic_stack: false
    .vgpr_count:     29
    .vgpr_spill_count: 0
    .wavefront_size: 64
  - .agpr_count:     0
    .args:
      - .actual_access:  write_only
        .address_space:  global
        .offset:         0
        .size:           8
        .value_kind:     global_buffer
      - .actual_access:  write_only
        .address_space:  global
        .offset:         8
        .size:           8
        .value_kind:     global_buffer
      - .actual_access:  read_only
        .address_space:  global
        .offset:         16
        .size:           8
        .value_kind:     global_buffer
      - .actual_access:  read_only
        .address_space:  global
        .offset:         24
        .size:           8
        .value_kind:     global_buffer
      - .address_space:  global
        .offset:         32
        .size:           8
        .value_kind:     global_buffer
      - .offset:         40
        .size:           4
        .value_kind:     by_value
      - .offset:         44
        .size:           4
        .value_kind:     by_value
      - .offset:         48
        .size:           4
        .value_kind:     by_value
      - .actual_access:  read_only
        .address_space:  global
        .offset:         56
        .size:           8
        .value_kind:     global_buffer
      - .offset:         64
        .size:           4
        .value_kind:     hidden_block_count_x
      - .offset:         68
        .size:           4
        .value_kind:     hidden_block_count_y
      - .offset:         72
        .size:           4
        .value_kind:     hidden_block_count_z
      - .offset:         76
        .size:           2
        .value_kind:     hidden_group_size_x
      - .offset:         78
        .size:           2
        .value_kind:     hidden_group_size_y
      - .offset:         80
        .size:           2
        .value_kind:     hidden_group_size_z
      - .offset:         82
        .size:           2
        .value_kind:     hidden_remainder_x
      - .offset:         84
        .size:           2
        .value_kind:     hidden_remainder_y
      - .offset:         86
        .size:           2
        .value_kind:     hidden_remainder_z
      - .offset:         104
        .size:           8
        .value_kind:     hidden_global_offset_x
      - .offset:         112
        .size:           8
        .value_kind:     hidden_global_offset_y
      - .offset:         120
        .size:           8
        .value_kind:     hidden_global_offset_z
      - .offset:         128
        .size:           2
        .value_kind:     hidden_grid_dims
    .group_segment_fixed_size: 272
    .kernarg_segment_align: 8
    .kernarg_segment_size: 320
    .language:       OpenCL C
    .language_version:
      - 2
      - 0
    .max_flat_workgroup_size: 1024
    .name:           _ZN4vllm39rms_norm_dynamic_per_token_quant_kernelIN3c104HalfENS1_15Float8_e4m3fnuzELb0EEEvPT0_PfPKT_S9_PKffiiPS7_
    .private_segment_fixed_size: 0
    .sgpr_count:     57
    .sgpr_spill_count: 0
    .symbol:         _ZN4vllm39rms_norm_dynamic_per_token_quant_kernelIN3c104HalfENS1_15Float8_e4m3fnuzELb0EEEvPT0_PfPKT_S9_PKffiiPS7_.kd
    .uniform_work_group_size: 1
    .uses_dynamic_stack: false
    .vgpr_count:     29
    .vgpr_spill_count: 0
    .wavefront_size: 64
  - .agpr_count:     0
    .args:
      - .actual_access:  write_only
        .address_space:  global
        .offset:         0
        .size:           8
        .value_kind:     global_buffer
      - .actual_access:  write_only
        .address_space:  global
        .offset:         8
        .size:           8
        .value_kind:     global_buffer
      - .actual_access:  read_only
        .address_space:  global
        .offset:         16
        .size:           8
        .value_kind:     global_buffer
      - .actual_access:  read_only
        .address_space:  global
        .offset:         24
        .size:           8
        .value_kind:     global_buffer
      - .address_space:  global
        .offset:         32
        .size:           8
        .value_kind:     global_buffer
      - .offset:         40
        .size:           4
        .value_kind:     by_value
      - .offset:         44
        .size:           4
        .value_kind:     by_value
      - .offset:         48
        .size:           4
        .value_kind:     by_value
      - .actual_access:  read_only
        .address_space:  global
        .offset:         56
        .size:           8
        .value_kind:     global_buffer
      - .offset:         64
        .size:           4
        .value_kind:     hidden_block_count_x
      - .offset:         68
        .size:           4
        .value_kind:     hidden_block_count_y
      - .offset:         72
        .size:           4
        .value_kind:     hidden_block_count_z
      - .offset:         76
        .size:           2
        .value_kind:     hidden_group_size_x
      - .offset:         78
        .size:           2
        .value_kind:     hidden_group_size_y
      - .offset:         80
        .size:           2
        .value_kind:     hidden_group_size_z
      - .offset:         82
        .size:           2
        .value_kind:     hidden_remainder_x
      - .offset:         84
        .size:           2
        .value_kind:     hidden_remainder_y
      - .offset:         86
        .size:           2
        .value_kind:     hidden_remainder_z
      - .offset:         104
        .size:           8
        .value_kind:     hidden_global_offset_x
      - .offset:         112
        .size:           8
        .value_kind:     hidden_global_offset_y
      - .offset:         120
        .size:           8
        .value_kind:     hidden_global_offset_z
      - .offset:         128
        .size:           2
        .value_kind:     hidden_grid_dims
    .group_segment_fixed_size: 272
    .kernarg_segment_align: 8
    .kernarg_segment_size: 320
    .language:       OpenCL C
    .language_version:
      - 2
      - 0
    .max_flat_workgroup_size: 1024
    .name:           _ZN4vllm39rms_norm_dynamic_per_token_quant_kernelIN3c104HalfEaLb0EEEvPT0_PfPKT_S8_PKffiiPS6_
    .private_segment_fixed_size: 0
    .sgpr_count:     57
    .sgpr_spill_count: 0
    .symbol:         _ZN4vllm39rms_norm_dynamic_per_token_quant_kernelIN3c104HalfEaLb0EEEvPT0_PfPKT_S8_PKffiiPS6_.kd
    .uniform_work_group_size: 1
    .uses_dynamic_stack: false
    .vgpr_count:     29
    .vgpr_spill_count: 0
    .wavefront_size: 64
  - .agpr_count:     0
    .args:
      - .actual_access:  write_only
        .address_space:  global
        .offset:         0
        .size:           8
        .value_kind:     global_buffer
      - .actual_access:  write_only
        .address_space:  global
        .offset:         8
        .size:           8
        .value_kind:     global_buffer
      - .actual_access:  read_only
        .address_space:  global
        .offset:         16
        .size:           8
        .value_kind:     global_buffer
      - .actual_access:  read_only
        .address_space:  global
        .offset:         24
        .size:           8
        .value_kind:     global_buffer
      - .address_space:  global
        .offset:         32
        .size:           8
        .value_kind:     global_buffer
      - .offset:         40
        .size:           4
        .value_kind:     by_value
      - .offset:         44
        .size:           4
        .value_kind:     by_value
      - .offset:         48
        .size:           4
        .value_kind:     by_value
      - .address_space:  global
        .offset:         56
        .size:           8
        .value_kind:     global_buffer
      - .offset:         64
        .size:           4
        .value_kind:     hidden_block_count_x
      - .offset:         68
        .size:           4
        .value_kind:     hidden_block_count_y
      - .offset:         72
        .size:           4
        .value_kind:     hidden_block_count_z
      - .offset:         76
        .size:           2
        .value_kind:     hidden_group_size_x
      - .offset:         78
        .size:           2
        .value_kind:     hidden_group_size_y
      - .offset:         80
        .size:           2
        .value_kind:     hidden_group_size_z
      - .offset:         82
        .size:           2
        .value_kind:     hidden_remainder_x
      - .offset:         84
        .size:           2
        .value_kind:     hidden_remainder_y
      - .offset:         86
        .size:           2
        .value_kind:     hidden_remainder_z
      - .offset:         104
        .size:           8
        .value_kind:     hidden_global_offset_x
      - .offset:         112
        .size:           8
        .value_kind:     hidden_global_offset_y
      - .offset:         120
        .size:           8
        .value_kind:     hidden_global_offset_z
      - .offset:         128
        .size:           2
        .value_kind:     hidden_grid_dims
    .group_segment_fixed_size: 272
    .kernarg_segment_align: 8
    .kernarg_segment_size: 320
    .language:       OpenCL C
    .language_version:
      - 2
      - 0
    .max_flat_workgroup_size: 1024
    .name:           _ZN4vllm39rms_norm_dynamic_per_token_quant_kernelIN3c108BFloat16ENS1_13Float8_e4m3fnELb1EEEvPT0_PfPKT_S9_PKffiiPS7_
    .private_segment_fixed_size: 0
    .sgpr_count:     61
    .sgpr_spill_count: 0
    .symbol:         _ZN4vllm39rms_norm_dynamic_per_token_quant_kernelIN3c108BFloat16ENS1_13Float8_e4m3fnELb1EEEvPT0_PfPKT_S9_PKffiiPS7_.kd
    .uniform_work_group_size: 1
    .uses_dynamic_stack: false
    .vgpr_count:     34
    .vgpr_spill_count: 0
    .wavefront_size: 64
  - .agpr_count:     0
    .args:
      - .actual_access:  write_only
        .address_space:  global
        .offset:         0
        .size:           8
        .value_kind:     global_buffer
      - .actual_access:  write_only
        .address_space:  global
        .offset:         8
        .size:           8
        .value_kind:     global_buffer
      - .actual_access:  read_only
        .address_space:  global
        .offset:         16
        .size:           8
        .value_kind:     global_buffer
      - .actual_access:  read_only
        .address_space:  global
        .offset:         24
        .size:           8
        .value_kind:     global_buffer
      - .address_space:  global
        .offset:         32
        .size:           8
        .value_kind:     global_buffer
      - .offset:         40
        .size:           4
        .value_kind:     by_value
      - .offset:         44
        .size:           4
        .value_kind:     by_value
      - .offset:         48
        .size:           4
        .value_kind:     by_value
      - .address_space:  global
        .offset:         56
        .size:           8
        .value_kind:     global_buffer
      - .offset:         64
        .size:           4
        .value_kind:     hidden_block_count_x
      - .offset:         68
        .size:           4
        .value_kind:     hidden_block_count_y
      - .offset:         72
        .size:           4
        .value_kind:     hidden_block_count_z
      - .offset:         76
        .size:           2
        .value_kind:     hidden_group_size_x
      - .offset:         78
        .size:           2
        .value_kind:     hidden_group_size_y
      - .offset:         80
        .size:           2
        .value_kind:     hidden_group_size_z
      - .offset:         82
        .size:           2
        .value_kind:     hidden_remainder_x
      - .offset:         84
        .size:           2
        .value_kind:     hidden_remainder_y
      - .offset:         86
        .size:           2
        .value_kind:     hidden_remainder_z
      - .offset:         104
        .size:           8
        .value_kind:     hidden_global_offset_x
      - .offset:         112
        .size:           8
        .value_kind:     hidden_global_offset_y
      - .offset:         120
        .size:           8
        .value_kind:     hidden_global_offset_z
      - .offset:         128
        .size:           2
        .value_kind:     hidden_grid_dims
    .group_segment_fixed_size: 272
    .kernarg_segment_align: 8
    .kernarg_segment_size: 320
    .language:       OpenCL C
    .language_version:
      - 2
      - 0
    .max_flat_workgroup_size: 1024
    .name:           _ZN4vllm39rms_norm_dynamic_per_token_quant_kernelIN3c108BFloat16ENS1_15Float8_e4m3fnuzELb1EEEvPT0_PfPKT_S9_PKffiiPS7_
    .private_segment_fixed_size: 0
    .sgpr_count:     61
    .sgpr_spill_count: 0
    .symbol:         _ZN4vllm39rms_norm_dynamic_per_token_quant_kernelIN3c108BFloat16ENS1_15Float8_e4m3fnuzELb1EEEvPT0_PfPKT_S9_PKffiiPS7_.kd
    .uniform_work_group_size: 1
    .uses_dynamic_stack: false
    .vgpr_count:     34
    .vgpr_spill_count: 0
    .wavefront_size: 64
  - .agpr_count:     0
    .args:
      - .actual_access:  write_only
        .address_space:  global
        .offset:         0
        .size:           8
        .value_kind:     global_buffer
      - .actual_access:  write_only
        .address_space:  global
        .offset:         8
        .size:           8
        .value_kind:     global_buffer
      - .actual_access:  read_only
        .address_space:  global
        .offset:         16
        .size:           8
        .value_kind:     global_buffer
      - .actual_access:  read_only
        .address_space:  global
        .offset:         24
        .size:           8
        .value_kind:     global_buffer
      - .address_space:  global
        .offset:         32
        .size:           8
        .value_kind:     global_buffer
      - .offset:         40
        .size:           4
        .value_kind:     by_value
      - .offset:         44
        .size:           4
        .value_kind:     by_value
      - .offset:         48
        .size:           4
        .value_kind:     by_value
      - .address_space:  global
        .offset:         56
        .size:           8
        .value_kind:     global_buffer
      - .offset:         64
        .size:           4
        .value_kind:     hidden_block_count_x
      - .offset:         68
        .size:           4
        .value_kind:     hidden_block_count_y
      - .offset:         72
        .size:           4
        .value_kind:     hidden_block_count_z
      - .offset:         76
        .size:           2
        .value_kind:     hidden_group_size_x
      - .offset:         78
        .size:           2
        .value_kind:     hidden_group_size_y
      - .offset:         80
        .size:           2
        .value_kind:     hidden_group_size_z
      - .offset:         82
        .size:           2
        .value_kind:     hidden_remainder_x
      - .offset:         84
        .size:           2
        .value_kind:     hidden_remainder_y
      - .offset:         86
        .size:           2
        .value_kind:     hidden_remainder_z
      - .offset:         104
        .size:           8
        .value_kind:     hidden_global_offset_x
      - .offset:         112
        .size:           8
        .value_kind:     hidden_global_offset_y
      - .offset:         120
        .size:           8
        .value_kind:     hidden_global_offset_z
      - .offset:         128
        .size:           2
        .value_kind:     hidden_grid_dims
    .group_segment_fixed_size: 272
    .kernarg_segment_align: 8
    .kernarg_segment_size: 320
    .language:       OpenCL C
    .language_version:
      - 2
      - 0
    .max_flat_workgroup_size: 1024
    .name:           _ZN4vllm39rms_norm_dynamic_per_token_quant_kernelIN3c108BFloat16EaLb1EEEvPT0_PfPKT_S8_PKffiiPS6_
    .private_segment_fixed_size: 0
    .sgpr_count:     61
    .sgpr_spill_count: 0
    .symbol:         _ZN4vllm39rms_norm_dynamic_per_token_quant_kernelIN3c108BFloat16EaLb1EEEvPT0_PfPKT_S8_PKffiiPS6_.kd
    .uniform_work_group_size: 1
    .uses_dynamic_stack: false
    .vgpr_count:     37
    .vgpr_spill_count: 0
    .wavefront_size: 64
  - .agpr_count:     0
    .args:
      - .actual_access:  write_only
        .address_space:  global
        .offset:         0
        .size:           8
        .value_kind:     global_buffer
      - .actual_access:  write_only
        .address_space:  global
        .offset:         8
        .size:           8
        .value_kind:     global_buffer
      - .actual_access:  read_only
        .address_space:  global
        .offset:         16
        .size:           8
        .value_kind:     global_buffer
      - .actual_access:  read_only
        .address_space:  global
        .offset:         24
        .size:           8
        .value_kind:     global_buffer
      - .address_space:  global
        .offset:         32
        .size:           8
        .value_kind:     global_buffer
      - .offset:         40
        .size:           4
        .value_kind:     by_value
      - .offset:         44
        .size:           4
        .value_kind:     by_value
      - .offset:         48
        .size:           4
        .value_kind:     by_value
      - .actual_access:  read_only
        .address_space:  global
        .offset:         56
        .size:           8
        .value_kind:     global_buffer
      - .offset:         64
        .size:           4
        .value_kind:     hidden_block_count_x
      - .offset:         68
        .size:           4
        .value_kind:     hidden_block_count_y
      - .offset:         72
        .size:           4
        .value_kind:     hidden_block_count_z
      - .offset:         76
        .size:           2
        .value_kind:     hidden_group_size_x
      - .offset:         78
        .size:           2
        .value_kind:     hidden_group_size_y
      - .offset:         80
        .size:           2
        .value_kind:     hidden_group_size_z
      - .offset:         82
        .size:           2
        .value_kind:     hidden_remainder_x
      - .offset:         84
        .size:           2
        .value_kind:     hidden_remainder_y
      - .offset:         86
        .size:           2
        .value_kind:     hidden_remainder_z
      - .offset:         104
        .size:           8
        .value_kind:     hidden_global_offset_x
      - .offset:         112
        .size:           8
        .value_kind:     hidden_global_offset_y
      - .offset:         120
        .size:           8
        .value_kind:     hidden_global_offset_z
      - .offset:         128
        .size:           2
        .value_kind:     hidden_grid_dims
    .group_segment_fixed_size: 272
    .kernarg_segment_align: 8
    .kernarg_segment_size: 320
    .language:       OpenCL C
    .language_version:
      - 2
      - 0
    .max_flat_workgroup_size: 1024
    .name:           _ZN4vllm39rms_norm_dynamic_per_token_quant_kernelIN3c108BFloat16ENS1_13Float8_e4m3fnELb0EEEvPT0_PfPKT_S9_PKffiiPS7_
    .private_segment_fixed_size: 0
    .sgpr_count:     58
    .sgpr_spill_count: 0
    .symbol:         _ZN4vllm39rms_norm_dynamic_per_token_quant_kernelIN3c108BFloat16ENS1_13Float8_e4m3fnELb0EEEvPT0_PfPKT_S9_PKffiiPS7_.kd
    .uniform_work_group_size: 1
    .uses_dynamic_stack: false
    .vgpr_count:     30
    .vgpr_spill_count: 0
    .wavefront_size: 64
  - .agpr_count:     0
    .args:
      - .actual_access:  write_only
        .address_space:  global
        .offset:         0
        .size:           8
        .value_kind:     global_buffer
      - .actual_access:  write_only
        .address_space:  global
        .offset:         8
        .size:           8
        .value_kind:     global_buffer
      - .actual_access:  read_only
        .address_space:  global
        .offset:         16
        .size:           8
        .value_kind:     global_buffer
      - .actual_access:  read_only
        .address_space:  global
        .offset:         24
        .size:           8
        .value_kind:     global_buffer
      - .address_space:  global
        .offset:         32
        .size:           8
        .value_kind:     global_buffer
      - .offset:         40
        .size:           4
        .value_kind:     by_value
      - .offset:         44
        .size:           4
        .value_kind:     by_value
      - .offset:         48
        .size:           4
        .value_kind:     by_value
      - .actual_access:  read_only
        .address_space:  global
        .offset:         56
        .size:           8
        .value_kind:     global_buffer
      - .offset:         64
        .size:           4
        .value_kind:     hidden_block_count_x
      - .offset:         68
        .size:           4
        .value_kind:     hidden_block_count_y
      - .offset:         72
        .size:           4
        .value_kind:     hidden_block_count_z
      - .offset:         76
        .size:           2
        .value_kind:     hidden_group_size_x
      - .offset:         78
        .size:           2
        .value_kind:     hidden_group_size_y
      - .offset:         80
        .size:           2
        .value_kind:     hidden_group_size_z
      - .offset:         82
        .size:           2
        .value_kind:     hidden_remainder_x
      - .offset:         84
        .size:           2
        .value_kind:     hidden_remainder_y
      - .offset:         86
        .size:           2
        .value_kind:     hidden_remainder_z
      - .offset:         104
        .size:           8
        .value_kind:     hidden_global_offset_x
      - .offset:         112
        .size:           8
        .value_kind:     hidden_global_offset_y
      - .offset:         120
        .size:           8
        .value_kind:     hidden_global_offset_z
      - .offset:         128
        .size:           2
        .value_kind:     hidden_grid_dims
    .group_segment_fixed_size: 272
    .kernarg_segment_align: 8
    .kernarg_segment_size: 320
    .language:       OpenCL C
    .language_version:
      - 2
      - 0
    .max_flat_workgroup_size: 1024
    .name:           _ZN4vllm39rms_norm_dynamic_per_token_quant_kernelIN3c108BFloat16ENS1_15Float8_e4m3fnuzELb0EEEvPT0_PfPKT_S9_PKffiiPS7_
    .private_segment_fixed_size: 0
    .sgpr_count:     58
    .sgpr_spill_count: 0
    .symbol:         _ZN4vllm39rms_norm_dynamic_per_token_quant_kernelIN3c108BFloat16ENS1_15Float8_e4m3fnuzELb0EEEvPT0_PfPKT_S9_PKffiiPS7_.kd
    .uniform_work_group_size: 1
    .uses_dynamic_stack: false
    .vgpr_count:     30
    .vgpr_spill_count: 0
    .wavefront_size: 64
  - .agpr_count:     0
    .args:
      - .actual_access:  write_only
        .address_space:  global
        .offset:         0
        .size:           8
        .value_kind:     global_buffer
      - .actual_access:  write_only
        .address_space:  global
        .offset:         8
        .size:           8
        .value_kind:     global_buffer
      - .actual_access:  read_only
        .address_space:  global
        .offset:         16
        .size:           8
        .value_kind:     global_buffer
      - .actual_access:  read_only
        .address_space:  global
        .offset:         24
        .size:           8
        .value_kind:     global_buffer
      - .address_space:  global
        .offset:         32
        .size:           8
        .value_kind:     global_buffer
      - .offset:         40
        .size:           4
        .value_kind:     by_value
      - .offset:         44
        .size:           4
        .value_kind:     by_value
      - .offset:         48
        .size:           4
        .value_kind:     by_value
      - .actual_access:  read_only
        .address_space:  global
        .offset:         56
        .size:           8
        .value_kind:     global_buffer
      - .offset:         64
        .size:           4
        .value_kind:     hidden_block_count_x
      - .offset:         68
        .size:           4
        .value_kind:     hidden_block_count_y
      - .offset:         72
        .size:           4
        .value_kind:     hidden_block_count_z
      - .offset:         76
        .size:           2
        .value_kind:     hidden_group_size_x
      - .offset:         78
        .size:           2
        .value_kind:     hidden_group_size_y
      - .offset:         80
        .size:           2
        .value_kind:     hidden_group_size_z
      - .offset:         82
        .size:           2
        .value_kind:     hidden_remainder_x
      - .offset:         84
        .size:           2
        .value_kind:     hidden_remainder_y
      - .offset:         86
        .size:           2
        .value_kind:     hidden_remainder_z
      - .offset:         104
        .size:           8
        .value_kind:     hidden_global_offset_x
      - .offset:         112
        .size:           8
        .value_kind:     hidden_global_offset_y
      - .offset:         120
        .size:           8
        .value_kind:     hidden_global_offset_z
      - .offset:         128
        .size:           2
        .value_kind:     hidden_grid_dims
    .group_segment_fixed_size: 272
    .kernarg_segment_align: 8
    .kernarg_segment_size: 320
    .language:       OpenCL C
    .language_version:
      - 2
      - 0
    .max_flat_workgroup_size: 1024
    .name:           _ZN4vllm39rms_norm_dynamic_per_token_quant_kernelIN3c108BFloat16EaLb0EEEvPT0_PfPKT_S8_PKffiiPS6_
    .private_segment_fixed_size: 0
    .sgpr_count:     58
    .sgpr_spill_count: 0
    .symbol:         _ZN4vllm39rms_norm_dynamic_per_token_quant_kernelIN3c108BFloat16EaLb0EEEvPT0_PfPKT_S8_PKffiiPS6_.kd
    .uniform_work_group_size: 1
    .uses_dynamic_stack: false
    .vgpr_count:     30
    .vgpr_spill_count: 0
    .wavefront_size: 64
  - .agpr_count:     0
    .args:
      - .actual_access:  write_only
        .address_space:  global
        .offset:         0
        .size:           8
        .value_kind:     global_buffer
      - .address_space:  global
        .offset:         8
        .size:           8
        .value_kind:     global_buffer
      - .actual_access:  read_only
        .address_space:  global
        .offset:         16
        .size:           8
        .value_kind:     global_buffer
      - .actual_access:  read_only
        .address_space:  global
        .offset:         24
        .size:           8
        .value_kind:     global_buffer
      - .address_space:  global
        .offset:         32
        .size:           8
        .value_kind:     global_buffer
      - .offset:         40
        .size:           4
        .value_kind:     by_value
      - .offset:         44
        .size:           4
        .value_kind:     by_value
      - .offset:         48
        .size:           4
        .value_kind:     by_value
      - .address_space:  global
        .offset:         56
        .size:           8
        .value_kind:     global_buffer
      - .offset:         64
        .size:           8
        .value_kind:     by_value
      - .offset:         72
        .size:           4
        .value_kind:     hidden_block_count_x
      - .offset:         76
        .size:           4
        .value_kind:     hidden_block_count_y
      - .offset:         80
        .size:           4
        .value_kind:     hidden_block_count_z
      - .offset:         84
        .size:           2
        .value_kind:     hidden_group_size_x
      - .offset:         86
        .size:           2
        .value_kind:     hidden_group_size_y
      - .offset:         88
        .size:           2
        .value_kind:     hidden_group_size_z
      - .offset:         90
        .size:           2
        .value_kind:     hidden_remainder_x
      - .offset:         92
        .size:           2
        .value_kind:     hidden_remainder_y
      - .offset:         94
        .size:           2
        .value_kind:     hidden_remainder_z
      - .offset:         112
        .size:           8
        .value_kind:     hidden_global_offset_x
      - .offset:         120
        .size:           8
        .value_kind:     hidden_global_offset_y
      - .offset:         128
        .size:           8
        .value_kind:     hidden_global_offset_z
      - .offset:         136
        .size:           2
        .value_kind:     hidden_grid_dims
    .group_segment_fixed_size: 4164
    .kernarg_segment_align: 8
    .kernarg_segment_size: 328
    .language:       OpenCL C
    .language_version:
      - 2
      - 0
    .max_flat_workgroup_size: 1024
    .name:           _ZN4vllm31rms_norm_per_block_quant_kernelIfN3c1013Float8_e4m3fnELb1ELb1ELi128EEEvPT0_PfPKT_S8_PKffiiPS6_l
    .private_segment_fixed_size: 0
    .sgpr_count:     53
    .sgpr_spill_count: 0
    .symbol:         _ZN4vllm31rms_norm_per_block_quant_kernelIfN3c1013Float8_e4m3fnELb1ELb1ELi128EEEvPT0_PfPKT_S8_PKffiiPS6_l.kd
    .uniform_work_group_size: 1
    .uses_dynamic_stack: false
    .vgpr_count:     44
    .vgpr_spill_count: 0
    .wavefront_size: 64
  - .agpr_count:     0
    .args:
      - .actual_access:  write_only
        .address_space:  global
        .offset:         0
        .size:           8
        .value_kind:     global_buffer
      - .address_space:  global
        .offset:         8
        .size:           8
        .value_kind:     global_buffer
      - .actual_access:  read_only
        .address_space:  global
        .offset:         16
        .size:           8
        .value_kind:     global_buffer
      - .actual_access:  read_only
        .address_space:  global
        .offset:         24
        .size:           8
        .value_kind:     global_buffer
      - .address_space:  global
        .offset:         32
        .size:           8
        .value_kind:     global_buffer
      - .offset:         40
        .size:           4
        .value_kind:     by_value
      - .offset:         44
        .size:           4
        .value_kind:     by_value
      - .offset:         48
        .size:           4
        .value_kind:     by_value
      - .address_space:  global
        .offset:         56
        .size:           8
        .value_kind:     global_buffer
      - .offset:         64
        .size:           8
        .value_kind:     by_value
      - .offset:         72
        .size:           4
        .value_kind:     hidden_block_count_x
      - .offset:         76
        .size:           4
        .value_kind:     hidden_block_count_y
      - .offset:         80
        .size:           4
        .value_kind:     hidden_block_count_z
      - .offset:         84
        .size:           2
        .value_kind:     hidden_group_size_x
      - .offset:         86
        .size:           2
        .value_kind:     hidden_group_size_y
      - .offset:         88
        .size:           2
        .value_kind:     hidden_group_size_z
      - .offset:         90
        .size:           2
        .value_kind:     hidden_remainder_x
      - .offset:         92
        .size:           2
        .value_kind:     hidden_remainder_y
      - .offset:         94
        .size:           2
        .value_kind:     hidden_remainder_z
      - .offset:         112
        .size:           8
        .value_kind:     hidden_global_offset_x
      - .offset:         120
        .size:           8
        .value_kind:     hidden_global_offset_y
      - .offset:         128
        .size:           8
        .value_kind:     hidden_global_offset_z
      - .offset:         136
        .size:           2
        .value_kind:     hidden_grid_dims
    .group_segment_fixed_size: 4164
    .kernarg_segment_align: 8
    .kernarg_segment_size: 328
    .language:       OpenCL C
    .language_version:
      - 2
      - 0
    .max_flat_workgroup_size: 1024
    .name:           _ZN4vllm31rms_norm_per_block_quant_kernelIfN3c1015Float8_e4m3fnuzELb1ELb1ELi128EEEvPT0_PfPKT_S8_PKffiiPS6_l
    .private_segment_fixed_size: 0
    .sgpr_count:     53
    .sgpr_spill_count: 0
    .symbol:         _ZN4vllm31rms_norm_per_block_quant_kernelIfN3c1015Float8_e4m3fnuzELb1ELb1ELi128EEEvPT0_PfPKT_S8_PKffiiPS6_l.kd
    .uniform_work_group_size: 1
    .uses_dynamic_stack: false
    .vgpr_count:     44
    .vgpr_spill_count: 0
    .wavefront_size: 64
  - .agpr_count:     0
    .args:
      - .actual_access:  write_only
        .address_space:  global
        .offset:         0
        .size:           8
        .value_kind:     global_buffer
      - .address_space:  global
        .offset:         8
        .size:           8
        .value_kind:     global_buffer
      - .actual_access:  read_only
        .address_space:  global
        .offset:         16
        .size:           8
        .value_kind:     global_buffer
      - .actual_access:  read_only
        .address_space:  global
        .offset:         24
        .size:           8
        .value_kind:     global_buffer
      - .address_space:  global
        .offset:         32
        .size:           8
        .value_kind:     global_buffer
      - .offset:         40
        .size:           4
        .value_kind:     by_value
      - .offset:         44
        .size:           4
        .value_kind:     by_value
      - .offset:         48
        .size:           4
        .value_kind:     by_value
      - .address_space:  global
        .offset:         56
        .size:           8
        .value_kind:     global_buffer
      - .offset:         64
        .size:           8
        .value_kind:     by_value
      - .offset:         72
        .size:           4
        .value_kind:     hidden_block_count_x
      - .offset:         76
        .size:           4
        .value_kind:     hidden_block_count_y
      - .offset:         80
        .size:           4
        .value_kind:     hidden_block_count_z
      - .offset:         84
        .size:           2
        .value_kind:     hidden_group_size_x
      - .offset:         86
        .size:           2
        .value_kind:     hidden_group_size_y
      - .offset:         88
        .size:           2
        .value_kind:     hidden_group_size_z
      - .offset:         90
        .size:           2
        .value_kind:     hidden_remainder_x
      - .offset:         92
        .size:           2
        .value_kind:     hidden_remainder_y
      - .offset:         94
        .size:           2
        .value_kind:     hidden_remainder_z
      - .offset:         112
        .size:           8
        .value_kind:     hidden_global_offset_x
      - .offset:         120
        .size:           8
        .value_kind:     hidden_global_offset_y
      - .offset:         128
        .size:           8
        .value_kind:     hidden_global_offset_z
      - .offset:         136
        .size:           2
        .value_kind:     hidden_grid_dims
    .group_segment_fixed_size: 4164
    .kernarg_segment_align: 8
    .kernarg_segment_size: 328
    .language:       OpenCL C
    .language_version:
      - 2
      - 0
    .max_flat_workgroup_size: 1024
    .name:           _ZN4vllm31rms_norm_per_block_quant_kernelIfaLb1ELb1ELi128EEEvPT0_PfPKT_S6_PKffiiPS4_l
    .private_segment_fixed_size: 0
    .sgpr_count:     53
    .sgpr_spill_count: 0
    .symbol:         _ZN4vllm31rms_norm_per_block_quant_kernelIfaLb1ELb1ELi128EEEvPT0_PfPKT_S6_PKffiiPS4_l.kd
    .uniform_work_group_size: 1
    .uses_dynamic_stack: false
    .vgpr_count:     44
    .vgpr_spill_count: 0
    .wavefront_size: 64
  - .agpr_count:     0
    .args:
      - .actual_access:  write_only
        .address_space:  global
        .offset:         0
        .size:           8
        .value_kind:     global_buffer
      - .address_space:  global
        .offset:         8
        .size:           8
        .value_kind:     global_buffer
      - .actual_access:  read_only
        .address_space:  global
        .offset:         16
        .size:           8
        .value_kind:     global_buffer
      - .actual_access:  read_only
        .address_space:  global
        .offset:         24
        .size:           8
        .value_kind:     global_buffer
      - .address_space:  global
        .offset:         32
        .size:           8
        .value_kind:     global_buffer
      - .offset:         40
        .size:           4
        .value_kind:     by_value
      - .offset:         44
        .size:           4
        .value_kind:     by_value
      - .offset:         48
        .size:           4
        .value_kind:     by_value
      - .address_space:  global
        .offset:         56
        .size:           8
        .value_kind:     global_buffer
      - .offset:         64
        .size:           8
        .value_kind:     by_value
      - .offset:         72
        .size:           4
        .value_kind:     hidden_block_count_x
      - .offset:         76
        .size:           4
        .value_kind:     hidden_block_count_y
      - .offset:         80
        .size:           4
        .value_kind:     hidden_block_count_z
      - .offset:         84
        .size:           2
        .value_kind:     hidden_group_size_x
      - .offset:         86
        .size:           2
        .value_kind:     hidden_group_size_y
      - .offset:         88
        .size:           2
        .value_kind:     hidden_group_size_z
      - .offset:         90
        .size:           2
        .value_kind:     hidden_remainder_x
      - .offset:         92
        .size:           2
        .value_kind:     hidden_remainder_y
      - .offset:         94
        .size:           2
        .value_kind:     hidden_remainder_z
      - .offset:         112
        .size:           8
        .value_kind:     hidden_global_offset_x
      - .offset:         120
        .size:           8
        .value_kind:     hidden_global_offset_y
      - .offset:         128
        .size:           8
        .value_kind:     hidden_global_offset_z
      - .offset:         136
        .size:           2
        .value_kind:     hidden_grid_dims
    .group_segment_fixed_size: 4164
    .kernarg_segment_align: 8
    .kernarg_segment_size: 328
    .language:       OpenCL C
    .language_version:
      - 2
      - 0
    .max_flat_workgroup_size: 1024
    .name:           _ZN4vllm31rms_norm_per_block_quant_kernelIfN3c1013Float8_e4m3fnELb1ELb0ELi128EEEvPT0_PfPKT_S8_PKffiiPS6_l
    .private_segment_fixed_size: 0
    .sgpr_count:     52
    .sgpr_spill_count: 0
    .symbol:         _ZN4vllm31rms_norm_per_block_quant_kernelIfN3c1013Float8_e4m3fnELb1ELb0ELi128EEEvPT0_PfPKT_S8_PKffiiPS6_l.kd
    .uniform_work_group_size: 1
    .uses_dynamic_stack: false
    .vgpr_count:     44
    .vgpr_spill_count: 0
    .wavefront_size: 64
  - .agpr_count:     0
    .args:
      - .actual_access:  write_only
        .address_space:  global
        .offset:         0
        .size:           8
        .value_kind:     global_buffer
      - .address_space:  global
        .offset:         8
        .size:           8
        .value_kind:     global_buffer
      - .actual_access:  read_only
        .address_space:  global
        .offset:         16
        .size:           8
        .value_kind:     global_buffer
      - .actual_access:  read_only
        .address_space:  global
        .offset:         24
        .size:           8
        .value_kind:     global_buffer
      - .address_space:  global
        .offset:         32
        .size:           8
        .value_kind:     global_buffer
      - .offset:         40
        .size:           4
        .value_kind:     by_value
      - .offset:         44
        .size:           4
        .value_kind:     by_value
      - .offset:         48
        .size:           4
        .value_kind:     by_value
      - .address_space:  global
        .offset:         56
        .size:           8
        .value_kind:     global_buffer
      - .offset:         64
        .size:           8
        .value_kind:     by_value
      - .offset:         72
        .size:           4
        .value_kind:     hidden_block_count_x
      - .offset:         76
        .size:           4
        .value_kind:     hidden_block_count_y
      - .offset:         80
        .size:           4
        .value_kind:     hidden_block_count_z
      - .offset:         84
        .size:           2
        .value_kind:     hidden_group_size_x
      - .offset:         86
        .size:           2
        .value_kind:     hidden_group_size_y
      - .offset:         88
        .size:           2
        .value_kind:     hidden_group_size_z
      - .offset:         90
        .size:           2
        .value_kind:     hidden_remainder_x
      - .offset:         92
        .size:           2
        .value_kind:     hidden_remainder_y
      - .offset:         94
        .size:           2
        .value_kind:     hidden_remainder_z
      - .offset:         112
        .size:           8
        .value_kind:     hidden_global_offset_x
      - .offset:         120
        .size:           8
        .value_kind:     hidden_global_offset_y
      - .offset:         128
        .size:           8
        .value_kind:     hidden_global_offset_z
      - .offset:         136
        .size:           2
        .value_kind:     hidden_grid_dims
    .group_segment_fixed_size: 4164
    .kernarg_segment_align: 8
    .kernarg_segment_size: 328
    .language:       OpenCL C
    .language_version:
      - 2
      - 0
    .max_flat_workgroup_size: 1024
    .name:           _ZN4vllm31rms_norm_per_block_quant_kernelIfN3c1015Float8_e4m3fnuzELb1ELb0ELi128EEEvPT0_PfPKT_S8_PKffiiPS6_l
    .private_segment_fixed_size: 0
    .sgpr_count:     52
    .sgpr_spill_count: 0
    .symbol:         _ZN4vllm31rms_norm_per_block_quant_kernelIfN3c1015Float8_e4m3fnuzELb1ELb0ELi128EEEvPT0_PfPKT_S8_PKffiiPS6_l.kd
    .uniform_work_group_size: 1
    .uses_dynamic_stack: false
    .vgpr_count:     44
    .vgpr_spill_count: 0
    .wavefront_size: 64
  - .agpr_count:     0
    .args:
      - .actual_access:  write_only
        .address_space:  global
        .offset:         0
        .size:           8
        .value_kind:     global_buffer
      - .address_space:  global
        .offset:         8
        .size:           8
        .value_kind:     global_buffer
      - .actual_access:  read_only
        .address_space:  global
        .offset:         16
        .size:           8
        .value_kind:     global_buffer
      - .actual_access:  read_only
        .address_space:  global
        .offset:         24
        .size:           8
        .value_kind:     global_buffer
      - .address_space:  global
        .offset:         32
        .size:           8
        .value_kind:     global_buffer
      - .offset:         40
        .size:           4
        .value_kind:     by_value
      - .offset:         44
        .size:           4
        .value_kind:     by_value
      - .offset:         48
        .size:           4
        .value_kind:     by_value
      - .address_space:  global
        .offset:         56
        .size:           8
        .value_kind:     global_buffer
      - .offset:         64
        .size:           8
        .value_kind:     by_value
      - .offset:         72
        .size:           4
        .value_kind:     hidden_block_count_x
      - .offset:         76
        .size:           4
        .value_kind:     hidden_block_count_y
      - .offset:         80
        .size:           4
        .value_kind:     hidden_block_count_z
      - .offset:         84
        .size:           2
        .value_kind:     hidden_group_size_x
      - .offset:         86
        .size:           2
        .value_kind:     hidden_group_size_y
      - .offset:         88
        .size:           2
        .value_kind:     hidden_group_size_z
      - .offset:         90
        .size:           2
        .value_kind:     hidden_remainder_x
      - .offset:         92
        .size:           2
        .value_kind:     hidden_remainder_y
      - .offset:         94
        .size:           2
        .value_kind:     hidden_remainder_z
      - .offset:         112
        .size:           8
        .value_kind:     hidden_global_offset_x
      - .offset:         120
        .size:           8
        .value_kind:     hidden_global_offset_y
      - .offset:         128
        .size:           8
        .value_kind:     hidden_global_offset_z
      - .offset:         136
        .size:           2
        .value_kind:     hidden_grid_dims
    .group_segment_fixed_size: 4164
    .kernarg_segment_align: 8
    .kernarg_segment_size: 328
    .language:       OpenCL C
    .language_version:
      - 2
      - 0
    .max_flat_workgroup_size: 1024
    .name:           _ZN4vllm31rms_norm_per_block_quant_kernelIfaLb1ELb0ELi128EEEvPT0_PfPKT_S6_PKffiiPS4_l
    .private_segment_fixed_size: 0
    .sgpr_count:     52
    .sgpr_spill_count: 0
    .symbol:         _ZN4vllm31rms_norm_per_block_quant_kernelIfaLb1ELb0ELi128EEEvPT0_PfPKT_S6_PKffiiPS4_l.kd
    .uniform_work_group_size: 1
    .uses_dynamic_stack: false
    .vgpr_count:     44
    .vgpr_spill_count: 0
    .wavefront_size: 64
  - .agpr_count:     0
    .args:
      - .actual_access:  write_only
        .address_space:  global
        .offset:         0
        .size:           8
        .value_kind:     global_buffer
      - .address_space:  global
        .offset:         8
        .size:           8
        .value_kind:     global_buffer
      - .actual_access:  read_only
        .address_space:  global
        .offset:         16
        .size:           8
        .value_kind:     global_buffer
      - .actual_access:  read_only
        .address_space:  global
        .offset:         24
        .size:           8
        .value_kind:     global_buffer
      - .address_space:  global
        .offset:         32
        .size:           8
        .value_kind:     global_buffer
      - .offset:         40
        .size:           4
        .value_kind:     by_value
      - .offset:         44
        .size:           4
        .value_kind:     by_value
      - .offset:         48
        .size:           4
        .value_kind:     by_value
      - .actual_access:  read_only
        .address_space:  global
        .offset:         56
        .size:           8
        .value_kind:     global_buffer
      - .offset:         64
        .size:           8
        .value_kind:     by_value
      - .offset:         72
        .size:           4
        .value_kind:     hidden_block_count_x
      - .offset:         76
        .size:           4
        .value_kind:     hidden_block_count_y
      - .offset:         80
        .size:           4
        .value_kind:     hidden_block_count_z
      - .offset:         84
        .size:           2
        .value_kind:     hidden_group_size_x
      - .offset:         86
        .size:           2
        .value_kind:     hidden_group_size_y
      - .offset:         88
        .size:           2
        .value_kind:     hidden_group_size_z
      - .offset:         90
        .size:           2
        .value_kind:     hidden_remainder_x
      - .offset:         92
        .size:           2
        .value_kind:     hidden_remainder_y
      - .offset:         94
        .size:           2
        .value_kind:     hidden_remainder_z
      - .offset:         112
        .size:           8
        .value_kind:     hidden_global_offset_x
      - .offset:         120
        .size:           8
        .value_kind:     hidden_global_offset_y
      - .offset:         128
        .size:           8
        .value_kind:     hidden_global_offset_z
      - .offset:         136
        .size:           2
        .value_kind:     hidden_grid_dims
    .group_segment_fixed_size: 4164
    .kernarg_segment_align: 8
    .kernarg_segment_size: 328
    .language:       OpenCL C
    .language_version:
      - 2
      - 0
    .max_flat_workgroup_size: 1024
    .name:           _ZN4vllm31rms_norm_per_block_quant_kernelIfN3c1013Float8_e4m3fnELb0ELb1ELi128EEEvPT0_PfPKT_S8_PKffiiPS6_l
    .private_segment_fixed_size: 0
    .sgpr_count:     50
    .sgpr_spill_count: 0
    .symbol:         _ZN4vllm31rms_norm_per_block_quant_kernelIfN3c1013Float8_e4m3fnELb0ELb1ELi128EEEvPT0_PfPKT_S8_PKffiiPS6_l.kd
    .uniform_work_group_size: 1
    .uses_dynamic_stack: false
    .vgpr_count:     40
    .vgpr_spill_count: 0
    .wavefront_size: 64
  - .agpr_count:     0
    .args:
      - .actual_access:  write_only
        .address_space:  global
        .offset:         0
        .size:           8
        .value_kind:     global_buffer
      - .address_space:  global
        .offset:         8
        .size:           8
        .value_kind:     global_buffer
      - .actual_access:  read_only
        .address_space:  global
        .offset:         16
        .size:           8
        .value_kind:     global_buffer
      - .actual_access:  read_only
        .address_space:  global
        .offset:         24
        .size:           8
        .value_kind:     global_buffer
      - .address_space:  global
        .offset:         32
        .size:           8
        .value_kind:     global_buffer
      - .offset:         40
        .size:           4
        .value_kind:     by_value
      - .offset:         44
        .size:           4
        .value_kind:     by_value
      - .offset:         48
        .size:           4
        .value_kind:     by_value
      - .actual_access:  read_only
        .address_space:  global
        .offset:         56
        .size:           8
        .value_kind:     global_buffer
      - .offset:         64
        .size:           8
        .value_kind:     by_value
      - .offset:         72
        .size:           4
        .value_kind:     hidden_block_count_x
      - .offset:         76
        .size:           4
        .value_kind:     hidden_block_count_y
      - .offset:         80
        .size:           4
        .value_kind:     hidden_block_count_z
      - .offset:         84
        .size:           2
        .value_kind:     hidden_group_size_x
      - .offset:         86
        .size:           2
        .value_kind:     hidden_group_size_y
      - .offset:         88
        .size:           2
        .value_kind:     hidden_group_size_z
      - .offset:         90
        .size:           2
        .value_kind:     hidden_remainder_x
      - .offset:         92
        .size:           2
        .value_kind:     hidden_remainder_y
      - .offset:         94
        .size:           2
        .value_kind:     hidden_remainder_z
      - .offset:         112
        .size:           8
        .value_kind:     hidden_global_offset_x
      - .offset:         120
        .size:           8
        .value_kind:     hidden_global_offset_y
      - .offset:         128
        .size:           8
        .value_kind:     hidden_global_offset_z
      - .offset:         136
        .size:           2
        .value_kind:     hidden_grid_dims
    .group_segment_fixed_size: 4164
    .kernarg_segment_align: 8
    .kernarg_segment_size: 328
    .language:       OpenCL C
    .language_version:
      - 2
      - 0
    .max_flat_workgroup_size: 1024
    .name:           _ZN4vllm31rms_norm_per_block_quant_kernelIfN3c1015Float8_e4m3fnuzELb0ELb1ELi128EEEvPT0_PfPKT_S8_PKffiiPS6_l
    .private_segment_fixed_size: 0
    .sgpr_count:     51
    .sgpr_spill_count: 0
    .symbol:         _ZN4vllm31rms_norm_per_block_quant_kernelIfN3c1015Float8_e4m3fnuzELb0ELb1ELi128EEEvPT0_PfPKT_S8_PKffiiPS6_l.kd
    .uniform_work_group_size: 1
    .uses_dynamic_stack: false
    .vgpr_count:     40
    .vgpr_spill_count: 0
    .wavefront_size: 64
  - .agpr_count:     0
    .args:
      - .actual_access:  write_only
        .address_space:  global
        .offset:         0
        .size:           8
        .value_kind:     global_buffer
      - .address_space:  global
        .offset:         8
        .size:           8
        .value_kind:     global_buffer
      - .actual_access:  read_only
        .address_space:  global
        .offset:         16
        .size:           8
        .value_kind:     global_buffer
      - .actual_access:  read_only
        .address_space:  global
        .offset:         24
        .size:           8
        .value_kind:     global_buffer
      - .address_space:  global
        .offset:         32
        .size:           8
        .value_kind:     global_buffer
      - .offset:         40
        .size:           4
        .value_kind:     by_value
      - .offset:         44
        .size:           4
        .value_kind:     by_value
      - .offset:         48
        .size:           4
        .value_kind:     by_value
      - .actual_access:  read_only
        .address_space:  global
        .offset:         56
        .size:           8
        .value_kind:     global_buffer
      - .offset:         64
        .size:           8
        .value_kind:     by_value
      - .offset:         72
        .size:           4
        .value_kind:     hidden_block_count_x
      - .offset:         76
        .size:           4
        .value_kind:     hidden_block_count_y
      - .offset:         80
        .size:           4
        .value_kind:     hidden_block_count_z
      - .offset:         84
        .size:           2
        .value_kind:     hidden_group_size_x
      - .offset:         86
        .size:           2
        .value_kind:     hidden_group_size_y
      - .offset:         88
        .size:           2
        .value_kind:     hidden_group_size_z
      - .offset:         90
        .size:           2
        .value_kind:     hidden_remainder_x
      - .offset:         92
        .size:           2
        .value_kind:     hidden_remainder_y
      - .offset:         94
        .size:           2
        .value_kind:     hidden_remainder_z
      - .offset:         112
        .size:           8
        .value_kind:     hidden_global_offset_x
      - .offset:         120
        .size:           8
        .value_kind:     hidden_global_offset_y
      - .offset:         128
        .size:           8
        .value_kind:     hidden_global_offset_z
      - .offset:         136
        .size:           2
        .value_kind:     hidden_grid_dims
    .group_segment_fixed_size: 4164
    .kernarg_segment_align: 8
    .kernarg_segment_size: 328
    .language:       OpenCL C
    .language_version:
      - 2
      - 0
    .max_flat_workgroup_size: 1024
    .name:           _ZN4vllm31rms_norm_per_block_quant_kernelIfaLb0ELb1ELi128EEEvPT0_PfPKT_S6_PKffiiPS4_l
    .private_segment_fixed_size: 0
    .sgpr_count:     51
    .sgpr_spill_count: 0
    .symbol:         _ZN4vllm31rms_norm_per_block_quant_kernelIfaLb0ELb1ELi128EEEvPT0_PfPKT_S6_PKffiiPS4_l.kd
    .uniform_work_group_size: 1
    .uses_dynamic_stack: false
    .vgpr_count:     40
    .vgpr_spill_count: 0
    .wavefront_size: 64
  - .agpr_count:     0
    .args:
      - .actual_access:  write_only
        .address_space:  global
        .offset:         0
        .size:           8
        .value_kind:     global_buffer
      - .address_space:  global
        .offset:         8
        .size:           8
        .value_kind:     global_buffer
      - .actual_access:  read_only
        .address_space:  global
        .offset:         16
        .size:           8
        .value_kind:     global_buffer
      - .actual_access:  read_only
        .address_space:  global
        .offset:         24
        .size:           8
        .value_kind:     global_buffer
      - .address_space:  global
        .offset:         32
        .size:           8
        .value_kind:     global_buffer
      - .offset:         40
        .size:           4
        .value_kind:     by_value
      - .offset:         44
        .size:           4
        .value_kind:     by_value
      - .offset:         48
        .size:           4
        .value_kind:     by_value
      - .actual_access:  read_only
        .address_space:  global
        .offset:         56
        .size:           8
        .value_kind:     global_buffer
      - .offset:         64
        .size:           8
        .value_kind:     by_value
      - .offset:         72
        .size:           4
        .value_kind:     hidden_block_count_x
      - .offset:         76
        .size:           4
        .value_kind:     hidden_block_count_y
      - .offset:         80
        .size:           4
        .value_kind:     hidden_block_count_z
      - .offset:         84
        .size:           2
        .value_kind:     hidden_group_size_x
      - .offset:         86
        .size:           2
        .value_kind:     hidden_group_size_y
      - .offset:         88
        .size:           2
        .value_kind:     hidden_group_size_z
      - .offset:         90
        .size:           2
        .value_kind:     hidden_remainder_x
      - .offset:         92
        .size:           2
        .value_kind:     hidden_remainder_y
      - .offset:         94
        .size:           2
        .value_kind:     hidden_remainder_z
      - .offset:         112
        .size:           8
        .value_kind:     hidden_global_offset_x
      - .offset:         120
        .size:           8
        .value_kind:     hidden_global_offset_y
      - .offset:         128
        .size:           8
        .value_kind:     hidden_global_offset_z
      - .offset:         136
        .size:           2
        .value_kind:     hidden_grid_dims
    .group_segment_fixed_size: 4164
    .kernarg_segment_align: 8
    .kernarg_segment_size: 328
    .language:       OpenCL C
    .language_version:
      - 2
      - 0
    .max_flat_workgroup_size: 1024
    .name:           _ZN4vllm31rms_norm_per_block_quant_kernelIfN3c1013Float8_e4m3fnELb0ELb0ELi128EEEvPT0_PfPKT_S8_PKffiiPS6_l
    .private_segment_fixed_size: 0
    .sgpr_count:     50
    .sgpr_spill_count: 0
    .symbol:         _ZN4vllm31rms_norm_per_block_quant_kernelIfN3c1013Float8_e4m3fnELb0ELb0ELi128EEEvPT0_PfPKT_S8_PKffiiPS6_l.kd
    .uniform_work_group_size: 1
    .uses_dynamic_stack: false
    .vgpr_count:     40
    .vgpr_spill_count: 0
    .wavefront_size: 64
  - .agpr_count:     0
    .args:
      - .actual_access:  write_only
        .address_space:  global
        .offset:         0
        .size:           8
        .value_kind:     global_buffer
      - .address_space:  global
        .offset:         8
        .size:           8
        .value_kind:     global_buffer
      - .actual_access:  read_only
        .address_space:  global
        .offset:         16
        .size:           8
        .value_kind:     global_buffer
      - .actual_access:  read_only
        .address_space:  global
        .offset:         24
        .size:           8
        .value_kind:     global_buffer
      - .address_space:  global
        .offset:         32
        .size:           8
        .value_kind:     global_buffer
      - .offset:         40
        .size:           4
        .value_kind:     by_value
      - .offset:         44
        .size:           4
        .value_kind:     by_value
      - .offset:         48
        .size:           4
        .value_kind:     by_value
      - .actual_access:  read_only
        .address_space:  global
        .offset:         56
        .size:           8
        .value_kind:     global_buffer
      - .offset:         64
        .size:           8
        .value_kind:     by_value
      - .offset:         72
        .size:           4
        .value_kind:     hidden_block_count_x
      - .offset:         76
        .size:           4
        .value_kind:     hidden_block_count_y
      - .offset:         80
        .size:           4
        .value_kind:     hidden_block_count_z
      - .offset:         84
        .size:           2
        .value_kind:     hidden_group_size_x
      - .offset:         86
        .size:           2
        .value_kind:     hidden_group_size_y
      - .offset:         88
        .size:           2
        .value_kind:     hidden_group_size_z
      - .offset:         90
        .size:           2
        .value_kind:     hidden_remainder_x
      - .offset:         92
        .size:           2
        .value_kind:     hidden_remainder_y
      - .offset:         94
        .size:           2
        .value_kind:     hidden_remainder_z
      - .offset:         112
        .size:           8
        .value_kind:     hidden_global_offset_x
      - .offset:         120
        .size:           8
        .value_kind:     hidden_global_offset_y
      - .offset:         128
        .size:           8
        .value_kind:     hidden_global_offset_z
      - .offset:         136
        .size:           2
        .value_kind:     hidden_grid_dims
    .group_segment_fixed_size: 4164
    .kernarg_segment_align: 8
    .kernarg_segment_size: 328
    .language:       OpenCL C
    .language_version:
      - 2
      - 0
    .max_flat_workgroup_size: 1024
    .name:           _ZN4vllm31rms_norm_per_block_quant_kernelIfN3c1015Float8_e4m3fnuzELb0ELb0ELi128EEEvPT0_PfPKT_S8_PKffiiPS6_l
    .private_segment_fixed_size: 0
    .sgpr_count:     50
    .sgpr_spill_count: 0
    .symbol:         _ZN4vllm31rms_norm_per_block_quant_kernelIfN3c1015Float8_e4m3fnuzELb0ELb0ELi128EEEvPT0_PfPKT_S8_PKffiiPS6_l.kd
    .uniform_work_group_size: 1
    .uses_dynamic_stack: false
    .vgpr_count:     40
    .vgpr_spill_count: 0
    .wavefront_size: 64
  - .agpr_count:     0
    .args:
      - .actual_access:  write_only
        .address_space:  global
        .offset:         0
        .size:           8
        .value_kind:     global_buffer
      - .address_space:  global
        .offset:         8
        .size:           8
        .value_kind:     global_buffer
      - .actual_access:  read_only
        .address_space:  global
        .offset:         16
        .size:           8
        .value_kind:     global_buffer
      - .actual_access:  read_only
        .address_space:  global
        .offset:         24
        .size:           8
        .value_kind:     global_buffer
      - .address_space:  global
        .offset:         32
        .size:           8
        .value_kind:     global_buffer
      - .offset:         40
        .size:           4
        .value_kind:     by_value
      - .offset:         44
        .size:           4
        .value_kind:     by_value
      - .offset:         48
        .size:           4
        .value_kind:     by_value
      - .actual_access:  read_only
        .address_space:  global
        .offset:         56
        .size:           8
        .value_kind:     global_buffer
      - .offset:         64
        .size:           8
        .value_kind:     by_value
      - .offset:         72
        .size:           4
        .value_kind:     hidden_block_count_x
      - .offset:         76
        .size:           4
        .value_kind:     hidden_block_count_y
      - .offset:         80
        .size:           4
        .value_kind:     hidden_block_count_z
      - .offset:         84
        .size:           2
        .value_kind:     hidden_group_size_x
      - .offset:         86
        .size:           2
        .value_kind:     hidden_group_size_y
      - .offset:         88
        .size:           2
        .value_kind:     hidden_group_size_z
      - .offset:         90
        .size:           2
        .value_kind:     hidden_remainder_x
      - .offset:         92
        .size:           2
        .value_kind:     hidden_remainder_y
      - .offset:         94
        .size:           2
        .value_kind:     hidden_remainder_z
      - .offset:         112
        .size:           8
        .value_kind:     hidden_global_offset_x
      - .offset:         120
        .size:           8
        .value_kind:     hidden_global_offset_y
      - .offset:         128
        .size:           8
        .value_kind:     hidden_global_offset_z
      - .offset:         136
        .size:           2
        .value_kind:     hidden_grid_dims
    .group_segment_fixed_size: 4164
    .kernarg_segment_align: 8
    .kernarg_segment_size: 328
    .language:       OpenCL C
    .language_version:
      - 2
      - 0
    .max_flat_workgroup_size: 1024
    .name:           _ZN4vllm31rms_norm_per_block_quant_kernelIfaLb0ELb0ELi128EEEvPT0_PfPKT_S6_PKffiiPS4_l
    .private_segment_fixed_size: 0
    .sgpr_count:     50
    .sgpr_spill_count: 0
    .symbol:         _ZN4vllm31rms_norm_per_block_quant_kernelIfaLb0ELb0ELi128EEEvPT0_PfPKT_S6_PKffiiPS4_l.kd
    .uniform_work_group_size: 1
    .uses_dynamic_stack: false
    .vgpr_count:     40
    .vgpr_spill_count: 0
    .wavefront_size: 64
  - .agpr_count:     0
    .args:
      - .actual_access:  write_only
        .address_space:  global
        .offset:         0
        .size:           8
        .value_kind:     global_buffer
      - .address_space:  global
        .offset:         8
        .size:           8
        .value_kind:     global_buffer
      - .actual_access:  read_only
        .address_space:  global
        .offset:         16
        .size:           8
        .value_kind:     global_buffer
      - .actual_access:  read_only
        .address_space:  global
        .offset:         24
        .size:           8
        .value_kind:     global_buffer
      - .address_space:  global
        .offset:         32
        .size:           8
        .value_kind:     global_buffer
      - .offset:         40
        .size:           4
        .value_kind:     by_value
      - .offset:         44
        .size:           4
        .value_kind:     by_value
      - .offset:         48
        .size:           4
        .value_kind:     by_value
      - .address_space:  global
        .offset:         56
        .size:           8
        .value_kind:     global_buffer
      - .offset:         64
        .size:           8
        .value_kind:     by_value
      - .offset:         72
        .size:           4
        .value_kind:     hidden_block_count_x
      - .offset:         76
        .size:           4
        .value_kind:     hidden_block_count_y
      - .offset:         80
        .size:           4
        .value_kind:     hidden_block_count_z
      - .offset:         84
        .size:           2
        .value_kind:     hidden_group_size_x
      - .offset:         86
        .size:           2
        .value_kind:     hidden_group_size_y
      - .offset:         88
        .size:           2
        .value_kind:     hidden_group_size_z
      - .offset:         90
        .size:           2
        .value_kind:     hidden_remainder_x
      - .offset:         92
        .size:           2
        .value_kind:     hidden_remainder_y
      - .offset:         94
        .size:           2
        .value_kind:     hidden_remainder_z
      - .offset:         112
        .size:           8
        .value_kind:     hidden_global_offset_x
      - .offset:         120
        .size:           8
        .value_kind:     hidden_global_offset_y
      - .offset:         128
        .size:           8
        .value_kind:     hidden_global_offset_z
      - .offset:         136
        .size:           2
        .value_kind:     hidden_grid_dims
    .group_segment_fixed_size: 4164
    .kernarg_segment_align: 8
    .kernarg_segment_size: 328
    .language:       OpenCL C
    .language_version:
      - 2
      - 0
    .max_flat_workgroup_size: 1024
    .name:           _ZN4vllm31rms_norm_per_block_quant_kernelIfN3c1013Float8_e4m3fnELb1ELb1ELi64EEEvPT0_PfPKT_S8_PKffiiPS6_l
    .private_segment_fixed_size: 0
    .sgpr_count:     53
    .sgpr_spill_count: 0
    .symbol:         _ZN4vllm31rms_norm_per_block_quant_kernelIfN3c1013Float8_e4m3fnELb1ELb1ELi64EEEvPT0_PfPKT_S8_PKffiiPS6_l.kd
    .uniform_work_group_size: 1
    .uses_dynamic_stack: false
    .vgpr_count:     44
    .vgpr_spill_count: 0
    .wavefront_size: 64
  - .agpr_count:     0
    .args:
      - .actual_access:  write_only
        .address_space:  global
        .offset:         0
        .size:           8
        .value_kind:     global_buffer
      - .address_space:  global
        .offset:         8
        .size:           8
        .value_kind:     global_buffer
      - .actual_access:  read_only
        .address_space:  global
        .offset:         16
        .size:           8
        .value_kind:     global_buffer
      - .actual_access:  read_only
        .address_space:  global
        .offset:         24
        .size:           8
        .value_kind:     global_buffer
      - .address_space:  global
        .offset:         32
        .size:           8
        .value_kind:     global_buffer
      - .offset:         40
        .size:           4
        .value_kind:     by_value
      - .offset:         44
        .size:           4
        .value_kind:     by_value
      - .offset:         48
        .size:           4
        .value_kind:     by_value
      - .address_space:  global
        .offset:         56
        .size:           8
        .value_kind:     global_buffer
      - .offset:         64
        .size:           8
        .value_kind:     by_value
      - .offset:         72
        .size:           4
        .value_kind:     hidden_block_count_x
      - .offset:         76
        .size:           4
        .value_kind:     hidden_block_count_y
      - .offset:         80
        .size:           4
        .value_kind:     hidden_block_count_z
      - .offset:         84
        .size:           2
        .value_kind:     hidden_group_size_x
      - .offset:         86
        .size:           2
        .value_kind:     hidden_group_size_y
      - .offset:         88
        .size:           2
        .value_kind:     hidden_group_size_z
      - .offset:         90
        .size:           2
        .value_kind:     hidden_remainder_x
      - .offset:         92
        .size:           2
        .value_kind:     hidden_remainder_y
      - .offset:         94
        .size:           2
        .value_kind:     hidden_remainder_z
      - .offset:         112
        .size:           8
        .value_kind:     hidden_global_offset_x
      - .offset:         120
        .size:           8
        .value_kind:     hidden_global_offset_y
      - .offset:         128
        .size:           8
        .value_kind:     hidden_global_offset_z
      - .offset:         136
        .size:           2
        .value_kind:     hidden_grid_dims
    .group_segment_fixed_size: 4164
    .kernarg_segment_align: 8
    .kernarg_segment_size: 328
    .language:       OpenCL C
    .language_version:
      - 2
      - 0
    .max_flat_workgroup_size: 1024
    .name:           _ZN4vllm31rms_norm_per_block_quant_kernelIfN3c1015Float8_e4m3fnuzELb1ELb1ELi64EEEvPT0_PfPKT_S8_PKffiiPS6_l
    .private_segment_fixed_size: 0
    .sgpr_count:     53
    .sgpr_spill_count: 0
    .symbol:         _ZN4vllm31rms_norm_per_block_quant_kernelIfN3c1015Float8_e4m3fnuzELb1ELb1ELi64EEEvPT0_PfPKT_S8_PKffiiPS6_l.kd
    .uniform_work_group_size: 1
    .uses_dynamic_stack: false
    .vgpr_count:     44
    .vgpr_spill_count: 0
    .wavefront_size: 64
  - .agpr_count:     0
    .args:
      - .actual_access:  write_only
        .address_space:  global
        .offset:         0
        .size:           8
        .value_kind:     global_buffer
      - .address_space:  global
        .offset:         8
        .size:           8
        .value_kind:     global_buffer
      - .actual_access:  read_only
        .address_space:  global
        .offset:         16
        .size:           8
        .value_kind:     global_buffer
      - .actual_access:  read_only
        .address_space:  global
        .offset:         24
        .size:           8
        .value_kind:     global_buffer
      - .address_space:  global
        .offset:         32
        .size:           8
        .value_kind:     global_buffer
      - .offset:         40
        .size:           4
        .value_kind:     by_value
      - .offset:         44
        .size:           4
        .value_kind:     by_value
      - .offset:         48
        .size:           4
        .value_kind:     by_value
      - .address_space:  global
        .offset:         56
        .size:           8
        .value_kind:     global_buffer
      - .offset:         64
        .size:           8
        .value_kind:     by_value
      - .offset:         72
        .size:           4
        .value_kind:     hidden_block_count_x
      - .offset:         76
        .size:           4
        .value_kind:     hidden_block_count_y
      - .offset:         80
        .size:           4
        .value_kind:     hidden_block_count_z
      - .offset:         84
        .size:           2
        .value_kind:     hidden_group_size_x
      - .offset:         86
        .size:           2
        .value_kind:     hidden_group_size_y
      - .offset:         88
        .size:           2
        .value_kind:     hidden_group_size_z
      - .offset:         90
        .size:           2
        .value_kind:     hidden_remainder_x
      - .offset:         92
        .size:           2
        .value_kind:     hidden_remainder_y
      - .offset:         94
        .size:           2
        .value_kind:     hidden_remainder_z
      - .offset:         112
        .size:           8
        .value_kind:     hidden_global_offset_x
      - .offset:         120
        .size:           8
        .value_kind:     hidden_global_offset_y
      - .offset:         128
        .size:           8
        .value_kind:     hidden_global_offset_z
      - .offset:         136
        .size:           2
        .value_kind:     hidden_grid_dims
    .group_segment_fixed_size: 4164
    .kernarg_segment_align: 8
    .kernarg_segment_size: 328
    .language:       OpenCL C
    .language_version:
      - 2
      - 0
    .max_flat_workgroup_size: 1024
    .name:           _ZN4vllm31rms_norm_per_block_quant_kernelIfaLb1ELb1ELi64EEEvPT0_PfPKT_S6_PKffiiPS4_l
    .private_segment_fixed_size: 0
    .sgpr_count:     53
    .sgpr_spill_count: 0
    .symbol:         _ZN4vllm31rms_norm_per_block_quant_kernelIfaLb1ELb1ELi64EEEvPT0_PfPKT_S6_PKffiiPS4_l.kd
    .uniform_work_group_size: 1
    .uses_dynamic_stack: false
    .vgpr_count:     44
    .vgpr_spill_count: 0
    .wavefront_size: 64
  - .agpr_count:     0
    .args:
      - .actual_access:  write_only
        .address_space:  global
        .offset:         0
        .size:           8
        .value_kind:     global_buffer
      - .address_space:  global
        .offset:         8
        .size:           8
        .value_kind:     global_buffer
      - .actual_access:  read_only
        .address_space:  global
        .offset:         16
        .size:           8
        .value_kind:     global_buffer
      - .actual_access:  read_only
        .address_space:  global
        .offset:         24
        .size:           8
        .value_kind:     global_buffer
      - .address_space:  global
        .offset:         32
        .size:           8
        .value_kind:     global_buffer
      - .offset:         40
        .size:           4
        .value_kind:     by_value
      - .offset:         44
        .size:           4
        .value_kind:     by_value
      - .offset:         48
        .size:           4
        .value_kind:     by_value
      - .address_space:  global
        .offset:         56
        .size:           8
        .value_kind:     global_buffer
      - .offset:         64
        .size:           8
        .value_kind:     by_value
      - .offset:         72
        .size:           4
        .value_kind:     hidden_block_count_x
      - .offset:         76
        .size:           4
        .value_kind:     hidden_block_count_y
      - .offset:         80
        .size:           4
        .value_kind:     hidden_block_count_z
      - .offset:         84
        .size:           2
        .value_kind:     hidden_group_size_x
      - .offset:         86
        .size:           2
        .value_kind:     hidden_group_size_y
      - .offset:         88
        .size:           2
        .value_kind:     hidden_group_size_z
      - .offset:         90
        .size:           2
        .value_kind:     hidden_remainder_x
      - .offset:         92
        .size:           2
        .value_kind:     hidden_remainder_y
      - .offset:         94
        .size:           2
        .value_kind:     hidden_remainder_z
      - .offset:         112
        .size:           8
        .value_kind:     hidden_global_offset_x
      - .offset:         120
        .size:           8
        .value_kind:     hidden_global_offset_y
      - .offset:         128
        .size:           8
        .value_kind:     hidden_global_offset_z
      - .offset:         136
        .size:           2
        .value_kind:     hidden_grid_dims
    .group_segment_fixed_size: 4164
    .kernarg_segment_align: 8
    .kernarg_segment_size: 328
    .language:       OpenCL C
    .language_version:
      - 2
      - 0
    .max_flat_workgroup_size: 1024
    .name:           _ZN4vllm31rms_norm_per_block_quant_kernelIfN3c1013Float8_e4m3fnELb1ELb0ELi64EEEvPT0_PfPKT_S8_PKffiiPS6_l
    .private_segment_fixed_size: 0
    .sgpr_count:     52
    .sgpr_spill_count: 0
    .symbol:         _ZN4vllm31rms_norm_per_block_quant_kernelIfN3c1013Float8_e4m3fnELb1ELb0ELi64EEEvPT0_PfPKT_S8_PKffiiPS6_l.kd
    .uniform_work_group_size: 1
    .uses_dynamic_stack: false
    .vgpr_count:     44
    .vgpr_spill_count: 0
    .wavefront_size: 64
  - .agpr_count:     0
    .args:
      - .actual_access:  write_only
        .address_space:  global
        .offset:         0
        .size:           8
        .value_kind:     global_buffer
      - .address_space:  global
        .offset:         8
        .size:           8
        .value_kind:     global_buffer
      - .actual_access:  read_only
        .address_space:  global
        .offset:         16
        .size:           8
        .value_kind:     global_buffer
      - .actual_access:  read_only
        .address_space:  global
        .offset:         24
        .size:           8
        .value_kind:     global_buffer
      - .address_space:  global
        .offset:         32
        .size:           8
        .value_kind:     global_buffer
      - .offset:         40
        .size:           4
        .value_kind:     by_value
      - .offset:         44
        .size:           4
        .value_kind:     by_value
      - .offset:         48
        .size:           4
        .value_kind:     by_value
      - .address_space:  global
        .offset:         56
        .size:           8
        .value_kind:     global_buffer
      - .offset:         64
        .size:           8
        .value_kind:     by_value
      - .offset:         72
        .size:           4
        .value_kind:     hidden_block_count_x
      - .offset:         76
        .size:           4
        .value_kind:     hidden_block_count_y
      - .offset:         80
        .size:           4
        .value_kind:     hidden_block_count_z
      - .offset:         84
        .size:           2
        .value_kind:     hidden_group_size_x
      - .offset:         86
        .size:           2
        .value_kind:     hidden_group_size_y
      - .offset:         88
        .size:           2
        .value_kind:     hidden_group_size_z
      - .offset:         90
        .size:           2
        .value_kind:     hidden_remainder_x
      - .offset:         92
        .size:           2
        .value_kind:     hidden_remainder_y
      - .offset:         94
        .size:           2
        .value_kind:     hidden_remainder_z
      - .offset:         112
        .size:           8
        .value_kind:     hidden_global_offset_x
      - .offset:         120
        .size:           8
        .value_kind:     hidden_global_offset_y
      - .offset:         128
        .size:           8
        .value_kind:     hidden_global_offset_z
      - .offset:         136
        .size:           2
        .value_kind:     hidden_grid_dims
    .group_segment_fixed_size: 4164
    .kernarg_segment_align: 8
    .kernarg_segment_size: 328
    .language:       OpenCL C
    .language_version:
      - 2
      - 0
    .max_flat_workgroup_size: 1024
    .name:           _ZN4vllm31rms_norm_per_block_quant_kernelIfN3c1015Float8_e4m3fnuzELb1ELb0ELi64EEEvPT0_PfPKT_S8_PKffiiPS6_l
    .private_segment_fixed_size: 0
    .sgpr_count:     52
    .sgpr_spill_count: 0
    .symbol:         _ZN4vllm31rms_norm_per_block_quant_kernelIfN3c1015Float8_e4m3fnuzELb1ELb0ELi64EEEvPT0_PfPKT_S8_PKffiiPS6_l.kd
    .uniform_work_group_size: 1
    .uses_dynamic_stack: false
    .vgpr_count:     44
    .vgpr_spill_count: 0
    .wavefront_size: 64
  - .agpr_count:     0
    .args:
      - .actual_access:  write_only
        .address_space:  global
        .offset:         0
        .size:           8
        .value_kind:     global_buffer
      - .address_space:  global
        .offset:         8
        .size:           8
        .value_kind:     global_buffer
      - .actual_access:  read_only
        .address_space:  global
        .offset:         16
        .size:           8
        .value_kind:     global_buffer
      - .actual_access:  read_only
        .address_space:  global
        .offset:         24
        .size:           8
        .value_kind:     global_buffer
      - .address_space:  global
        .offset:         32
        .size:           8
        .value_kind:     global_buffer
      - .offset:         40
        .size:           4
        .value_kind:     by_value
      - .offset:         44
        .size:           4
        .value_kind:     by_value
      - .offset:         48
        .size:           4
        .value_kind:     by_value
      - .address_space:  global
        .offset:         56
        .size:           8
        .value_kind:     global_buffer
      - .offset:         64
        .size:           8
        .value_kind:     by_value
      - .offset:         72
        .size:           4
        .value_kind:     hidden_block_count_x
      - .offset:         76
        .size:           4
        .value_kind:     hidden_block_count_y
      - .offset:         80
        .size:           4
        .value_kind:     hidden_block_count_z
      - .offset:         84
        .size:           2
        .value_kind:     hidden_group_size_x
      - .offset:         86
        .size:           2
        .value_kind:     hidden_group_size_y
      - .offset:         88
        .size:           2
        .value_kind:     hidden_group_size_z
      - .offset:         90
        .size:           2
        .value_kind:     hidden_remainder_x
      - .offset:         92
        .size:           2
        .value_kind:     hidden_remainder_y
      - .offset:         94
        .size:           2
        .value_kind:     hidden_remainder_z
      - .offset:         112
        .size:           8
        .value_kind:     hidden_global_offset_x
      - .offset:         120
        .size:           8
        .value_kind:     hidden_global_offset_y
      - .offset:         128
        .size:           8
        .value_kind:     hidden_global_offset_z
      - .offset:         136
        .size:           2
        .value_kind:     hidden_grid_dims
    .group_segment_fixed_size: 4164
    .kernarg_segment_align: 8
    .kernarg_segment_size: 328
    .language:       OpenCL C
    .language_version:
      - 2
      - 0
    .max_flat_workgroup_size: 1024
    .name:           _ZN4vllm31rms_norm_per_block_quant_kernelIfaLb1ELb0ELi64EEEvPT0_PfPKT_S6_PKffiiPS4_l
    .private_segment_fixed_size: 0
    .sgpr_count:     52
    .sgpr_spill_count: 0
    .symbol:         _ZN4vllm31rms_norm_per_block_quant_kernelIfaLb1ELb0ELi64EEEvPT0_PfPKT_S6_PKffiiPS4_l.kd
    .uniform_work_group_size: 1
    .uses_dynamic_stack: false
    .vgpr_count:     44
    .vgpr_spill_count: 0
    .wavefront_size: 64
  - .agpr_count:     0
    .args:
      - .actual_access:  write_only
        .address_space:  global
        .offset:         0
        .size:           8
        .value_kind:     global_buffer
      - .address_space:  global
        .offset:         8
        .size:           8
        .value_kind:     global_buffer
      - .actual_access:  read_only
        .address_space:  global
        .offset:         16
        .size:           8
        .value_kind:     global_buffer
      - .actual_access:  read_only
        .address_space:  global
        .offset:         24
        .size:           8
        .value_kind:     global_buffer
      - .address_space:  global
        .offset:         32
        .size:           8
        .value_kind:     global_buffer
      - .offset:         40
        .size:           4
        .value_kind:     by_value
      - .offset:         44
        .size:           4
        .value_kind:     by_value
      - .offset:         48
        .size:           4
        .value_kind:     by_value
      - .actual_access:  read_only
        .address_space:  global
        .offset:         56
        .size:           8
        .value_kind:     global_buffer
      - .offset:         64
        .size:           8
        .value_kind:     by_value
      - .offset:         72
        .size:           4
        .value_kind:     hidden_block_count_x
      - .offset:         76
        .size:           4
        .value_kind:     hidden_block_count_y
      - .offset:         80
        .size:           4
        .value_kind:     hidden_block_count_z
      - .offset:         84
        .size:           2
        .value_kind:     hidden_group_size_x
      - .offset:         86
        .size:           2
        .value_kind:     hidden_group_size_y
      - .offset:         88
        .size:           2
        .value_kind:     hidden_group_size_z
      - .offset:         90
        .size:           2
        .value_kind:     hidden_remainder_x
      - .offset:         92
        .size:           2
        .value_kind:     hidden_remainder_y
      - .offset:         94
        .size:           2
        .value_kind:     hidden_remainder_z
      - .offset:         112
        .size:           8
        .value_kind:     hidden_global_offset_x
      - .offset:         120
        .size:           8
        .value_kind:     hidden_global_offset_y
      - .offset:         128
        .size:           8
        .value_kind:     hidden_global_offset_z
      - .offset:         136
        .size:           2
        .value_kind:     hidden_grid_dims
    .group_segment_fixed_size: 4164
    .kernarg_segment_align: 8
    .kernarg_segment_size: 328
    .language:       OpenCL C
    .language_version:
      - 2
      - 0
    .max_flat_workgroup_size: 1024
    .name:           _ZN4vllm31rms_norm_per_block_quant_kernelIfN3c1013Float8_e4m3fnELb0ELb1ELi64EEEvPT0_PfPKT_S8_PKffiiPS6_l
    .private_segment_fixed_size: 0
    .sgpr_count:     50
    .sgpr_spill_count: 0
    .symbol:         _ZN4vllm31rms_norm_per_block_quant_kernelIfN3c1013Float8_e4m3fnELb0ELb1ELi64EEEvPT0_PfPKT_S8_PKffiiPS6_l.kd
    .uniform_work_group_size: 1
    .uses_dynamic_stack: false
    .vgpr_count:     40
    .vgpr_spill_count: 0
    .wavefront_size: 64
  - .agpr_count:     0
    .args:
      - .actual_access:  write_only
        .address_space:  global
        .offset:         0
        .size:           8
        .value_kind:     global_buffer
      - .address_space:  global
        .offset:         8
        .size:           8
        .value_kind:     global_buffer
      - .actual_access:  read_only
        .address_space:  global
        .offset:         16
        .size:           8
        .value_kind:     global_buffer
      - .actual_access:  read_only
        .address_space:  global
        .offset:         24
        .size:           8
        .value_kind:     global_buffer
      - .address_space:  global
        .offset:         32
        .size:           8
        .value_kind:     global_buffer
      - .offset:         40
        .size:           4
        .value_kind:     by_value
      - .offset:         44
        .size:           4
        .value_kind:     by_value
      - .offset:         48
        .size:           4
        .value_kind:     by_value
      - .actual_access:  read_only
        .address_space:  global
        .offset:         56
        .size:           8
        .value_kind:     global_buffer
      - .offset:         64
        .size:           8
        .value_kind:     by_value
      - .offset:         72
        .size:           4
        .value_kind:     hidden_block_count_x
      - .offset:         76
        .size:           4
        .value_kind:     hidden_block_count_y
      - .offset:         80
        .size:           4
        .value_kind:     hidden_block_count_z
      - .offset:         84
        .size:           2
        .value_kind:     hidden_group_size_x
      - .offset:         86
        .size:           2
        .value_kind:     hidden_group_size_y
      - .offset:         88
        .size:           2
        .value_kind:     hidden_group_size_z
      - .offset:         90
        .size:           2
        .value_kind:     hidden_remainder_x
      - .offset:         92
        .size:           2
        .value_kind:     hidden_remainder_y
      - .offset:         94
        .size:           2
        .value_kind:     hidden_remainder_z
      - .offset:         112
        .size:           8
        .value_kind:     hidden_global_offset_x
      - .offset:         120
        .size:           8
        .value_kind:     hidden_global_offset_y
      - .offset:         128
        .size:           8
        .value_kind:     hidden_global_offset_z
      - .offset:         136
        .size:           2
        .value_kind:     hidden_grid_dims
    .group_segment_fixed_size: 4164
    .kernarg_segment_align: 8
    .kernarg_segment_size: 328
    .language:       OpenCL C
    .language_version:
      - 2
      - 0
    .max_flat_workgroup_size: 1024
    .name:           _ZN4vllm31rms_norm_per_block_quant_kernelIfN3c1015Float8_e4m3fnuzELb0ELb1ELi64EEEvPT0_PfPKT_S8_PKffiiPS6_l
    .private_segment_fixed_size: 0
    .sgpr_count:     51
    .sgpr_spill_count: 0
    .symbol:         _ZN4vllm31rms_norm_per_block_quant_kernelIfN3c1015Float8_e4m3fnuzELb0ELb1ELi64EEEvPT0_PfPKT_S8_PKffiiPS6_l.kd
    .uniform_work_group_size: 1
    .uses_dynamic_stack: false
    .vgpr_count:     40
    .vgpr_spill_count: 0
    .wavefront_size: 64
  - .agpr_count:     0
    .args:
      - .actual_access:  write_only
        .address_space:  global
        .offset:         0
        .size:           8
        .value_kind:     global_buffer
      - .address_space:  global
        .offset:         8
        .size:           8
        .value_kind:     global_buffer
      - .actual_access:  read_only
        .address_space:  global
        .offset:         16
        .size:           8
        .value_kind:     global_buffer
      - .actual_access:  read_only
        .address_space:  global
        .offset:         24
        .size:           8
        .value_kind:     global_buffer
      - .address_space:  global
        .offset:         32
        .size:           8
        .value_kind:     global_buffer
      - .offset:         40
        .size:           4
        .value_kind:     by_value
      - .offset:         44
        .size:           4
        .value_kind:     by_value
      - .offset:         48
        .size:           4
        .value_kind:     by_value
      - .actual_access:  read_only
        .address_space:  global
        .offset:         56
        .size:           8
        .value_kind:     global_buffer
      - .offset:         64
        .size:           8
        .value_kind:     by_value
      - .offset:         72
        .size:           4
        .value_kind:     hidden_block_count_x
      - .offset:         76
        .size:           4
        .value_kind:     hidden_block_count_y
      - .offset:         80
        .size:           4
        .value_kind:     hidden_block_count_z
      - .offset:         84
        .size:           2
        .value_kind:     hidden_group_size_x
      - .offset:         86
        .size:           2
        .value_kind:     hidden_group_size_y
      - .offset:         88
        .size:           2
        .value_kind:     hidden_group_size_z
      - .offset:         90
        .size:           2
        .value_kind:     hidden_remainder_x
      - .offset:         92
        .size:           2
        .value_kind:     hidden_remainder_y
      - .offset:         94
        .size:           2
        .value_kind:     hidden_remainder_z
      - .offset:         112
        .size:           8
        .value_kind:     hidden_global_offset_x
      - .offset:         120
        .size:           8
        .value_kind:     hidden_global_offset_y
      - .offset:         128
        .size:           8
        .value_kind:     hidden_global_offset_z
      - .offset:         136
        .size:           2
        .value_kind:     hidden_grid_dims
    .group_segment_fixed_size: 4164
    .kernarg_segment_align: 8
    .kernarg_segment_size: 328
    .language:       OpenCL C
    .language_version:
      - 2
      - 0
    .max_flat_workgroup_size: 1024
    .name:           _ZN4vllm31rms_norm_per_block_quant_kernelIfaLb0ELb1ELi64EEEvPT0_PfPKT_S6_PKffiiPS4_l
    .private_segment_fixed_size: 0
    .sgpr_count:     51
    .sgpr_spill_count: 0
    .symbol:         _ZN4vllm31rms_norm_per_block_quant_kernelIfaLb0ELb1ELi64EEEvPT0_PfPKT_S6_PKffiiPS4_l.kd
    .uniform_work_group_size: 1
    .uses_dynamic_stack: false
    .vgpr_count:     40
    .vgpr_spill_count: 0
    .wavefront_size: 64
  - .agpr_count:     0
    .args:
      - .actual_access:  write_only
        .address_space:  global
        .offset:         0
        .size:           8
        .value_kind:     global_buffer
      - .address_space:  global
        .offset:         8
        .size:           8
        .value_kind:     global_buffer
      - .actual_access:  read_only
        .address_space:  global
        .offset:         16
        .size:           8
        .value_kind:     global_buffer
      - .actual_access:  read_only
        .address_space:  global
        .offset:         24
        .size:           8
        .value_kind:     global_buffer
      - .address_space:  global
        .offset:         32
        .size:           8
        .value_kind:     global_buffer
      - .offset:         40
        .size:           4
        .value_kind:     by_value
      - .offset:         44
        .size:           4
        .value_kind:     by_value
      - .offset:         48
        .size:           4
        .value_kind:     by_value
      - .actual_access:  read_only
        .address_space:  global
        .offset:         56
        .size:           8
        .value_kind:     global_buffer
      - .offset:         64
        .size:           8
        .value_kind:     by_value
      - .offset:         72
        .size:           4
        .value_kind:     hidden_block_count_x
      - .offset:         76
        .size:           4
        .value_kind:     hidden_block_count_y
      - .offset:         80
        .size:           4
        .value_kind:     hidden_block_count_z
      - .offset:         84
        .size:           2
        .value_kind:     hidden_group_size_x
      - .offset:         86
        .size:           2
        .value_kind:     hidden_group_size_y
      - .offset:         88
        .size:           2
        .value_kind:     hidden_group_size_z
      - .offset:         90
        .size:           2
        .value_kind:     hidden_remainder_x
      - .offset:         92
        .size:           2
        .value_kind:     hidden_remainder_y
      - .offset:         94
        .size:           2
        .value_kind:     hidden_remainder_z
      - .offset:         112
        .size:           8
        .value_kind:     hidden_global_offset_x
      - .offset:         120
        .size:           8
        .value_kind:     hidden_global_offset_y
      - .offset:         128
        .size:           8
        .value_kind:     hidden_global_offset_z
      - .offset:         136
        .size:           2
        .value_kind:     hidden_grid_dims
    .group_segment_fixed_size: 4164
    .kernarg_segment_align: 8
    .kernarg_segment_size: 328
    .language:       OpenCL C
    .language_version:
      - 2
      - 0
    .max_flat_workgroup_size: 1024
    .name:           _ZN4vllm31rms_norm_per_block_quant_kernelIfN3c1013Float8_e4m3fnELb0ELb0ELi64EEEvPT0_PfPKT_S8_PKffiiPS6_l
    .private_segment_fixed_size: 0
    .sgpr_count:     50
    .sgpr_spill_count: 0
    .symbol:         _ZN4vllm31rms_norm_per_block_quant_kernelIfN3c1013Float8_e4m3fnELb0ELb0ELi64EEEvPT0_PfPKT_S8_PKffiiPS6_l.kd
    .uniform_work_group_size: 1
    .uses_dynamic_stack: false
    .vgpr_count:     40
    .vgpr_spill_count: 0
    .wavefront_size: 64
  - .agpr_count:     0
    .args:
      - .actual_access:  write_only
        .address_space:  global
        .offset:         0
        .size:           8
        .value_kind:     global_buffer
      - .address_space:  global
        .offset:         8
        .size:           8
        .value_kind:     global_buffer
      - .actual_access:  read_only
        .address_space:  global
        .offset:         16
        .size:           8
        .value_kind:     global_buffer
      - .actual_access:  read_only
        .address_space:  global
        .offset:         24
        .size:           8
        .value_kind:     global_buffer
      - .address_space:  global
        .offset:         32
        .size:           8
        .value_kind:     global_buffer
      - .offset:         40
        .size:           4
        .value_kind:     by_value
      - .offset:         44
        .size:           4
        .value_kind:     by_value
      - .offset:         48
        .size:           4
        .value_kind:     by_value
      - .actual_access:  read_only
        .address_space:  global
        .offset:         56
        .size:           8
        .value_kind:     global_buffer
      - .offset:         64
        .size:           8
        .value_kind:     by_value
      - .offset:         72
        .size:           4
        .value_kind:     hidden_block_count_x
      - .offset:         76
        .size:           4
        .value_kind:     hidden_block_count_y
      - .offset:         80
        .size:           4
        .value_kind:     hidden_block_count_z
      - .offset:         84
        .size:           2
        .value_kind:     hidden_group_size_x
      - .offset:         86
        .size:           2
        .value_kind:     hidden_group_size_y
      - .offset:         88
        .size:           2
        .value_kind:     hidden_group_size_z
      - .offset:         90
        .size:           2
        .value_kind:     hidden_remainder_x
      - .offset:         92
        .size:           2
        .value_kind:     hidden_remainder_y
      - .offset:         94
        .size:           2
        .value_kind:     hidden_remainder_z
      - .offset:         112
        .size:           8
        .value_kind:     hidden_global_offset_x
      - .offset:         120
        .size:           8
        .value_kind:     hidden_global_offset_y
      - .offset:         128
        .size:           8
        .value_kind:     hidden_global_offset_z
      - .offset:         136
        .size:           2
        .value_kind:     hidden_grid_dims
    .group_segment_fixed_size: 4164
    .kernarg_segment_align: 8
    .kernarg_segment_size: 328
    .language:       OpenCL C
    .language_version:
      - 2
      - 0
    .max_flat_workgroup_size: 1024
    .name:           _ZN4vllm31rms_norm_per_block_quant_kernelIfN3c1015Float8_e4m3fnuzELb0ELb0ELi64EEEvPT0_PfPKT_S8_PKffiiPS6_l
    .private_segment_fixed_size: 0
    .sgpr_count:     50
    .sgpr_spill_count: 0
    .symbol:         _ZN4vllm31rms_norm_per_block_quant_kernelIfN3c1015Float8_e4m3fnuzELb0ELb0ELi64EEEvPT0_PfPKT_S8_PKffiiPS6_l.kd
    .uniform_work_group_size: 1
    .uses_dynamic_stack: false
    .vgpr_count:     40
    .vgpr_spill_count: 0
    .wavefront_size: 64
  - .agpr_count:     0
    .args:
      - .actual_access:  write_only
        .address_space:  global
        .offset:         0
        .size:           8
        .value_kind:     global_buffer
      - .address_space:  global
        .offset:         8
        .size:           8
        .value_kind:     global_buffer
      - .actual_access:  read_only
        .address_space:  global
        .offset:         16
        .size:           8
        .value_kind:     global_buffer
      - .actual_access:  read_only
        .address_space:  global
        .offset:         24
        .size:           8
        .value_kind:     global_buffer
      - .address_space:  global
        .offset:         32
        .size:           8
        .value_kind:     global_buffer
      - .offset:         40
        .size:           4
        .value_kind:     by_value
      - .offset:         44
        .size:           4
        .value_kind:     by_value
      - .offset:         48
        .size:           4
        .value_kind:     by_value
      - .actual_access:  read_only
        .address_space:  global
        .offset:         56
        .size:           8
        .value_kind:     global_buffer
      - .offset:         64
        .size:           8
        .value_kind:     by_value
      - .offset:         72
        .size:           4
        .value_kind:     hidden_block_count_x
      - .offset:         76
        .size:           4
        .value_kind:     hidden_block_count_y
      - .offset:         80
        .size:           4
        .value_kind:     hidden_block_count_z
      - .offset:         84
        .size:           2
        .value_kind:     hidden_group_size_x
      - .offset:         86
        .size:           2
        .value_kind:     hidden_group_size_y
      - .offset:         88
        .size:           2
        .value_kind:     hidden_group_size_z
      - .offset:         90
        .size:           2
        .value_kind:     hidden_remainder_x
      - .offset:         92
        .size:           2
        .value_kind:     hidden_remainder_y
      - .offset:         94
        .size:           2
        .value_kind:     hidden_remainder_z
      - .offset:         112
        .size:           8
        .value_kind:     hidden_global_offset_x
      - .offset:         120
        .size:           8
        .value_kind:     hidden_global_offset_y
      - .offset:         128
        .size:           8
        .value_kind:     hidden_global_offset_z
      - .offset:         136
        .size:           2
        .value_kind:     hidden_grid_dims
    .group_segment_fixed_size: 4164
    .kernarg_segment_align: 8
    .kernarg_segment_size: 328
    .language:       OpenCL C
    .language_version:
      - 2
      - 0
    .max_flat_workgroup_size: 1024
    .name:           _ZN4vllm31rms_norm_per_block_quant_kernelIfaLb0ELb0ELi64EEEvPT0_PfPKT_S6_PKffiiPS4_l
    .private_segment_fixed_size: 0
    .sgpr_count:     50
    .sgpr_spill_count: 0
    .symbol:         _ZN4vllm31rms_norm_per_block_quant_kernelIfaLb0ELb0ELi64EEEvPT0_PfPKT_S6_PKffiiPS4_l.kd
    .uniform_work_group_size: 1
    .uses_dynamic_stack: false
    .vgpr_count:     40
    .vgpr_spill_count: 0
    .wavefront_size: 64
  - .agpr_count:     0
    .args:
      - .actual_access:  write_only
        .address_space:  global
        .offset:         0
        .size:           8
        .value_kind:     global_buffer
      - .address_space:  global
        .offset:         8
        .size:           8
        .value_kind:     global_buffer
      - .actual_access:  read_only
        .address_space:  global
        .offset:         16
        .size:           8
        .value_kind:     global_buffer
      - .actual_access:  read_only
        .address_space:  global
        .offset:         24
        .size:           8
        .value_kind:     global_buffer
      - .address_space:  global
        .offset:         32
        .size:           8
        .value_kind:     global_buffer
      - .offset:         40
        .size:           4
        .value_kind:     by_value
      - .offset:         44
        .size:           4
        .value_kind:     by_value
      - .offset:         48
        .size:           4
        .value_kind:     by_value
      - .address_space:  global
        .offset:         56
        .size:           8
        .value_kind:     global_buffer
      - .offset:         64
        .size:           8
        .value_kind:     by_value
      - .offset:         72
        .size:           4
        .value_kind:     hidden_block_count_x
      - .offset:         76
        .size:           4
        .value_kind:     hidden_block_count_y
      - .offset:         80
        .size:           4
        .value_kind:     hidden_block_count_z
      - .offset:         84
        .size:           2
        .value_kind:     hidden_group_size_x
      - .offset:         86
        .size:           2
        .value_kind:     hidden_group_size_y
      - .offset:         88
        .size:           2
        .value_kind:     hidden_group_size_z
      - .offset:         90
        .size:           2
        .value_kind:     hidden_remainder_x
      - .offset:         92
        .size:           2
        .value_kind:     hidden_remainder_y
      - .offset:         94
        .size:           2
        .value_kind:     hidden_remainder_z
      - .offset:         112
        .size:           8
        .value_kind:     hidden_global_offset_x
      - .offset:         120
        .size:           8
        .value_kind:     hidden_global_offset_y
      - .offset:         128
        .size:           8
        .value_kind:     hidden_global_offset_z
      - .offset:         136
        .size:           2
        .value_kind:     hidden_grid_dims
    .group_segment_fixed_size: 4164
    .kernarg_segment_align: 8
    .kernarg_segment_size: 328
    .language:       OpenCL C
    .language_version:
      - 2
      - 0
    .max_flat_workgroup_size: 1024
    .name:           _ZN4vllm31rms_norm_per_block_quant_kernelIN3c104HalfENS1_13Float8_e4m3fnELb1ELb1ELi128EEEvPT0_PfPKT_S9_PKffiiPS7_l
    .private_segment_fixed_size: 0
    .sgpr_count:     53
    .sgpr_spill_count: 0
    .symbol:         _ZN4vllm31rms_norm_per_block_quant_kernelIN3c104HalfENS1_13Float8_e4m3fnELb1ELb1ELi128EEEvPT0_PfPKT_S9_PKffiiPS7_l.kd
    .uniform_work_group_size: 1
    .uses_dynamic_stack: false
    .vgpr_count:     40
    .vgpr_spill_count: 0
    .wavefront_size: 64
  - .agpr_count:     0
    .args:
      - .actual_access:  write_only
        .address_space:  global
        .offset:         0
        .size:           8
        .value_kind:     global_buffer
      - .address_space:  global
        .offset:         8
        .size:           8
        .value_kind:     global_buffer
      - .actual_access:  read_only
        .address_space:  global
        .offset:         16
        .size:           8
        .value_kind:     global_buffer
      - .actual_access:  read_only
        .address_space:  global
        .offset:         24
        .size:           8
        .value_kind:     global_buffer
      - .address_space:  global
        .offset:         32
        .size:           8
        .value_kind:     global_buffer
      - .offset:         40
        .size:           4
        .value_kind:     by_value
      - .offset:         44
        .size:           4
        .value_kind:     by_value
      - .offset:         48
        .size:           4
        .value_kind:     by_value
      - .address_space:  global
        .offset:         56
        .size:           8
        .value_kind:     global_buffer
      - .offset:         64
        .size:           8
        .value_kind:     by_value
      - .offset:         72
        .size:           4
        .value_kind:     hidden_block_count_x
      - .offset:         76
        .size:           4
        .value_kind:     hidden_block_count_y
      - .offset:         80
        .size:           4
        .value_kind:     hidden_block_count_z
      - .offset:         84
        .size:           2
        .value_kind:     hidden_group_size_x
      - .offset:         86
        .size:           2
        .value_kind:     hidden_group_size_y
      - .offset:         88
        .size:           2
        .value_kind:     hidden_group_size_z
      - .offset:         90
        .size:           2
        .value_kind:     hidden_remainder_x
      - .offset:         92
        .size:           2
        .value_kind:     hidden_remainder_y
      - .offset:         94
        .size:           2
        .value_kind:     hidden_remainder_z
      - .offset:         112
        .size:           8
        .value_kind:     hidden_global_offset_x
      - .offset:         120
        .size:           8
        .value_kind:     hidden_global_offset_y
      - .offset:         128
        .size:           8
        .value_kind:     hidden_global_offset_z
      - .offset:         136
        .size:           2
        .value_kind:     hidden_grid_dims
    .group_segment_fixed_size: 4164
    .kernarg_segment_align: 8
    .kernarg_segment_size: 328
    .language:       OpenCL C
    .language_version:
      - 2
      - 0
    .max_flat_workgroup_size: 1024
    .name:           _ZN4vllm31rms_norm_per_block_quant_kernelIN3c104HalfENS1_15Float8_e4m3fnuzELb1ELb1ELi128EEEvPT0_PfPKT_S9_PKffiiPS7_l
    .private_segment_fixed_size: 0
    .sgpr_count:     53
    .sgpr_spill_count: 0
    .symbol:         _ZN4vllm31rms_norm_per_block_quant_kernelIN3c104HalfENS1_15Float8_e4m3fnuzELb1ELb1ELi128EEEvPT0_PfPKT_S9_PKffiiPS7_l.kd
    .uniform_work_group_size: 1
    .uses_dynamic_stack: false
    .vgpr_count:     40
    .vgpr_spill_count: 0
    .wavefront_size: 64
  - .agpr_count:     0
    .args:
      - .actual_access:  write_only
        .address_space:  global
        .offset:         0
        .size:           8
        .value_kind:     global_buffer
      - .address_space:  global
        .offset:         8
        .size:           8
        .value_kind:     global_buffer
      - .actual_access:  read_only
        .address_space:  global
        .offset:         16
        .size:           8
        .value_kind:     global_buffer
      - .actual_access:  read_only
        .address_space:  global
        .offset:         24
        .size:           8
        .value_kind:     global_buffer
      - .address_space:  global
        .offset:         32
        .size:           8
        .value_kind:     global_buffer
      - .offset:         40
        .size:           4
        .value_kind:     by_value
      - .offset:         44
        .size:           4
        .value_kind:     by_value
      - .offset:         48
        .size:           4
        .value_kind:     by_value
      - .address_space:  global
        .offset:         56
        .size:           8
        .value_kind:     global_buffer
      - .offset:         64
        .size:           8
        .value_kind:     by_value
      - .offset:         72
        .size:           4
        .value_kind:     hidden_block_count_x
      - .offset:         76
        .size:           4
        .value_kind:     hidden_block_count_y
      - .offset:         80
        .size:           4
        .value_kind:     hidden_block_count_z
      - .offset:         84
        .size:           2
        .value_kind:     hidden_group_size_x
      - .offset:         86
        .size:           2
        .value_kind:     hidden_group_size_y
      - .offset:         88
        .size:           2
        .value_kind:     hidden_group_size_z
      - .offset:         90
        .size:           2
        .value_kind:     hidden_remainder_x
      - .offset:         92
        .size:           2
        .value_kind:     hidden_remainder_y
      - .offset:         94
        .size:           2
        .value_kind:     hidden_remainder_z
      - .offset:         112
        .size:           8
        .value_kind:     hidden_global_offset_x
      - .offset:         120
        .size:           8
        .value_kind:     hidden_global_offset_y
      - .offset:         128
        .size:           8
        .value_kind:     hidden_global_offset_z
      - .offset:         136
        .size:           2
        .value_kind:     hidden_grid_dims
    .group_segment_fixed_size: 4164
    .kernarg_segment_align: 8
    .kernarg_segment_size: 328
    .language:       OpenCL C
    .language_version:
      - 2
      - 0
    .max_flat_workgroup_size: 1024
    .name:           _ZN4vllm31rms_norm_per_block_quant_kernelIN3c104HalfEaLb1ELb1ELi128EEEvPT0_PfPKT_S8_PKffiiPS6_l
    .private_segment_fixed_size: 0
    .sgpr_count:     53
    .sgpr_spill_count: 0
    .symbol:         _ZN4vllm31rms_norm_per_block_quant_kernelIN3c104HalfEaLb1ELb1ELi128EEEvPT0_PfPKT_S8_PKffiiPS6_l.kd
    .uniform_work_group_size: 1
    .uses_dynamic_stack: false
    .vgpr_count:     40
    .vgpr_spill_count: 0
    .wavefront_size: 64
  - .agpr_count:     0
    .args:
      - .actual_access:  write_only
        .address_space:  global
        .offset:         0
        .size:           8
        .value_kind:     global_buffer
      - .address_space:  global
        .offset:         8
        .size:           8
        .value_kind:     global_buffer
      - .actual_access:  read_only
        .address_space:  global
        .offset:         16
        .size:           8
        .value_kind:     global_buffer
      - .actual_access:  read_only
        .address_space:  global
        .offset:         24
        .size:           8
        .value_kind:     global_buffer
      - .address_space:  global
        .offset:         32
        .size:           8
        .value_kind:     global_buffer
      - .offset:         40
        .size:           4
        .value_kind:     by_value
      - .offset:         44
        .size:           4
        .value_kind:     by_value
      - .offset:         48
        .size:           4
        .value_kind:     by_value
      - .address_space:  global
        .offset:         56
        .size:           8
        .value_kind:     global_buffer
      - .offset:         64
        .size:           8
        .value_kind:     by_value
      - .offset:         72
        .size:           4
        .value_kind:     hidden_block_count_x
      - .offset:         76
        .size:           4
        .value_kind:     hidden_block_count_y
      - .offset:         80
        .size:           4
        .value_kind:     hidden_block_count_z
      - .offset:         84
        .size:           2
        .value_kind:     hidden_group_size_x
      - .offset:         86
        .size:           2
        .value_kind:     hidden_group_size_y
      - .offset:         88
        .size:           2
        .value_kind:     hidden_group_size_z
      - .offset:         90
        .size:           2
        .value_kind:     hidden_remainder_x
      - .offset:         92
        .size:           2
        .value_kind:     hidden_remainder_y
      - .offset:         94
        .size:           2
        .value_kind:     hidden_remainder_z
      - .offset:         112
        .size:           8
        .value_kind:     hidden_global_offset_x
      - .offset:         120
        .size:           8
        .value_kind:     hidden_global_offset_y
      - .offset:         128
        .size:           8
        .value_kind:     hidden_global_offset_z
      - .offset:         136
        .size:           2
        .value_kind:     hidden_grid_dims
    .group_segment_fixed_size: 4164
    .kernarg_segment_align: 8
    .kernarg_segment_size: 328
    .language:       OpenCL C
    .language_version:
      - 2
      - 0
    .max_flat_workgroup_size: 1024
    .name:           _ZN4vllm31rms_norm_per_block_quant_kernelIN3c104HalfENS1_13Float8_e4m3fnELb1ELb0ELi128EEEvPT0_PfPKT_S9_PKffiiPS7_l
    .private_segment_fixed_size: 0
    .sgpr_count:     52
    .sgpr_spill_count: 0
    .symbol:         _ZN4vllm31rms_norm_per_block_quant_kernelIN3c104HalfENS1_13Float8_e4m3fnELb1ELb0ELi128EEEvPT0_PfPKT_S9_PKffiiPS7_l.kd
    .uniform_work_group_size: 1
    .uses_dynamic_stack: false
    .vgpr_count:     40
    .vgpr_spill_count: 0
    .wavefront_size: 64
  - .agpr_count:     0
    .args:
      - .actual_access:  write_only
        .address_space:  global
        .offset:         0
        .size:           8
        .value_kind:     global_buffer
      - .address_space:  global
        .offset:         8
        .size:           8
        .value_kind:     global_buffer
      - .actual_access:  read_only
        .address_space:  global
        .offset:         16
        .size:           8
        .value_kind:     global_buffer
      - .actual_access:  read_only
        .address_space:  global
        .offset:         24
        .size:           8
        .value_kind:     global_buffer
      - .address_space:  global
        .offset:         32
        .size:           8
        .value_kind:     global_buffer
      - .offset:         40
        .size:           4
        .value_kind:     by_value
      - .offset:         44
        .size:           4
        .value_kind:     by_value
      - .offset:         48
        .size:           4
        .value_kind:     by_value
      - .address_space:  global
        .offset:         56
        .size:           8
        .value_kind:     global_buffer
      - .offset:         64
        .size:           8
        .value_kind:     by_value
      - .offset:         72
        .size:           4
        .value_kind:     hidden_block_count_x
      - .offset:         76
        .size:           4
        .value_kind:     hidden_block_count_y
      - .offset:         80
        .size:           4
        .value_kind:     hidden_block_count_z
      - .offset:         84
        .size:           2
        .value_kind:     hidden_group_size_x
      - .offset:         86
        .size:           2
        .value_kind:     hidden_group_size_y
      - .offset:         88
        .size:           2
        .value_kind:     hidden_group_size_z
      - .offset:         90
        .size:           2
        .value_kind:     hidden_remainder_x
      - .offset:         92
        .size:           2
        .value_kind:     hidden_remainder_y
      - .offset:         94
        .size:           2
        .value_kind:     hidden_remainder_z
      - .offset:         112
        .size:           8
        .value_kind:     hidden_global_offset_x
      - .offset:         120
        .size:           8
        .value_kind:     hidden_global_offset_y
      - .offset:         128
        .size:           8
        .value_kind:     hidden_global_offset_z
      - .offset:         136
        .size:           2
        .value_kind:     hidden_grid_dims
    .group_segment_fixed_size: 4164
    .kernarg_segment_align: 8
    .kernarg_segment_size: 328
    .language:       OpenCL C
    .language_version:
      - 2
      - 0
    .max_flat_workgroup_size: 1024
    .name:           _ZN4vllm31rms_norm_per_block_quant_kernelIN3c104HalfENS1_15Float8_e4m3fnuzELb1ELb0ELi128EEEvPT0_PfPKT_S9_PKffiiPS7_l
    .private_segment_fixed_size: 0
    .sgpr_count:     52
    .sgpr_spill_count: 0
    .symbol:         _ZN4vllm31rms_norm_per_block_quant_kernelIN3c104HalfENS1_15Float8_e4m3fnuzELb1ELb0ELi128EEEvPT0_PfPKT_S9_PKffiiPS7_l.kd
    .uniform_work_group_size: 1
    .uses_dynamic_stack: false
    .vgpr_count:     40
    .vgpr_spill_count: 0
    .wavefront_size: 64
  - .agpr_count:     0
    .args:
      - .actual_access:  write_only
        .address_space:  global
        .offset:         0
        .size:           8
        .value_kind:     global_buffer
      - .address_space:  global
        .offset:         8
        .size:           8
        .value_kind:     global_buffer
      - .actual_access:  read_only
        .address_space:  global
        .offset:         16
        .size:           8
        .value_kind:     global_buffer
      - .actual_access:  read_only
        .address_space:  global
        .offset:         24
        .size:           8
        .value_kind:     global_buffer
      - .address_space:  global
        .offset:         32
        .size:           8
        .value_kind:     global_buffer
      - .offset:         40
        .size:           4
        .value_kind:     by_value
      - .offset:         44
        .size:           4
        .value_kind:     by_value
      - .offset:         48
        .size:           4
        .value_kind:     by_value
      - .address_space:  global
        .offset:         56
        .size:           8
        .value_kind:     global_buffer
      - .offset:         64
        .size:           8
        .value_kind:     by_value
      - .offset:         72
        .size:           4
        .value_kind:     hidden_block_count_x
      - .offset:         76
        .size:           4
        .value_kind:     hidden_block_count_y
      - .offset:         80
        .size:           4
        .value_kind:     hidden_block_count_z
      - .offset:         84
        .size:           2
        .value_kind:     hidden_group_size_x
      - .offset:         86
        .size:           2
        .value_kind:     hidden_group_size_y
      - .offset:         88
        .size:           2
        .value_kind:     hidden_group_size_z
      - .offset:         90
        .size:           2
        .value_kind:     hidden_remainder_x
      - .offset:         92
        .size:           2
        .value_kind:     hidden_remainder_y
      - .offset:         94
        .size:           2
        .value_kind:     hidden_remainder_z
      - .offset:         112
        .size:           8
        .value_kind:     hidden_global_offset_x
      - .offset:         120
        .size:           8
        .value_kind:     hidden_global_offset_y
      - .offset:         128
        .size:           8
        .value_kind:     hidden_global_offset_z
      - .offset:         136
        .size:           2
        .value_kind:     hidden_grid_dims
    .group_segment_fixed_size: 4164
    .kernarg_segment_align: 8
    .kernarg_segment_size: 328
    .language:       OpenCL C
    .language_version:
      - 2
      - 0
    .max_flat_workgroup_size: 1024
    .name:           _ZN4vllm31rms_norm_per_block_quant_kernelIN3c104HalfEaLb1ELb0ELi128EEEvPT0_PfPKT_S8_PKffiiPS6_l
    .private_segment_fixed_size: 0
    .sgpr_count:     52
    .sgpr_spill_count: 0
    .symbol:         _ZN4vllm31rms_norm_per_block_quant_kernelIN3c104HalfEaLb1ELb0ELi128EEEvPT0_PfPKT_S8_PKffiiPS6_l.kd
    .uniform_work_group_size: 1
    .uses_dynamic_stack: false
    .vgpr_count:     40
    .vgpr_spill_count: 0
    .wavefront_size: 64
  - .agpr_count:     0
    .args:
      - .actual_access:  write_only
        .address_space:  global
        .offset:         0
        .size:           8
        .value_kind:     global_buffer
      - .address_space:  global
        .offset:         8
        .size:           8
        .value_kind:     global_buffer
      - .actual_access:  read_only
        .address_space:  global
        .offset:         16
        .size:           8
        .value_kind:     global_buffer
      - .actual_access:  read_only
        .address_space:  global
        .offset:         24
        .size:           8
        .value_kind:     global_buffer
      - .address_space:  global
        .offset:         32
        .size:           8
        .value_kind:     global_buffer
      - .offset:         40
        .size:           4
        .value_kind:     by_value
      - .offset:         44
        .size:           4
        .value_kind:     by_value
      - .offset:         48
        .size:           4
        .value_kind:     by_value
      - .actual_access:  read_only
        .address_space:  global
        .offset:         56
        .size:           8
        .value_kind:     global_buffer
      - .offset:         64
        .size:           8
        .value_kind:     by_value
      - .offset:         72
        .size:           4
        .value_kind:     hidden_block_count_x
      - .offset:         76
        .size:           4
        .value_kind:     hidden_block_count_y
      - .offset:         80
        .size:           4
        .value_kind:     hidden_block_count_z
      - .offset:         84
        .size:           2
        .value_kind:     hidden_group_size_x
      - .offset:         86
        .size:           2
        .value_kind:     hidden_group_size_y
      - .offset:         88
        .size:           2
        .value_kind:     hidden_group_size_z
      - .offset:         90
        .size:           2
        .value_kind:     hidden_remainder_x
      - .offset:         92
        .size:           2
        .value_kind:     hidden_remainder_y
      - .offset:         94
        .size:           2
        .value_kind:     hidden_remainder_z
      - .offset:         112
        .size:           8
        .value_kind:     hidden_global_offset_x
      - .offset:         120
        .size:           8
        .value_kind:     hidden_global_offset_y
      - .offset:         128
        .size:           8
        .value_kind:     hidden_global_offset_z
      - .offset:         136
        .size:           2
        .value_kind:     hidden_grid_dims
    .group_segment_fixed_size: 4164
    .kernarg_segment_align: 8
    .kernarg_segment_size: 328
    .language:       OpenCL C
    .language_version:
      - 2
      - 0
    .max_flat_workgroup_size: 1024
    .name:           _ZN4vllm31rms_norm_per_block_quant_kernelIN3c104HalfENS1_13Float8_e4m3fnELb0ELb1ELi128EEEvPT0_PfPKT_S9_PKffiiPS7_l
    .private_segment_fixed_size: 0
    .sgpr_count:     50
    .sgpr_spill_count: 0
    .symbol:         _ZN4vllm31rms_norm_per_block_quant_kernelIN3c104HalfENS1_13Float8_e4m3fnELb0ELb1ELi128EEEvPT0_PfPKT_S9_PKffiiPS7_l.kd
    .uniform_work_group_size: 1
    .uses_dynamic_stack: false
    .vgpr_count:     40
    .vgpr_spill_count: 0
    .wavefront_size: 64
  - .agpr_count:     0
    .args:
      - .actual_access:  write_only
        .address_space:  global
        .offset:         0
        .size:           8
        .value_kind:     global_buffer
      - .address_space:  global
        .offset:         8
        .size:           8
        .value_kind:     global_buffer
      - .actual_access:  read_only
        .address_space:  global
        .offset:         16
        .size:           8
        .value_kind:     global_buffer
      - .actual_access:  read_only
        .address_space:  global
        .offset:         24
        .size:           8
        .value_kind:     global_buffer
      - .address_space:  global
        .offset:         32
        .size:           8
        .value_kind:     global_buffer
      - .offset:         40
        .size:           4
        .value_kind:     by_value
      - .offset:         44
        .size:           4
        .value_kind:     by_value
      - .offset:         48
        .size:           4
        .value_kind:     by_value
      - .actual_access:  read_only
        .address_space:  global
        .offset:         56
        .size:           8
        .value_kind:     global_buffer
      - .offset:         64
        .size:           8
        .value_kind:     by_value
      - .offset:         72
        .size:           4
        .value_kind:     hidden_block_count_x
      - .offset:         76
        .size:           4
        .value_kind:     hidden_block_count_y
      - .offset:         80
        .size:           4
        .value_kind:     hidden_block_count_z
      - .offset:         84
        .size:           2
        .value_kind:     hidden_group_size_x
      - .offset:         86
        .size:           2
        .value_kind:     hidden_group_size_y
      - .offset:         88
        .size:           2
        .value_kind:     hidden_group_size_z
      - .offset:         90
        .size:           2
        .value_kind:     hidden_remainder_x
      - .offset:         92
        .size:           2
        .value_kind:     hidden_remainder_y
      - .offset:         94
        .size:           2
        .value_kind:     hidden_remainder_z
      - .offset:         112
        .size:           8
        .value_kind:     hidden_global_offset_x
      - .offset:         120
        .size:           8
        .value_kind:     hidden_global_offset_y
      - .offset:         128
        .size:           8
        .value_kind:     hidden_global_offset_z
      - .offset:         136
        .size:           2
        .value_kind:     hidden_grid_dims
    .group_segment_fixed_size: 4164
    .kernarg_segment_align: 8
    .kernarg_segment_size: 328
    .language:       OpenCL C
    .language_version:
      - 2
      - 0
    .max_flat_workgroup_size: 1024
    .name:           _ZN4vllm31rms_norm_per_block_quant_kernelIN3c104HalfENS1_15Float8_e4m3fnuzELb0ELb1ELi128EEEvPT0_PfPKT_S9_PKffiiPS7_l
    .private_segment_fixed_size: 0
    .sgpr_count:     51
    .sgpr_spill_count: 0
    .symbol:         _ZN4vllm31rms_norm_per_block_quant_kernelIN3c104HalfENS1_15Float8_e4m3fnuzELb0ELb1ELi128EEEvPT0_PfPKT_S9_PKffiiPS7_l.kd
    .uniform_work_group_size: 1
    .uses_dynamic_stack: false
    .vgpr_count:     40
    .vgpr_spill_count: 0
    .wavefront_size: 64
  - .agpr_count:     0
    .args:
      - .actual_access:  write_only
        .address_space:  global
        .offset:         0
        .size:           8
        .value_kind:     global_buffer
      - .address_space:  global
        .offset:         8
        .size:           8
        .value_kind:     global_buffer
      - .actual_access:  read_only
        .address_space:  global
        .offset:         16
        .size:           8
        .value_kind:     global_buffer
      - .actual_access:  read_only
        .address_space:  global
        .offset:         24
        .size:           8
        .value_kind:     global_buffer
      - .address_space:  global
        .offset:         32
        .size:           8
        .value_kind:     global_buffer
      - .offset:         40
        .size:           4
        .value_kind:     by_value
      - .offset:         44
        .size:           4
        .value_kind:     by_value
      - .offset:         48
        .size:           4
        .value_kind:     by_value
      - .actual_access:  read_only
        .address_space:  global
        .offset:         56
        .size:           8
        .value_kind:     global_buffer
      - .offset:         64
        .size:           8
        .value_kind:     by_value
      - .offset:         72
        .size:           4
        .value_kind:     hidden_block_count_x
      - .offset:         76
        .size:           4
        .value_kind:     hidden_block_count_y
      - .offset:         80
        .size:           4
        .value_kind:     hidden_block_count_z
      - .offset:         84
        .size:           2
        .value_kind:     hidden_group_size_x
      - .offset:         86
        .size:           2
        .value_kind:     hidden_group_size_y
      - .offset:         88
        .size:           2
        .value_kind:     hidden_group_size_z
      - .offset:         90
        .size:           2
        .value_kind:     hidden_remainder_x
      - .offset:         92
        .size:           2
        .value_kind:     hidden_remainder_y
      - .offset:         94
        .size:           2
        .value_kind:     hidden_remainder_z
      - .offset:         112
        .size:           8
        .value_kind:     hidden_global_offset_x
      - .offset:         120
        .size:           8
        .value_kind:     hidden_global_offset_y
      - .offset:         128
        .size:           8
        .value_kind:     hidden_global_offset_z
      - .offset:         136
        .size:           2
        .value_kind:     hidden_grid_dims
    .group_segment_fixed_size: 4164
    .kernarg_segment_align: 8
    .kernarg_segment_size: 328
    .language:       OpenCL C
    .language_version:
      - 2
      - 0
    .max_flat_workgroup_size: 1024
    .name:           _ZN4vllm31rms_norm_per_block_quant_kernelIN3c104HalfEaLb0ELb1ELi128EEEvPT0_PfPKT_S8_PKffiiPS6_l
    .private_segment_fixed_size: 0
    .sgpr_count:     51
    .sgpr_spill_count: 0
    .symbol:         _ZN4vllm31rms_norm_per_block_quant_kernelIN3c104HalfEaLb0ELb1ELi128EEEvPT0_PfPKT_S8_PKffiiPS6_l.kd
    .uniform_work_group_size: 1
    .uses_dynamic_stack: false
    .vgpr_count:     40
    .vgpr_spill_count: 0
    .wavefront_size: 64
  - .agpr_count:     0
    .args:
      - .actual_access:  write_only
        .address_space:  global
        .offset:         0
        .size:           8
        .value_kind:     global_buffer
      - .address_space:  global
        .offset:         8
        .size:           8
        .value_kind:     global_buffer
      - .actual_access:  read_only
        .address_space:  global
        .offset:         16
        .size:           8
        .value_kind:     global_buffer
      - .actual_access:  read_only
        .address_space:  global
        .offset:         24
        .size:           8
        .value_kind:     global_buffer
      - .address_space:  global
        .offset:         32
        .size:           8
        .value_kind:     global_buffer
      - .offset:         40
        .size:           4
        .value_kind:     by_value
      - .offset:         44
        .size:           4
        .value_kind:     by_value
      - .offset:         48
        .size:           4
        .value_kind:     by_value
      - .actual_access:  read_only
        .address_space:  global
        .offset:         56
        .size:           8
        .value_kind:     global_buffer
      - .offset:         64
        .size:           8
        .value_kind:     by_value
      - .offset:         72
        .size:           4
        .value_kind:     hidden_block_count_x
      - .offset:         76
        .size:           4
        .value_kind:     hidden_block_count_y
      - .offset:         80
        .size:           4
        .value_kind:     hidden_block_count_z
      - .offset:         84
        .size:           2
        .value_kind:     hidden_group_size_x
      - .offset:         86
        .size:           2
        .value_kind:     hidden_group_size_y
      - .offset:         88
        .size:           2
        .value_kind:     hidden_group_size_z
      - .offset:         90
        .size:           2
        .value_kind:     hidden_remainder_x
      - .offset:         92
        .size:           2
        .value_kind:     hidden_remainder_y
      - .offset:         94
        .size:           2
        .value_kind:     hidden_remainder_z
      - .offset:         112
        .size:           8
        .value_kind:     hidden_global_offset_x
      - .offset:         120
        .size:           8
        .value_kind:     hidden_global_offset_y
      - .offset:         128
        .size:           8
        .value_kind:     hidden_global_offset_z
      - .offset:         136
        .size:           2
        .value_kind:     hidden_grid_dims
    .group_segment_fixed_size: 4164
    .kernarg_segment_align: 8
    .kernarg_segment_size: 328
    .language:       OpenCL C
    .language_version:
      - 2
      - 0
    .max_flat_workgroup_size: 1024
    .name:           _ZN4vllm31rms_norm_per_block_quant_kernelIN3c104HalfENS1_13Float8_e4m3fnELb0ELb0ELi128EEEvPT0_PfPKT_S9_PKffiiPS7_l
    .private_segment_fixed_size: 0
    .sgpr_count:     50
    .sgpr_spill_count: 0
    .symbol:         _ZN4vllm31rms_norm_per_block_quant_kernelIN3c104HalfENS1_13Float8_e4m3fnELb0ELb0ELi128EEEvPT0_PfPKT_S9_PKffiiPS7_l.kd
    .uniform_work_group_size: 1
    .uses_dynamic_stack: false
    .vgpr_count:     40
    .vgpr_spill_count: 0
    .wavefront_size: 64
  - .agpr_count:     0
    .args:
      - .actual_access:  write_only
        .address_space:  global
        .offset:         0
        .size:           8
        .value_kind:     global_buffer
      - .address_space:  global
        .offset:         8
        .size:           8
        .value_kind:     global_buffer
      - .actual_access:  read_only
        .address_space:  global
        .offset:         16
        .size:           8
        .value_kind:     global_buffer
      - .actual_access:  read_only
        .address_space:  global
        .offset:         24
        .size:           8
        .value_kind:     global_buffer
      - .address_space:  global
        .offset:         32
        .size:           8
        .value_kind:     global_buffer
      - .offset:         40
        .size:           4
        .value_kind:     by_value
      - .offset:         44
        .size:           4
        .value_kind:     by_value
      - .offset:         48
        .size:           4
        .value_kind:     by_value
      - .actual_access:  read_only
        .address_space:  global
        .offset:         56
        .size:           8
        .value_kind:     global_buffer
      - .offset:         64
        .size:           8
        .value_kind:     by_value
      - .offset:         72
        .size:           4
        .value_kind:     hidden_block_count_x
      - .offset:         76
        .size:           4
        .value_kind:     hidden_block_count_y
      - .offset:         80
        .size:           4
        .value_kind:     hidden_block_count_z
      - .offset:         84
        .size:           2
        .value_kind:     hidden_group_size_x
      - .offset:         86
        .size:           2
        .value_kind:     hidden_group_size_y
      - .offset:         88
        .size:           2
        .value_kind:     hidden_group_size_z
      - .offset:         90
        .size:           2
        .value_kind:     hidden_remainder_x
      - .offset:         92
        .size:           2
        .value_kind:     hidden_remainder_y
      - .offset:         94
        .size:           2
        .value_kind:     hidden_remainder_z
      - .offset:         112
        .size:           8
        .value_kind:     hidden_global_offset_x
      - .offset:         120
        .size:           8
        .value_kind:     hidden_global_offset_y
      - .offset:         128
        .size:           8
        .value_kind:     hidden_global_offset_z
      - .offset:         136
        .size:           2
        .value_kind:     hidden_grid_dims
    .group_segment_fixed_size: 4164
    .kernarg_segment_align: 8
    .kernarg_segment_size: 328
    .language:       OpenCL C
    .language_version:
      - 2
      - 0
    .max_flat_workgroup_size: 1024
    .name:           _ZN4vllm31rms_norm_per_block_quant_kernelIN3c104HalfENS1_15Float8_e4m3fnuzELb0ELb0ELi128EEEvPT0_PfPKT_S9_PKffiiPS7_l
    .private_segment_fixed_size: 0
    .sgpr_count:     50
    .sgpr_spill_count: 0
    .symbol:         _ZN4vllm31rms_norm_per_block_quant_kernelIN3c104HalfENS1_15Float8_e4m3fnuzELb0ELb0ELi128EEEvPT0_PfPKT_S9_PKffiiPS7_l.kd
    .uniform_work_group_size: 1
    .uses_dynamic_stack: false
    .vgpr_count:     40
    .vgpr_spill_count: 0
    .wavefront_size: 64
  - .agpr_count:     0
    .args:
      - .actual_access:  write_only
        .address_space:  global
        .offset:         0
        .size:           8
        .value_kind:     global_buffer
      - .address_space:  global
        .offset:         8
        .size:           8
        .value_kind:     global_buffer
      - .actual_access:  read_only
        .address_space:  global
        .offset:         16
        .size:           8
        .value_kind:     global_buffer
      - .actual_access:  read_only
        .address_space:  global
        .offset:         24
        .size:           8
        .value_kind:     global_buffer
      - .address_space:  global
        .offset:         32
        .size:           8
        .value_kind:     global_buffer
      - .offset:         40
        .size:           4
        .value_kind:     by_value
      - .offset:         44
        .size:           4
        .value_kind:     by_value
      - .offset:         48
        .size:           4
        .value_kind:     by_value
      - .actual_access:  read_only
        .address_space:  global
        .offset:         56
        .size:           8
        .value_kind:     global_buffer
      - .offset:         64
        .size:           8
        .value_kind:     by_value
      - .offset:         72
        .size:           4
        .value_kind:     hidden_block_count_x
      - .offset:         76
        .size:           4
        .value_kind:     hidden_block_count_y
      - .offset:         80
        .size:           4
        .value_kind:     hidden_block_count_z
      - .offset:         84
        .size:           2
        .value_kind:     hidden_group_size_x
      - .offset:         86
        .size:           2
        .value_kind:     hidden_group_size_y
      - .offset:         88
        .size:           2
        .value_kind:     hidden_group_size_z
      - .offset:         90
        .size:           2
        .value_kind:     hidden_remainder_x
      - .offset:         92
        .size:           2
        .value_kind:     hidden_remainder_y
      - .offset:         94
        .size:           2
        .value_kind:     hidden_remainder_z
      - .offset:         112
        .size:           8
        .value_kind:     hidden_global_offset_x
      - .offset:         120
        .size:           8
        .value_kind:     hidden_global_offset_y
      - .offset:         128
        .size:           8
        .value_kind:     hidden_global_offset_z
      - .offset:         136
        .size:           2
        .value_kind:     hidden_grid_dims
    .group_segment_fixed_size: 4164
    .kernarg_segment_align: 8
    .kernarg_segment_size: 328
    .language:       OpenCL C
    .language_version:
      - 2
      - 0
    .max_flat_workgroup_size: 1024
    .name:           _ZN4vllm31rms_norm_per_block_quant_kernelIN3c104HalfEaLb0ELb0ELi128EEEvPT0_PfPKT_S8_PKffiiPS6_l
    .private_segment_fixed_size: 0
    .sgpr_count:     50
    .sgpr_spill_count: 0
    .symbol:         _ZN4vllm31rms_norm_per_block_quant_kernelIN3c104HalfEaLb0ELb0ELi128EEEvPT0_PfPKT_S8_PKffiiPS6_l.kd
    .uniform_work_group_size: 1
    .uses_dynamic_stack: false
    .vgpr_count:     40
    .vgpr_spill_count: 0
    .wavefront_size: 64
  - .agpr_count:     0
    .args:
      - .actual_access:  write_only
        .address_space:  global
        .offset:         0
        .size:           8
        .value_kind:     global_buffer
      - .address_space:  global
        .offset:         8
        .size:           8
        .value_kind:     global_buffer
      - .actual_access:  read_only
        .address_space:  global
        .offset:         16
        .size:           8
        .value_kind:     global_buffer
      - .actual_access:  read_only
        .address_space:  global
        .offset:         24
        .size:           8
        .value_kind:     global_buffer
      - .address_space:  global
        .offset:         32
        .size:           8
        .value_kind:     global_buffer
      - .offset:         40
        .size:           4
        .value_kind:     by_value
      - .offset:         44
        .size:           4
        .value_kind:     by_value
      - .offset:         48
        .size:           4
        .value_kind:     by_value
      - .address_space:  global
        .offset:         56
        .size:           8
        .value_kind:     global_buffer
      - .offset:         64
        .size:           8
        .value_kind:     by_value
      - .offset:         72
        .size:           4
        .value_kind:     hidden_block_count_x
      - .offset:         76
        .size:           4
        .value_kind:     hidden_block_count_y
      - .offset:         80
        .size:           4
        .value_kind:     hidden_block_count_z
      - .offset:         84
        .size:           2
        .value_kind:     hidden_group_size_x
      - .offset:         86
        .size:           2
        .value_kind:     hidden_group_size_y
      - .offset:         88
        .size:           2
        .value_kind:     hidden_group_size_z
      - .offset:         90
        .size:           2
        .value_kind:     hidden_remainder_x
      - .offset:         92
        .size:           2
        .value_kind:     hidden_remainder_y
      - .offset:         94
        .size:           2
        .value_kind:     hidden_remainder_z
      - .offset:         112
        .size:           8
        .value_kind:     hidden_global_offset_x
      - .offset:         120
        .size:           8
        .value_kind:     hidden_global_offset_y
      - .offset:         128
        .size:           8
        .value_kind:     hidden_global_offset_z
      - .offset:         136
        .size:           2
        .value_kind:     hidden_grid_dims
    .group_segment_fixed_size: 4164
    .kernarg_segment_align: 8
    .kernarg_segment_size: 328
    .language:       OpenCL C
    .language_version:
      - 2
      - 0
    .max_flat_workgroup_size: 1024
    .name:           _ZN4vllm31rms_norm_per_block_quant_kernelIN3c104HalfENS1_13Float8_e4m3fnELb1ELb1ELi64EEEvPT0_PfPKT_S9_PKffiiPS7_l
    .private_segment_fixed_size: 0
    .sgpr_count:     53
    .sgpr_spill_count: 0
    .symbol:         _ZN4vllm31rms_norm_per_block_quant_kernelIN3c104HalfENS1_13Float8_e4m3fnELb1ELb1ELi64EEEvPT0_PfPKT_S9_PKffiiPS7_l.kd
    .uniform_work_group_size: 1
    .uses_dynamic_stack: false
    .vgpr_count:     40
    .vgpr_spill_count: 0
    .wavefront_size: 64
  - .agpr_count:     0
    .args:
      - .actual_access:  write_only
        .address_space:  global
        .offset:         0
        .size:           8
        .value_kind:     global_buffer
      - .address_space:  global
        .offset:         8
        .size:           8
        .value_kind:     global_buffer
      - .actual_access:  read_only
        .address_space:  global
        .offset:         16
        .size:           8
        .value_kind:     global_buffer
      - .actual_access:  read_only
        .address_space:  global
        .offset:         24
        .size:           8
        .value_kind:     global_buffer
      - .address_space:  global
        .offset:         32
        .size:           8
        .value_kind:     global_buffer
      - .offset:         40
        .size:           4
        .value_kind:     by_value
      - .offset:         44
        .size:           4
        .value_kind:     by_value
      - .offset:         48
        .size:           4
        .value_kind:     by_value
      - .address_space:  global
        .offset:         56
        .size:           8
        .value_kind:     global_buffer
      - .offset:         64
        .size:           8
        .value_kind:     by_value
      - .offset:         72
        .size:           4
        .value_kind:     hidden_block_count_x
      - .offset:         76
        .size:           4
        .value_kind:     hidden_block_count_y
      - .offset:         80
        .size:           4
        .value_kind:     hidden_block_count_z
      - .offset:         84
        .size:           2
        .value_kind:     hidden_group_size_x
      - .offset:         86
        .size:           2
        .value_kind:     hidden_group_size_y
      - .offset:         88
        .size:           2
        .value_kind:     hidden_group_size_z
      - .offset:         90
        .size:           2
        .value_kind:     hidden_remainder_x
      - .offset:         92
        .size:           2
        .value_kind:     hidden_remainder_y
      - .offset:         94
        .size:           2
        .value_kind:     hidden_remainder_z
      - .offset:         112
        .size:           8
        .value_kind:     hidden_global_offset_x
      - .offset:         120
        .size:           8
        .value_kind:     hidden_global_offset_y
      - .offset:         128
        .size:           8
        .value_kind:     hidden_global_offset_z
      - .offset:         136
        .size:           2
        .value_kind:     hidden_grid_dims
    .group_segment_fixed_size: 4164
    .kernarg_segment_align: 8
    .kernarg_segment_size: 328
    .language:       OpenCL C
    .language_version:
      - 2
      - 0
    .max_flat_workgroup_size: 1024
    .name:           _ZN4vllm31rms_norm_per_block_quant_kernelIN3c104HalfENS1_15Float8_e4m3fnuzELb1ELb1ELi64EEEvPT0_PfPKT_S9_PKffiiPS7_l
    .private_segment_fixed_size: 0
    .sgpr_count:     53
    .sgpr_spill_count: 0
    .symbol:         _ZN4vllm31rms_norm_per_block_quant_kernelIN3c104HalfENS1_15Float8_e4m3fnuzELb1ELb1ELi64EEEvPT0_PfPKT_S9_PKffiiPS7_l.kd
    .uniform_work_group_size: 1
    .uses_dynamic_stack: false
    .vgpr_count:     40
    .vgpr_spill_count: 0
    .wavefront_size: 64
  - .agpr_count:     0
    .args:
      - .actual_access:  write_only
        .address_space:  global
        .offset:         0
        .size:           8
        .value_kind:     global_buffer
      - .address_space:  global
        .offset:         8
        .size:           8
        .value_kind:     global_buffer
      - .actual_access:  read_only
        .address_space:  global
        .offset:         16
        .size:           8
        .value_kind:     global_buffer
      - .actual_access:  read_only
        .address_space:  global
        .offset:         24
        .size:           8
        .value_kind:     global_buffer
      - .address_space:  global
        .offset:         32
        .size:           8
        .value_kind:     global_buffer
      - .offset:         40
        .size:           4
        .value_kind:     by_value
      - .offset:         44
        .size:           4
        .value_kind:     by_value
      - .offset:         48
        .size:           4
        .value_kind:     by_value
      - .address_space:  global
        .offset:         56
        .size:           8
        .value_kind:     global_buffer
      - .offset:         64
        .size:           8
        .value_kind:     by_value
      - .offset:         72
        .size:           4
        .value_kind:     hidden_block_count_x
      - .offset:         76
        .size:           4
        .value_kind:     hidden_block_count_y
      - .offset:         80
        .size:           4
        .value_kind:     hidden_block_count_z
      - .offset:         84
        .size:           2
        .value_kind:     hidden_group_size_x
      - .offset:         86
        .size:           2
        .value_kind:     hidden_group_size_y
      - .offset:         88
        .size:           2
        .value_kind:     hidden_group_size_z
      - .offset:         90
        .size:           2
        .value_kind:     hidden_remainder_x
      - .offset:         92
        .size:           2
        .value_kind:     hidden_remainder_y
      - .offset:         94
        .size:           2
        .value_kind:     hidden_remainder_z
      - .offset:         112
        .size:           8
        .value_kind:     hidden_global_offset_x
      - .offset:         120
        .size:           8
        .value_kind:     hidden_global_offset_y
      - .offset:         128
        .size:           8
        .value_kind:     hidden_global_offset_z
      - .offset:         136
        .size:           2
        .value_kind:     hidden_grid_dims
    .group_segment_fixed_size: 4164
    .kernarg_segment_align: 8
    .kernarg_segment_size: 328
    .language:       OpenCL C
    .language_version:
      - 2
      - 0
    .max_flat_workgroup_size: 1024
    .name:           _ZN4vllm31rms_norm_per_block_quant_kernelIN3c104HalfEaLb1ELb1ELi64EEEvPT0_PfPKT_S8_PKffiiPS6_l
    .private_segment_fixed_size: 0
    .sgpr_count:     53
    .sgpr_spill_count: 0
    .symbol:         _ZN4vllm31rms_norm_per_block_quant_kernelIN3c104HalfEaLb1ELb1ELi64EEEvPT0_PfPKT_S8_PKffiiPS6_l.kd
    .uniform_work_group_size: 1
    .uses_dynamic_stack: false
    .vgpr_count:     40
    .vgpr_spill_count: 0
    .wavefront_size: 64
  - .agpr_count:     0
    .args:
      - .actual_access:  write_only
        .address_space:  global
        .offset:         0
        .size:           8
        .value_kind:     global_buffer
      - .address_space:  global
        .offset:         8
        .size:           8
        .value_kind:     global_buffer
      - .actual_access:  read_only
        .address_space:  global
        .offset:         16
        .size:           8
        .value_kind:     global_buffer
      - .actual_access:  read_only
        .address_space:  global
        .offset:         24
        .size:           8
        .value_kind:     global_buffer
      - .address_space:  global
        .offset:         32
        .size:           8
        .value_kind:     global_buffer
      - .offset:         40
        .size:           4
        .value_kind:     by_value
      - .offset:         44
        .size:           4
        .value_kind:     by_value
      - .offset:         48
        .size:           4
        .value_kind:     by_value
      - .address_space:  global
        .offset:         56
        .size:           8
        .value_kind:     global_buffer
      - .offset:         64
        .size:           8
        .value_kind:     by_value
      - .offset:         72
        .size:           4
        .value_kind:     hidden_block_count_x
      - .offset:         76
        .size:           4
        .value_kind:     hidden_block_count_y
      - .offset:         80
        .size:           4
        .value_kind:     hidden_block_count_z
      - .offset:         84
        .size:           2
        .value_kind:     hidden_group_size_x
      - .offset:         86
        .size:           2
        .value_kind:     hidden_group_size_y
      - .offset:         88
        .size:           2
        .value_kind:     hidden_group_size_z
      - .offset:         90
        .size:           2
        .value_kind:     hidden_remainder_x
      - .offset:         92
        .size:           2
        .value_kind:     hidden_remainder_y
      - .offset:         94
        .size:           2
        .value_kind:     hidden_remainder_z
      - .offset:         112
        .size:           8
        .value_kind:     hidden_global_offset_x
      - .offset:         120
        .size:           8
        .value_kind:     hidden_global_offset_y
      - .offset:         128
        .size:           8
        .value_kind:     hidden_global_offset_z
      - .offset:         136
        .size:           2
        .value_kind:     hidden_grid_dims
    .group_segment_fixed_size: 4164
    .kernarg_segment_align: 8
    .kernarg_segment_size: 328
    .language:       OpenCL C
    .language_version:
      - 2
      - 0
    .max_flat_workgroup_size: 1024
    .name:           _ZN4vllm31rms_norm_per_block_quant_kernelIN3c104HalfENS1_13Float8_e4m3fnELb1ELb0ELi64EEEvPT0_PfPKT_S9_PKffiiPS7_l
    .private_segment_fixed_size: 0
    .sgpr_count:     52
    .sgpr_spill_count: 0
    .symbol:         _ZN4vllm31rms_norm_per_block_quant_kernelIN3c104HalfENS1_13Float8_e4m3fnELb1ELb0ELi64EEEvPT0_PfPKT_S9_PKffiiPS7_l.kd
    .uniform_work_group_size: 1
    .uses_dynamic_stack: false
    .vgpr_count:     40
    .vgpr_spill_count: 0
    .wavefront_size: 64
  - .agpr_count:     0
    .args:
      - .actual_access:  write_only
        .address_space:  global
        .offset:         0
        .size:           8
        .value_kind:     global_buffer
      - .address_space:  global
        .offset:         8
        .size:           8
        .value_kind:     global_buffer
      - .actual_access:  read_only
        .address_space:  global
        .offset:         16
        .size:           8
        .value_kind:     global_buffer
      - .actual_access:  read_only
        .address_space:  global
        .offset:         24
        .size:           8
        .value_kind:     global_buffer
      - .address_space:  global
        .offset:         32
        .size:           8
        .value_kind:     global_buffer
      - .offset:         40
        .size:           4
        .value_kind:     by_value
      - .offset:         44
        .size:           4
        .value_kind:     by_value
      - .offset:         48
        .size:           4
        .value_kind:     by_value
      - .address_space:  global
        .offset:         56
        .size:           8
        .value_kind:     global_buffer
      - .offset:         64
        .size:           8
        .value_kind:     by_value
      - .offset:         72
        .size:           4
        .value_kind:     hidden_block_count_x
      - .offset:         76
        .size:           4
        .value_kind:     hidden_block_count_y
      - .offset:         80
        .size:           4
        .value_kind:     hidden_block_count_z
      - .offset:         84
        .size:           2
        .value_kind:     hidden_group_size_x
      - .offset:         86
        .size:           2
        .value_kind:     hidden_group_size_y
      - .offset:         88
        .size:           2
        .value_kind:     hidden_group_size_z
      - .offset:         90
        .size:           2
        .value_kind:     hidden_remainder_x
      - .offset:         92
        .size:           2
        .value_kind:     hidden_remainder_y
      - .offset:         94
        .size:           2
        .value_kind:     hidden_remainder_z
      - .offset:         112
        .size:           8
        .value_kind:     hidden_global_offset_x
      - .offset:         120
        .size:           8
        .value_kind:     hidden_global_offset_y
      - .offset:         128
        .size:           8
        .value_kind:     hidden_global_offset_z
      - .offset:         136
        .size:           2
        .value_kind:     hidden_grid_dims
    .group_segment_fixed_size: 4164
    .kernarg_segment_align: 8
    .kernarg_segment_size: 328
    .language:       OpenCL C
    .language_version:
      - 2
      - 0
    .max_flat_workgroup_size: 1024
    .name:           _ZN4vllm31rms_norm_per_block_quant_kernelIN3c104HalfENS1_15Float8_e4m3fnuzELb1ELb0ELi64EEEvPT0_PfPKT_S9_PKffiiPS7_l
    .private_segment_fixed_size: 0
    .sgpr_count:     52
    .sgpr_spill_count: 0
    .symbol:         _ZN4vllm31rms_norm_per_block_quant_kernelIN3c104HalfENS1_15Float8_e4m3fnuzELb1ELb0ELi64EEEvPT0_PfPKT_S9_PKffiiPS7_l.kd
    .uniform_work_group_size: 1
    .uses_dynamic_stack: false
    .vgpr_count:     40
    .vgpr_spill_count: 0
    .wavefront_size: 64
  - .agpr_count:     0
    .args:
      - .actual_access:  write_only
        .address_space:  global
        .offset:         0
        .size:           8
        .value_kind:     global_buffer
      - .address_space:  global
        .offset:         8
        .size:           8
        .value_kind:     global_buffer
      - .actual_access:  read_only
        .address_space:  global
        .offset:         16
        .size:           8
        .value_kind:     global_buffer
      - .actual_access:  read_only
        .address_space:  global
        .offset:         24
        .size:           8
        .value_kind:     global_buffer
      - .address_space:  global
        .offset:         32
        .size:           8
        .value_kind:     global_buffer
      - .offset:         40
        .size:           4
        .value_kind:     by_value
      - .offset:         44
        .size:           4
        .value_kind:     by_value
      - .offset:         48
        .size:           4
        .value_kind:     by_value
      - .address_space:  global
        .offset:         56
        .size:           8
        .value_kind:     global_buffer
      - .offset:         64
        .size:           8
        .value_kind:     by_value
      - .offset:         72
        .size:           4
        .value_kind:     hidden_block_count_x
      - .offset:         76
        .size:           4
        .value_kind:     hidden_block_count_y
      - .offset:         80
        .size:           4
        .value_kind:     hidden_block_count_z
      - .offset:         84
        .size:           2
        .value_kind:     hidden_group_size_x
      - .offset:         86
        .size:           2
        .value_kind:     hidden_group_size_y
      - .offset:         88
        .size:           2
        .value_kind:     hidden_group_size_z
      - .offset:         90
        .size:           2
        .value_kind:     hidden_remainder_x
      - .offset:         92
        .size:           2
        .value_kind:     hidden_remainder_y
      - .offset:         94
        .size:           2
        .value_kind:     hidden_remainder_z
      - .offset:         112
        .size:           8
        .value_kind:     hidden_global_offset_x
      - .offset:         120
        .size:           8
        .value_kind:     hidden_global_offset_y
      - .offset:         128
        .size:           8
        .value_kind:     hidden_global_offset_z
      - .offset:         136
        .size:           2
        .value_kind:     hidden_grid_dims
    .group_segment_fixed_size: 4164
    .kernarg_segment_align: 8
    .kernarg_segment_size: 328
    .language:       OpenCL C
    .language_version:
      - 2
      - 0
    .max_flat_workgroup_size: 1024
    .name:           _ZN4vllm31rms_norm_per_block_quant_kernelIN3c104HalfEaLb1ELb0ELi64EEEvPT0_PfPKT_S8_PKffiiPS6_l
    .private_segment_fixed_size: 0
    .sgpr_count:     52
    .sgpr_spill_count: 0
    .symbol:         _ZN4vllm31rms_norm_per_block_quant_kernelIN3c104HalfEaLb1ELb0ELi64EEEvPT0_PfPKT_S8_PKffiiPS6_l.kd
    .uniform_work_group_size: 1
    .uses_dynamic_stack: false
    .vgpr_count:     40
    .vgpr_spill_count: 0
    .wavefront_size: 64
  - .agpr_count:     0
    .args:
      - .actual_access:  write_only
        .address_space:  global
        .offset:         0
        .size:           8
        .value_kind:     global_buffer
      - .address_space:  global
        .offset:         8
        .size:           8
        .value_kind:     global_buffer
      - .actual_access:  read_only
        .address_space:  global
        .offset:         16
        .size:           8
        .value_kind:     global_buffer
      - .actual_access:  read_only
        .address_space:  global
        .offset:         24
        .size:           8
        .value_kind:     global_buffer
      - .address_space:  global
        .offset:         32
        .size:           8
        .value_kind:     global_buffer
      - .offset:         40
        .size:           4
        .value_kind:     by_value
      - .offset:         44
        .size:           4
        .value_kind:     by_value
      - .offset:         48
        .size:           4
        .value_kind:     by_value
      - .actual_access:  read_only
        .address_space:  global
        .offset:         56
        .size:           8
        .value_kind:     global_buffer
      - .offset:         64
        .size:           8
        .value_kind:     by_value
      - .offset:         72
        .size:           4
        .value_kind:     hidden_block_count_x
      - .offset:         76
        .size:           4
        .value_kind:     hidden_block_count_y
      - .offset:         80
        .size:           4
        .value_kind:     hidden_block_count_z
      - .offset:         84
        .size:           2
        .value_kind:     hidden_group_size_x
      - .offset:         86
        .size:           2
        .value_kind:     hidden_group_size_y
      - .offset:         88
        .size:           2
        .value_kind:     hidden_group_size_z
      - .offset:         90
        .size:           2
        .value_kind:     hidden_remainder_x
      - .offset:         92
        .size:           2
        .value_kind:     hidden_remainder_y
      - .offset:         94
        .size:           2
        .value_kind:     hidden_remainder_z
      - .offset:         112
        .size:           8
        .value_kind:     hidden_global_offset_x
      - .offset:         120
        .size:           8
        .value_kind:     hidden_global_offset_y
      - .offset:         128
        .size:           8
        .value_kind:     hidden_global_offset_z
      - .offset:         136
        .size:           2
        .value_kind:     hidden_grid_dims
    .group_segment_fixed_size: 4164
    .kernarg_segment_align: 8
    .kernarg_segment_size: 328
    .language:       OpenCL C
    .language_version:
      - 2
      - 0
    .max_flat_workgroup_size: 1024
    .name:           _ZN4vllm31rms_norm_per_block_quant_kernelIN3c104HalfENS1_13Float8_e4m3fnELb0ELb1ELi64EEEvPT0_PfPKT_S9_PKffiiPS7_l
    .private_segment_fixed_size: 0
    .sgpr_count:     50
    .sgpr_spill_count: 0
    .symbol:         _ZN4vllm31rms_norm_per_block_quant_kernelIN3c104HalfENS1_13Float8_e4m3fnELb0ELb1ELi64EEEvPT0_PfPKT_S9_PKffiiPS7_l.kd
    .uniform_work_group_size: 1
    .uses_dynamic_stack: false
    .vgpr_count:     40
    .vgpr_spill_count: 0
    .wavefront_size: 64
  - .agpr_count:     0
    .args:
      - .actual_access:  write_only
        .address_space:  global
        .offset:         0
        .size:           8
        .value_kind:     global_buffer
      - .address_space:  global
        .offset:         8
        .size:           8
        .value_kind:     global_buffer
      - .actual_access:  read_only
        .address_space:  global
        .offset:         16
        .size:           8
        .value_kind:     global_buffer
      - .actual_access:  read_only
        .address_space:  global
        .offset:         24
        .size:           8
        .value_kind:     global_buffer
      - .address_space:  global
        .offset:         32
        .size:           8
        .value_kind:     global_buffer
      - .offset:         40
        .size:           4
        .value_kind:     by_value
      - .offset:         44
        .size:           4
        .value_kind:     by_value
      - .offset:         48
        .size:           4
        .value_kind:     by_value
      - .actual_access:  read_only
        .address_space:  global
        .offset:         56
        .size:           8
        .value_kind:     global_buffer
      - .offset:         64
        .size:           8
        .value_kind:     by_value
      - .offset:         72
        .size:           4
        .value_kind:     hidden_block_count_x
      - .offset:         76
        .size:           4
        .value_kind:     hidden_block_count_y
      - .offset:         80
        .size:           4
        .value_kind:     hidden_block_count_z
      - .offset:         84
        .size:           2
        .value_kind:     hidden_group_size_x
      - .offset:         86
        .size:           2
        .value_kind:     hidden_group_size_y
      - .offset:         88
        .size:           2
        .value_kind:     hidden_group_size_z
      - .offset:         90
        .size:           2
        .value_kind:     hidden_remainder_x
      - .offset:         92
        .size:           2
        .value_kind:     hidden_remainder_y
      - .offset:         94
        .size:           2
        .value_kind:     hidden_remainder_z
      - .offset:         112
        .size:           8
        .value_kind:     hidden_global_offset_x
      - .offset:         120
        .size:           8
        .value_kind:     hidden_global_offset_y
      - .offset:         128
        .size:           8
        .value_kind:     hidden_global_offset_z
      - .offset:         136
        .size:           2
        .value_kind:     hidden_grid_dims
    .group_segment_fixed_size: 4164
    .kernarg_segment_align: 8
    .kernarg_segment_size: 328
    .language:       OpenCL C
    .language_version:
      - 2
      - 0
    .max_flat_workgroup_size: 1024
    .name:           _ZN4vllm31rms_norm_per_block_quant_kernelIN3c104HalfENS1_15Float8_e4m3fnuzELb0ELb1ELi64EEEvPT0_PfPKT_S9_PKffiiPS7_l
    .private_segment_fixed_size: 0
    .sgpr_count:     51
    .sgpr_spill_count: 0
    .symbol:         _ZN4vllm31rms_norm_per_block_quant_kernelIN3c104HalfENS1_15Float8_e4m3fnuzELb0ELb1ELi64EEEvPT0_PfPKT_S9_PKffiiPS7_l.kd
    .uniform_work_group_size: 1
    .uses_dynamic_stack: false
    .vgpr_count:     40
    .vgpr_spill_count: 0
    .wavefront_size: 64
  - .agpr_count:     0
    .args:
      - .actual_access:  write_only
        .address_space:  global
        .offset:         0
        .size:           8
        .value_kind:     global_buffer
      - .address_space:  global
        .offset:         8
        .size:           8
        .value_kind:     global_buffer
      - .actual_access:  read_only
        .address_space:  global
        .offset:         16
        .size:           8
        .value_kind:     global_buffer
      - .actual_access:  read_only
        .address_space:  global
        .offset:         24
        .size:           8
        .value_kind:     global_buffer
      - .address_space:  global
        .offset:         32
        .size:           8
        .value_kind:     global_buffer
      - .offset:         40
        .size:           4
        .value_kind:     by_value
      - .offset:         44
        .size:           4
        .value_kind:     by_value
      - .offset:         48
        .size:           4
        .value_kind:     by_value
      - .actual_access:  read_only
        .address_space:  global
        .offset:         56
        .size:           8
        .value_kind:     global_buffer
      - .offset:         64
        .size:           8
        .value_kind:     by_value
      - .offset:         72
        .size:           4
        .value_kind:     hidden_block_count_x
      - .offset:         76
        .size:           4
        .value_kind:     hidden_block_count_y
      - .offset:         80
        .size:           4
        .value_kind:     hidden_block_count_z
      - .offset:         84
        .size:           2
        .value_kind:     hidden_group_size_x
      - .offset:         86
        .size:           2
        .value_kind:     hidden_group_size_y
      - .offset:         88
        .size:           2
        .value_kind:     hidden_group_size_z
      - .offset:         90
        .size:           2
        .value_kind:     hidden_remainder_x
      - .offset:         92
        .size:           2
        .value_kind:     hidden_remainder_y
      - .offset:         94
        .size:           2
        .value_kind:     hidden_remainder_z
      - .offset:         112
        .size:           8
        .value_kind:     hidden_global_offset_x
      - .offset:         120
        .size:           8
        .value_kind:     hidden_global_offset_y
      - .offset:         128
        .size:           8
        .value_kind:     hidden_global_offset_z
      - .offset:         136
        .size:           2
        .value_kind:     hidden_grid_dims
    .group_segment_fixed_size: 4164
    .kernarg_segment_align: 8
    .kernarg_segment_size: 328
    .language:       OpenCL C
    .language_version:
      - 2
      - 0
    .max_flat_workgroup_size: 1024
    .name:           _ZN4vllm31rms_norm_per_block_quant_kernelIN3c104HalfEaLb0ELb1ELi64EEEvPT0_PfPKT_S8_PKffiiPS6_l
    .private_segment_fixed_size: 0
    .sgpr_count:     51
    .sgpr_spill_count: 0
    .symbol:         _ZN4vllm31rms_norm_per_block_quant_kernelIN3c104HalfEaLb0ELb1ELi64EEEvPT0_PfPKT_S8_PKffiiPS6_l.kd
    .uniform_work_group_size: 1
    .uses_dynamic_stack: false
    .vgpr_count:     40
    .vgpr_spill_count: 0
    .wavefront_size: 64
  - .agpr_count:     0
    .args:
      - .actual_access:  write_only
        .address_space:  global
        .offset:         0
        .size:           8
        .value_kind:     global_buffer
      - .address_space:  global
        .offset:         8
        .size:           8
        .value_kind:     global_buffer
      - .actual_access:  read_only
        .address_space:  global
        .offset:         16
        .size:           8
        .value_kind:     global_buffer
      - .actual_access:  read_only
        .address_space:  global
        .offset:         24
        .size:           8
        .value_kind:     global_buffer
      - .address_space:  global
        .offset:         32
        .size:           8
        .value_kind:     global_buffer
      - .offset:         40
        .size:           4
        .value_kind:     by_value
      - .offset:         44
        .size:           4
        .value_kind:     by_value
      - .offset:         48
        .size:           4
        .value_kind:     by_value
      - .actual_access:  read_only
        .address_space:  global
        .offset:         56
        .size:           8
        .value_kind:     global_buffer
      - .offset:         64
        .size:           8
        .value_kind:     by_value
      - .offset:         72
        .size:           4
        .value_kind:     hidden_block_count_x
      - .offset:         76
        .size:           4
        .value_kind:     hidden_block_count_y
      - .offset:         80
        .size:           4
        .value_kind:     hidden_block_count_z
      - .offset:         84
        .size:           2
        .value_kind:     hidden_group_size_x
      - .offset:         86
        .size:           2
        .value_kind:     hidden_group_size_y
      - .offset:         88
        .size:           2
        .value_kind:     hidden_group_size_z
      - .offset:         90
        .size:           2
        .value_kind:     hidden_remainder_x
      - .offset:         92
        .size:           2
        .value_kind:     hidden_remainder_y
      - .offset:         94
        .size:           2
        .value_kind:     hidden_remainder_z
      - .offset:         112
        .size:           8
        .value_kind:     hidden_global_offset_x
      - .offset:         120
        .size:           8
        .value_kind:     hidden_global_offset_y
      - .offset:         128
        .size:           8
        .value_kind:     hidden_global_offset_z
      - .offset:         136
        .size:           2
        .value_kind:     hidden_grid_dims
    .group_segment_fixed_size: 4164
    .kernarg_segment_align: 8
    .kernarg_segment_size: 328
    .language:       OpenCL C
    .language_version:
      - 2
      - 0
    .max_flat_workgroup_size: 1024
    .name:           _ZN4vllm31rms_norm_per_block_quant_kernelIN3c104HalfENS1_13Float8_e4m3fnELb0ELb0ELi64EEEvPT0_PfPKT_S9_PKffiiPS7_l
    .private_segment_fixed_size: 0
    .sgpr_count:     50
    .sgpr_spill_count: 0
    .symbol:         _ZN4vllm31rms_norm_per_block_quant_kernelIN3c104HalfENS1_13Float8_e4m3fnELb0ELb0ELi64EEEvPT0_PfPKT_S9_PKffiiPS7_l.kd
    .uniform_work_group_size: 1
    .uses_dynamic_stack: false
    .vgpr_count:     40
    .vgpr_spill_count: 0
    .wavefront_size: 64
  - .agpr_count:     0
    .args:
      - .actual_access:  write_only
        .address_space:  global
        .offset:         0
        .size:           8
        .value_kind:     global_buffer
      - .address_space:  global
        .offset:         8
        .size:           8
        .value_kind:     global_buffer
      - .actual_access:  read_only
        .address_space:  global
        .offset:         16
        .size:           8
        .value_kind:     global_buffer
      - .actual_access:  read_only
        .address_space:  global
        .offset:         24
        .size:           8
        .value_kind:     global_buffer
      - .address_space:  global
        .offset:         32
        .size:           8
        .value_kind:     global_buffer
      - .offset:         40
        .size:           4
        .value_kind:     by_value
      - .offset:         44
        .size:           4
        .value_kind:     by_value
      - .offset:         48
        .size:           4
        .value_kind:     by_value
      - .actual_access:  read_only
        .address_space:  global
        .offset:         56
        .size:           8
        .value_kind:     global_buffer
      - .offset:         64
        .size:           8
        .value_kind:     by_value
      - .offset:         72
        .size:           4
        .value_kind:     hidden_block_count_x
      - .offset:         76
        .size:           4
        .value_kind:     hidden_block_count_y
      - .offset:         80
        .size:           4
        .value_kind:     hidden_block_count_z
      - .offset:         84
        .size:           2
        .value_kind:     hidden_group_size_x
      - .offset:         86
        .size:           2
        .value_kind:     hidden_group_size_y
      - .offset:         88
        .size:           2
        .value_kind:     hidden_group_size_z
      - .offset:         90
        .size:           2
        .value_kind:     hidden_remainder_x
      - .offset:         92
        .size:           2
        .value_kind:     hidden_remainder_y
      - .offset:         94
        .size:           2
        .value_kind:     hidden_remainder_z
      - .offset:         112
        .size:           8
        .value_kind:     hidden_global_offset_x
      - .offset:         120
        .size:           8
        .value_kind:     hidden_global_offset_y
      - .offset:         128
        .size:           8
        .value_kind:     hidden_global_offset_z
      - .offset:         136
        .size:           2
        .value_kind:     hidden_grid_dims
    .group_segment_fixed_size: 4164
    .kernarg_segment_align: 8
    .kernarg_segment_size: 328
    .language:       OpenCL C
    .language_version:
      - 2
      - 0
    .max_flat_workgroup_size: 1024
    .name:           _ZN4vllm31rms_norm_per_block_quant_kernelIN3c104HalfENS1_15Float8_e4m3fnuzELb0ELb0ELi64EEEvPT0_PfPKT_S9_PKffiiPS7_l
    .private_segment_fixed_size: 0
    .sgpr_count:     50
    .sgpr_spill_count: 0
    .symbol:         _ZN4vllm31rms_norm_per_block_quant_kernelIN3c104HalfENS1_15Float8_e4m3fnuzELb0ELb0ELi64EEEvPT0_PfPKT_S9_PKffiiPS7_l.kd
    .uniform_work_group_size: 1
    .uses_dynamic_stack: false
    .vgpr_count:     40
    .vgpr_spill_count: 0
    .wavefront_size: 64
  - .agpr_count:     0
    .args:
      - .actual_access:  write_only
        .address_space:  global
        .offset:         0
        .size:           8
        .value_kind:     global_buffer
      - .address_space:  global
        .offset:         8
        .size:           8
        .value_kind:     global_buffer
      - .actual_access:  read_only
        .address_space:  global
        .offset:         16
        .size:           8
        .value_kind:     global_buffer
      - .actual_access:  read_only
        .address_space:  global
        .offset:         24
        .size:           8
        .value_kind:     global_buffer
      - .address_space:  global
        .offset:         32
        .size:           8
        .value_kind:     global_buffer
      - .offset:         40
        .size:           4
        .value_kind:     by_value
      - .offset:         44
        .size:           4
        .value_kind:     by_value
      - .offset:         48
        .size:           4
        .value_kind:     by_value
      - .actual_access:  read_only
        .address_space:  global
        .offset:         56
        .size:           8
        .value_kind:     global_buffer
      - .offset:         64
        .size:           8
        .value_kind:     by_value
      - .offset:         72
        .size:           4
        .value_kind:     hidden_block_count_x
      - .offset:         76
        .size:           4
        .value_kind:     hidden_block_count_y
      - .offset:         80
        .size:           4
        .value_kind:     hidden_block_count_z
      - .offset:         84
        .size:           2
        .value_kind:     hidden_group_size_x
      - .offset:         86
        .size:           2
        .value_kind:     hidden_group_size_y
      - .offset:         88
        .size:           2
        .value_kind:     hidden_group_size_z
      - .offset:         90
        .size:           2
        .value_kind:     hidden_remainder_x
      - .offset:         92
        .size:           2
        .value_kind:     hidden_remainder_y
      - .offset:         94
        .size:           2
        .value_kind:     hidden_remainder_z
      - .offset:         112
        .size:           8
        .value_kind:     hidden_global_offset_x
      - .offset:         120
        .size:           8
        .value_kind:     hidden_global_offset_y
      - .offset:         128
        .size:           8
        .value_kind:     hidden_global_offset_z
      - .offset:         136
        .size:           2
        .value_kind:     hidden_grid_dims
    .group_segment_fixed_size: 4164
    .kernarg_segment_align: 8
    .kernarg_segment_size: 328
    .language:       OpenCL C
    .language_version:
      - 2
      - 0
    .max_flat_workgroup_size: 1024
    .name:           _ZN4vllm31rms_norm_per_block_quant_kernelIN3c104HalfEaLb0ELb0ELi64EEEvPT0_PfPKT_S8_PKffiiPS6_l
    .private_segment_fixed_size: 0
    .sgpr_count:     50
    .sgpr_spill_count: 0
    .symbol:         _ZN4vllm31rms_norm_per_block_quant_kernelIN3c104HalfEaLb0ELb0ELi64EEEvPT0_PfPKT_S8_PKffiiPS6_l.kd
    .uniform_work_group_size: 1
    .uses_dynamic_stack: false
    .vgpr_count:     40
    .vgpr_spill_count: 0
    .wavefront_size: 64
  - .agpr_count:     0
    .args:
      - .actual_access:  write_only
        .address_space:  global
        .offset:         0
        .size:           8
        .value_kind:     global_buffer
      - .address_space:  global
        .offset:         8
        .size:           8
        .value_kind:     global_buffer
      - .actual_access:  read_only
        .address_space:  global
        .offset:         16
        .size:           8
        .value_kind:     global_buffer
      - .actual_access:  read_only
        .address_space:  global
        .offset:         24
        .size:           8
        .value_kind:     global_buffer
      - .address_space:  global
        .offset:         32
        .size:           8
        .value_kind:     global_buffer
      - .offset:         40
        .size:           4
        .value_kind:     by_value
      - .offset:         44
        .size:           4
        .value_kind:     by_value
      - .offset:         48
        .size:           4
        .value_kind:     by_value
      - .address_space:  global
        .offset:         56
        .size:           8
        .value_kind:     global_buffer
      - .offset:         64
        .size:           8
        .value_kind:     by_value
      - .offset:         72
        .size:           4
        .value_kind:     hidden_block_count_x
      - .offset:         76
        .size:           4
        .value_kind:     hidden_block_count_y
      - .offset:         80
        .size:           4
        .value_kind:     hidden_block_count_z
      - .offset:         84
        .size:           2
        .value_kind:     hidden_group_size_x
      - .offset:         86
        .size:           2
        .value_kind:     hidden_group_size_y
      - .offset:         88
        .size:           2
        .value_kind:     hidden_group_size_z
      - .offset:         90
        .size:           2
        .value_kind:     hidden_remainder_x
      - .offset:         92
        .size:           2
        .value_kind:     hidden_remainder_y
      - .offset:         94
        .size:           2
        .value_kind:     hidden_remainder_z
      - .offset:         112
        .size:           8
        .value_kind:     hidden_global_offset_x
      - .offset:         120
        .size:           8
        .value_kind:     hidden_global_offset_y
      - .offset:         128
        .size:           8
        .value_kind:     hidden_global_offset_z
      - .offset:         136
        .size:           2
        .value_kind:     hidden_grid_dims
    .group_segment_fixed_size: 4164
    .kernarg_segment_align: 8
    .kernarg_segment_size: 328
    .language:       OpenCL C
    .language_version:
      - 2
      - 0
    .max_flat_workgroup_size: 1024
    .name:           _ZN4vllm31rms_norm_per_block_quant_kernelIN3c108BFloat16ENS1_13Float8_e4m3fnELb1ELb1ELi128EEEvPT0_PfPKT_S9_PKffiiPS7_l
    .private_segment_fixed_size: 0
    .sgpr_count:     54
    .sgpr_spill_count: 0
    .symbol:         _ZN4vllm31rms_norm_per_block_quant_kernelIN3c108BFloat16ENS1_13Float8_e4m3fnELb1ELb1ELi128EEEvPT0_PfPKT_S9_PKffiiPS7_l.kd
    .uniform_work_group_size: 1
    .uses_dynamic_stack: false
    .vgpr_count:     55
    .vgpr_spill_count: 0
    .wavefront_size: 64
  - .agpr_count:     0
    .args:
      - .actual_access:  write_only
        .address_space:  global
        .offset:         0
        .size:           8
        .value_kind:     global_buffer
      - .address_space:  global
        .offset:         8
        .size:           8
        .value_kind:     global_buffer
      - .actual_access:  read_only
        .address_space:  global
        .offset:         16
        .size:           8
        .value_kind:     global_buffer
      - .actual_access:  read_only
        .address_space:  global
        .offset:         24
        .size:           8
        .value_kind:     global_buffer
      - .address_space:  global
        .offset:         32
        .size:           8
        .value_kind:     global_buffer
      - .offset:         40
        .size:           4
        .value_kind:     by_value
      - .offset:         44
        .size:           4
        .value_kind:     by_value
      - .offset:         48
        .size:           4
        .value_kind:     by_value
      - .address_space:  global
        .offset:         56
        .size:           8
        .value_kind:     global_buffer
      - .offset:         64
        .size:           8
        .value_kind:     by_value
      - .offset:         72
        .size:           4
        .value_kind:     hidden_block_count_x
      - .offset:         76
        .size:           4
        .value_kind:     hidden_block_count_y
      - .offset:         80
        .size:           4
        .value_kind:     hidden_block_count_z
      - .offset:         84
        .size:           2
        .value_kind:     hidden_group_size_x
      - .offset:         86
        .size:           2
        .value_kind:     hidden_group_size_y
      - .offset:         88
        .size:           2
        .value_kind:     hidden_group_size_z
      - .offset:         90
        .size:           2
        .value_kind:     hidden_remainder_x
      - .offset:         92
        .size:           2
        .value_kind:     hidden_remainder_y
      - .offset:         94
        .size:           2
        .value_kind:     hidden_remainder_z
      - .offset:         112
        .size:           8
        .value_kind:     hidden_global_offset_x
      - .offset:         120
        .size:           8
        .value_kind:     hidden_global_offset_y
      - .offset:         128
        .size:           8
        .value_kind:     hidden_global_offset_z
      - .offset:         136
        .size:           2
        .value_kind:     hidden_grid_dims
    .group_segment_fixed_size: 4164
    .kernarg_segment_align: 8
    .kernarg_segment_size: 328
    .language:       OpenCL C
    .language_version:
      - 2
      - 0
    .max_flat_workgroup_size: 1024
    .name:           _ZN4vllm31rms_norm_per_block_quant_kernelIN3c108BFloat16ENS1_15Float8_e4m3fnuzELb1ELb1ELi128EEEvPT0_PfPKT_S9_PKffiiPS7_l
    .private_segment_fixed_size: 0
    .sgpr_count:     54
    .sgpr_spill_count: 0
    .symbol:         _ZN4vllm31rms_norm_per_block_quant_kernelIN3c108BFloat16ENS1_15Float8_e4m3fnuzELb1ELb1ELi128EEEvPT0_PfPKT_S9_PKffiiPS7_l.kd
    .uniform_work_group_size: 1
    .uses_dynamic_stack: false
    .vgpr_count:     55
    .vgpr_spill_count: 0
    .wavefront_size: 64
  - .agpr_count:     0
    .args:
      - .actual_access:  write_only
        .address_space:  global
        .offset:         0
        .size:           8
        .value_kind:     global_buffer
      - .address_space:  global
        .offset:         8
        .size:           8
        .value_kind:     global_buffer
      - .actual_access:  read_only
        .address_space:  global
        .offset:         16
        .size:           8
        .value_kind:     global_buffer
      - .actual_access:  read_only
        .address_space:  global
        .offset:         24
        .size:           8
        .value_kind:     global_buffer
      - .address_space:  global
        .offset:         32
        .size:           8
        .value_kind:     global_buffer
      - .offset:         40
        .size:           4
        .value_kind:     by_value
      - .offset:         44
        .size:           4
        .value_kind:     by_value
      - .offset:         48
        .size:           4
        .value_kind:     by_value
      - .address_space:  global
        .offset:         56
        .size:           8
        .value_kind:     global_buffer
      - .offset:         64
        .size:           8
        .value_kind:     by_value
      - .offset:         72
        .size:           4
        .value_kind:     hidden_block_count_x
      - .offset:         76
        .size:           4
        .value_kind:     hidden_block_count_y
      - .offset:         80
        .size:           4
        .value_kind:     hidden_block_count_z
      - .offset:         84
        .size:           2
        .value_kind:     hidden_group_size_x
      - .offset:         86
        .size:           2
        .value_kind:     hidden_group_size_y
      - .offset:         88
        .size:           2
        .value_kind:     hidden_group_size_z
      - .offset:         90
        .size:           2
        .value_kind:     hidden_remainder_x
      - .offset:         92
        .size:           2
        .value_kind:     hidden_remainder_y
      - .offset:         94
        .size:           2
        .value_kind:     hidden_remainder_z
      - .offset:         112
        .size:           8
        .value_kind:     hidden_global_offset_x
      - .offset:         120
        .size:           8
        .value_kind:     hidden_global_offset_y
      - .offset:         128
        .size:           8
        .value_kind:     hidden_global_offset_z
      - .offset:         136
        .size:           2
        .value_kind:     hidden_grid_dims
    .group_segment_fixed_size: 4164
    .kernarg_segment_align: 8
    .kernarg_segment_size: 328
    .language:       OpenCL C
    .language_version:
      - 2
      - 0
    .max_flat_workgroup_size: 1024
    .name:           _ZN4vllm31rms_norm_per_block_quant_kernelIN3c108BFloat16EaLb1ELb1ELi128EEEvPT0_PfPKT_S8_PKffiiPS6_l
    .private_segment_fixed_size: 0
    .sgpr_count:     54
    .sgpr_spill_count: 0
    .symbol:         _ZN4vllm31rms_norm_per_block_quant_kernelIN3c108BFloat16EaLb1ELb1ELi128EEEvPT0_PfPKT_S8_PKffiiPS6_l.kd
    .uniform_work_group_size: 1
    .uses_dynamic_stack: false
    .vgpr_count:     55
    .vgpr_spill_count: 0
    .wavefront_size: 64
  - .agpr_count:     0
    .args:
      - .actual_access:  write_only
        .address_space:  global
        .offset:         0
        .size:           8
        .value_kind:     global_buffer
      - .address_space:  global
        .offset:         8
        .size:           8
        .value_kind:     global_buffer
      - .actual_access:  read_only
        .address_space:  global
        .offset:         16
        .size:           8
        .value_kind:     global_buffer
      - .actual_access:  read_only
        .address_space:  global
        .offset:         24
        .size:           8
        .value_kind:     global_buffer
      - .address_space:  global
        .offset:         32
        .size:           8
        .value_kind:     global_buffer
      - .offset:         40
        .size:           4
        .value_kind:     by_value
      - .offset:         44
        .size:           4
        .value_kind:     by_value
      - .offset:         48
        .size:           4
        .value_kind:     by_value
      - .address_space:  global
        .offset:         56
        .size:           8
        .value_kind:     global_buffer
      - .offset:         64
        .size:           8
        .value_kind:     by_value
      - .offset:         72
        .size:           4
        .value_kind:     hidden_block_count_x
      - .offset:         76
        .size:           4
        .value_kind:     hidden_block_count_y
      - .offset:         80
        .size:           4
        .value_kind:     hidden_block_count_z
      - .offset:         84
        .size:           2
        .value_kind:     hidden_group_size_x
      - .offset:         86
        .size:           2
        .value_kind:     hidden_group_size_y
      - .offset:         88
        .size:           2
        .value_kind:     hidden_group_size_z
      - .offset:         90
        .size:           2
        .value_kind:     hidden_remainder_x
      - .offset:         92
        .size:           2
        .value_kind:     hidden_remainder_y
      - .offset:         94
        .size:           2
        .value_kind:     hidden_remainder_z
      - .offset:         112
        .size:           8
        .value_kind:     hidden_global_offset_x
      - .offset:         120
        .size:           8
        .value_kind:     hidden_global_offset_y
      - .offset:         128
        .size:           8
        .value_kind:     hidden_global_offset_z
      - .offset:         136
        .size:           2
        .value_kind:     hidden_grid_dims
    .group_segment_fixed_size: 4164
    .kernarg_segment_align: 8
    .kernarg_segment_size: 328
    .language:       OpenCL C
    .language_version:
      - 2
      - 0
    .max_flat_workgroup_size: 1024
    .name:           _ZN4vllm31rms_norm_per_block_quant_kernelIN3c108BFloat16ENS1_13Float8_e4m3fnELb1ELb0ELi128EEEvPT0_PfPKT_S9_PKffiiPS7_l
    .private_segment_fixed_size: 0
    .sgpr_count:     53
    .sgpr_spill_count: 0
    .symbol:         _ZN4vllm31rms_norm_per_block_quant_kernelIN3c108BFloat16ENS1_13Float8_e4m3fnELb1ELb0ELi128EEEvPT0_PfPKT_S9_PKffiiPS7_l.kd
    .uniform_work_group_size: 1
    .uses_dynamic_stack: false
    .vgpr_count:     55
    .vgpr_spill_count: 0
    .wavefront_size: 64
  - .agpr_count:     0
    .args:
      - .actual_access:  write_only
        .address_space:  global
        .offset:         0
        .size:           8
        .value_kind:     global_buffer
      - .address_space:  global
        .offset:         8
        .size:           8
        .value_kind:     global_buffer
      - .actual_access:  read_only
        .address_space:  global
        .offset:         16
        .size:           8
        .value_kind:     global_buffer
      - .actual_access:  read_only
        .address_space:  global
        .offset:         24
        .size:           8
        .value_kind:     global_buffer
      - .address_space:  global
        .offset:         32
        .size:           8
        .value_kind:     global_buffer
      - .offset:         40
        .size:           4
        .value_kind:     by_value
      - .offset:         44
        .size:           4
        .value_kind:     by_value
      - .offset:         48
        .size:           4
        .value_kind:     by_value
      - .address_space:  global
        .offset:         56
        .size:           8
        .value_kind:     global_buffer
      - .offset:         64
        .size:           8
        .value_kind:     by_value
      - .offset:         72
        .size:           4
        .value_kind:     hidden_block_count_x
      - .offset:         76
        .size:           4
        .value_kind:     hidden_block_count_y
      - .offset:         80
        .size:           4
        .value_kind:     hidden_block_count_z
      - .offset:         84
        .size:           2
        .value_kind:     hidden_group_size_x
      - .offset:         86
        .size:           2
        .value_kind:     hidden_group_size_y
      - .offset:         88
        .size:           2
        .value_kind:     hidden_group_size_z
      - .offset:         90
        .size:           2
        .value_kind:     hidden_remainder_x
      - .offset:         92
        .size:           2
        .value_kind:     hidden_remainder_y
      - .offset:         94
        .size:           2
        .value_kind:     hidden_remainder_z
      - .offset:         112
        .size:           8
        .value_kind:     hidden_global_offset_x
      - .offset:         120
        .size:           8
        .value_kind:     hidden_global_offset_y
      - .offset:         128
        .size:           8
        .value_kind:     hidden_global_offset_z
      - .offset:         136
        .size:           2
        .value_kind:     hidden_grid_dims
    .group_segment_fixed_size: 4164
    .kernarg_segment_align: 8
    .kernarg_segment_size: 328
    .language:       OpenCL C
    .language_version:
      - 2
      - 0
    .max_flat_workgroup_size: 1024
    .name:           _ZN4vllm31rms_norm_per_block_quant_kernelIN3c108BFloat16ENS1_15Float8_e4m3fnuzELb1ELb0ELi128EEEvPT0_PfPKT_S9_PKffiiPS7_l
    .private_segment_fixed_size: 0
    .sgpr_count:     53
    .sgpr_spill_count: 0
    .symbol:         _ZN4vllm31rms_norm_per_block_quant_kernelIN3c108BFloat16ENS1_15Float8_e4m3fnuzELb1ELb0ELi128EEEvPT0_PfPKT_S9_PKffiiPS7_l.kd
    .uniform_work_group_size: 1
    .uses_dynamic_stack: false
    .vgpr_count:     55
    .vgpr_spill_count: 0
    .wavefront_size: 64
  - .agpr_count:     0
    .args:
      - .actual_access:  write_only
        .address_space:  global
        .offset:         0
        .size:           8
        .value_kind:     global_buffer
      - .address_space:  global
        .offset:         8
        .size:           8
        .value_kind:     global_buffer
      - .actual_access:  read_only
        .address_space:  global
        .offset:         16
        .size:           8
        .value_kind:     global_buffer
      - .actual_access:  read_only
        .address_space:  global
        .offset:         24
        .size:           8
        .value_kind:     global_buffer
      - .address_space:  global
        .offset:         32
        .size:           8
        .value_kind:     global_buffer
      - .offset:         40
        .size:           4
        .value_kind:     by_value
      - .offset:         44
        .size:           4
        .value_kind:     by_value
      - .offset:         48
        .size:           4
        .value_kind:     by_value
      - .address_space:  global
        .offset:         56
        .size:           8
        .value_kind:     global_buffer
      - .offset:         64
        .size:           8
        .value_kind:     by_value
      - .offset:         72
        .size:           4
        .value_kind:     hidden_block_count_x
      - .offset:         76
        .size:           4
        .value_kind:     hidden_block_count_y
      - .offset:         80
        .size:           4
        .value_kind:     hidden_block_count_z
      - .offset:         84
        .size:           2
        .value_kind:     hidden_group_size_x
      - .offset:         86
        .size:           2
        .value_kind:     hidden_group_size_y
      - .offset:         88
        .size:           2
        .value_kind:     hidden_group_size_z
      - .offset:         90
        .size:           2
        .value_kind:     hidden_remainder_x
      - .offset:         92
        .size:           2
        .value_kind:     hidden_remainder_y
      - .offset:         94
        .size:           2
        .value_kind:     hidden_remainder_z
      - .offset:         112
        .size:           8
        .value_kind:     hidden_global_offset_x
      - .offset:         120
        .size:           8
        .value_kind:     hidden_global_offset_y
      - .offset:         128
        .size:           8
        .value_kind:     hidden_global_offset_z
      - .offset:         136
        .size:           2
        .value_kind:     hidden_grid_dims
    .group_segment_fixed_size: 4164
    .kernarg_segment_align: 8
    .kernarg_segment_size: 328
    .language:       OpenCL C
    .language_version:
      - 2
      - 0
    .max_flat_workgroup_size: 1024
    .name:           _ZN4vllm31rms_norm_per_block_quant_kernelIN3c108BFloat16EaLb1ELb0ELi128EEEvPT0_PfPKT_S8_PKffiiPS6_l
    .private_segment_fixed_size: 0
    .sgpr_count:     53
    .sgpr_spill_count: 0
    .symbol:         _ZN4vllm31rms_norm_per_block_quant_kernelIN3c108BFloat16EaLb1ELb0ELi128EEEvPT0_PfPKT_S8_PKffiiPS6_l.kd
    .uniform_work_group_size: 1
    .uses_dynamic_stack: false
    .vgpr_count:     55
    .vgpr_spill_count: 0
    .wavefront_size: 64
  - .agpr_count:     0
    .args:
      - .actual_access:  write_only
        .address_space:  global
        .offset:         0
        .size:           8
        .value_kind:     global_buffer
      - .address_space:  global
        .offset:         8
        .size:           8
        .value_kind:     global_buffer
      - .actual_access:  read_only
        .address_space:  global
        .offset:         16
        .size:           8
        .value_kind:     global_buffer
      - .actual_access:  read_only
        .address_space:  global
        .offset:         24
        .size:           8
        .value_kind:     global_buffer
      - .address_space:  global
        .offset:         32
        .size:           8
        .value_kind:     global_buffer
      - .offset:         40
        .size:           4
        .value_kind:     by_value
      - .offset:         44
        .size:           4
        .value_kind:     by_value
      - .offset:         48
        .size:           4
        .value_kind:     by_value
      - .actual_access:  read_only
        .address_space:  global
        .offset:         56
        .size:           8
        .value_kind:     global_buffer
      - .offset:         64
        .size:           8
        .value_kind:     by_value
      - .offset:         72
        .size:           4
        .value_kind:     hidden_block_count_x
      - .offset:         76
        .size:           4
        .value_kind:     hidden_block_count_y
      - .offset:         80
        .size:           4
        .value_kind:     hidden_block_count_z
      - .offset:         84
        .size:           2
        .value_kind:     hidden_group_size_x
      - .offset:         86
        .size:           2
        .value_kind:     hidden_group_size_y
      - .offset:         88
        .size:           2
        .value_kind:     hidden_group_size_z
      - .offset:         90
        .size:           2
        .value_kind:     hidden_remainder_x
      - .offset:         92
        .size:           2
        .value_kind:     hidden_remainder_y
      - .offset:         94
        .size:           2
        .value_kind:     hidden_remainder_z
      - .offset:         112
        .size:           8
        .value_kind:     hidden_global_offset_x
      - .offset:         120
        .size:           8
        .value_kind:     hidden_global_offset_y
      - .offset:         128
        .size:           8
        .value_kind:     hidden_global_offset_z
      - .offset:         136
        .size:           2
        .value_kind:     hidden_grid_dims
    .group_segment_fixed_size: 4164
    .kernarg_segment_align: 8
    .kernarg_segment_size: 328
    .language:       OpenCL C
    .language_version:
      - 2
      - 0
    .max_flat_workgroup_size: 1024
    .name:           _ZN4vllm31rms_norm_per_block_quant_kernelIN3c108BFloat16ENS1_13Float8_e4m3fnELb0ELb1ELi128EEEvPT0_PfPKT_S9_PKffiiPS7_l
    .private_segment_fixed_size: 0
    .sgpr_count:     49
    .sgpr_spill_count: 0
    .symbol:         _ZN4vllm31rms_norm_per_block_quant_kernelIN3c108BFloat16ENS1_13Float8_e4m3fnELb0ELb1ELi128EEEvPT0_PfPKT_S9_PKffiiPS7_l.kd
    .uniform_work_group_size: 1
    .uses_dynamic_stack: false
    .vgpr_count:     48
    .vgpr_spill_count: 0
    .wavefront_size: 64
  - .agpr_count:     0
    .args:
      - .actual_access:  write_only
        .address_space:  global
        .offset:         0
        .size:           8
        .value_kind:     global_buffer
      - .address_space:  global
        .offset:         8
        .size:           8
        .value_kind:     global_buffer
      - .actual_access:  read_only
        .address_space:  global
        .offset:         16
        .size:           8
        .value_kind:     global_buffer
      - .actual_access:  read_only
        .address_space:  global
        .offset:         24
        .size:           8
        .value_kind:     global_buffer
      - .address_space:  global
        .offset:         32
        .size:           8
        .value_kind:     global_buffer
      - .offset:         40
        .size:           4
        .value_kind:     by_value
      - .offset:         44
        .size:           4
        .value_kind:     by_value
      - .offset:         48
        .size:           4
        .value_kind:     by_value
      - .actual_access:  read_only
        .address_space:  global
        .offset:         56
        .size:           8
        .value_kind:     global_buffer
      - .offset:         64
        .size:           8
        .value_kind:     by_value
      - .offset:         72
        .size:           4
        .value_kind:     hidden_block_count_x
      - .offset:         76
        .size:           4
        .value_kind:     hidden_block_count_y
      - .offset:         80
        .size:           4
        .value_kind:     hidden_block_count_z
      - .offset:         84
        .size:           2
        .value_kind:     hidden_group_size_x
      - .offset:         86
        .size:           2
        .value_kind:     hidden_group_size_y
      - .offset:         88
        .size:           2
        .value_kind:     hidden_group_size_z
      - .offset:         90
        .size:           2
        .value_kind:     hidden_remainder_x
      - .offset:         92
        .size:           2
        .value_kind:     hidden_remainder_y
      - .offset:         94
        .size:           2
        .value_kind:     hidden_remainder_z
      - .offset:         112
        .size:           8
        .value_kind:     hidden_global_offset_x
      - .offset:         120
        .size:           8
        .value_kind:     hidden_global_offset_y
      - .offset:         128
        .size:           8
        .value_kind:     hidden_global_offset_z
      - .offset:         136
        .size:           2
        .value_kind:     hidden_grid_dims
    .group_segment_fixed_size: 4164
    .kernarg_segment_align: 8
    .kernarg_segment_size: 328
    .language:       OpenCL C
    .language_version:
      - 2
      - 0
    .max_flat_workgroup_size: 1024
    .name:           _ZN4vllm31rms_norm_per_block_quant_kernelIN3c108BFloat16ENS1_15Float8_e4m3fnuzELb0ELb1ELi128EEEvPT0_PfPKT_S9_PKffiiPS7_l
    .private_segment_fixed_size: 0
    .sgpr_count:     49
    .sgpr_spill_count: 0
    .symbol:         _ZN4vllm31rms_norm_per_block_quant_kernelIN3c108BFloat16ENS1_15Float8_e4m3fnuzELb0ELb1ELi128EEEvPT0_PfPKT_S9_PKffiiPS7_l.kd
    .uniform_work_group_size: 1
    .uses_dynamic_stack: false
    .vgpr_count:     48
    .vgpr_spill_count: 0
    .wavefront_size: 64
  - .agpr_count:     0
    .args:
      - .actual_access:  write_only
        .address_space:  global
        .offset:         0
        .size:           8
        .value_kind:     global_buffer
      - .address_space:  global
        .offset:         8
        .size:           8
        .value_kind:     global_buffer
      - .actual_access:  read_only
        .address_space:  global
        .offset:         16
        .size:           8
        .value_kind:     global_buffer
      - .actual_access:  read_only
        .address_space:  global
        .offset:         24
        .size:           8
        .value_kind:     global_buffer
      - .address_space:  global
        .offset:         32
        .size:           8
        .value_kind:     global_buffer
      - .offset:         40
        .size:           4
        .value_kind:     by_value
      - .offset:         44
        .size:           4
        .value_kind:     by_value
      - .offset:         48
        .size:           4
        .value_kind:     by_value
      - .actual_access:  read_only
        .address_space:  global
        .offset:         56
        .size:           8
        .value_kind:     global_buffer
      - .offset:         64
        .size:           8
        .value_kind:     by_value
      - .offset:         72
        .size:           4
        .value_kind:     hidden_block_count_x
      - .offset:         76
        .size:           4
        .value_kind:     hidden_block_count_y
      - .offset:         80
        .size:           4
        .value_kind:     hidden_block_count_z
      - .offset:         84
        .size:           2
        .value_kind:     hidden_group_size_x
      - .offset:         86
        .size:           2
        .value_kind:     hidden_group_size_y
      - .offset:         88
        .size:           2
        .value_kind:     hidden_group_size_z
      - .offset:         90
        .size:           2
        .value_kind:     hidden_remainder_x
      - .offset:         92
        .size:           2
        .value_kind:     hidden_remainder_y
      - .offset:         94
        .size:           2
        .value_kind:     hidden_remainder_z
      - .offset:         112
        .size:           8
        .value_kind:     hidden_global_offset_x
      - .offset:         120
        .size:           8
        .value_kind:     hidden_global_offset_y
      - .offset:         128
        .size:           8
        .value_kind:     hidden_global_offset_z
      - .offset:         136
        .size:           2
        .value_kind:     hidden_grid_dims
    .group_segment_fixed_size: 4164
    .kernarg_segment_align: 8
    .kernarg_segment_size: 328
    .language:       OpenCL C
    .language_version:
      - 2
      - 0
    .max_flat_workgroup_size: 1024
    .name:           _ZN4vllm31rms_norm_per_block_quant_kernelIN3c108BFloat16EaLb0ELb1ELi128EEEvPT0_PfPKT_S8_PKffiiPS6_l
    .private_segment_fixed_size: 0
    .sgpr_count:     49
    .sgpr_spill_count: 0
    .symbol:         _ZN4vllm31rms_norm_per_block_quant_kernelIN3c108BFloat16EaLb0ELb1ELi128EEEvPT0_PfPKT_S8_PKffiiPS6_l.kd
    .uniform_work_group_size: 1
    .uses_dynamic_stack: false
    .vgpr_count:     48
    .vgpr_spill_count: 0
    .wavefront_size: 64
  - .agpr_count:     0
    .args:
      - .actual_access:  write_only
        .address_space:  global
        .offset:         0
        .size:           8
        .value_kind:     global_buffer
      - .address_space:  global
        .offset:         8
        .size:           8
        .value_kind:     global_buffer
      - .actual_access:  read_only
        .address_space:  global
        .offset:         16
        .size:           8
        .value_kind:     global_buffer
      - .actual_access:  read_only
        .address_space:  global
        .offset:         24
        .size:           8
        .value_kind:     global_buffer
      - .address_space:  global
        .offset:         32
        .size:           8
        .value_kind:     global_buffer
      - .offset:         40
        .size:           4
        .value_kind:     by_value
      - .offset:         44
        .size:           4
        .value_kind:     by_value
      - .offset:         48
        .size:           4
        .value_kind:     by_value
      - .actual_access:  read_only
        .address_space:  global
        .offset:         56
        .size:           8
        .value_kind:     global_buffer
      - .offset:         64
        .size:           8
        .value_kind:     by_value
      - .offset:         72
        .size:           4
        .value_kind:     hidden_block_count_x
      - .offset:         76
        .size:           4
        .value_kind:     hidden_block_count_y
      - .offset:         80
        .size:           4
        .value_kind:     hidden_block_count_z
      - .offset:         84
        .size:           2
        .value_kind:     hidden_group_size_x
      - .offset:         86
        .size:           2
        .value_kind:     hidden_group_size_y
      - .offset:         88
        .size:           2
        .value_kind:     hidden_group_size_z
      - .offset:         90
        .size:           2
        .value_kind:     hidden_remainder_x
      - .offset:         92
        .size:           2
        .value_kind:     hidden_remainder_y
      - .offset:         94
        .size:           2
        .value_kind:     hidden_remainder_z
      - .offset:         112
        .size:           8
        .value_kind:     hidden_global_offset_x
      - .offset:         120
        .size:           8
        .value_kind:     hidden_global_offset_y
      - .offset:         128
        .size:           8
        .value_kind:     hidden_global_offset_z
      - .offset:         136
        .size:           2
        .value_kind:     hidden_grid_dims
    .group_segment_fixed_size: 4164
    .kernarg_segment_align: 8
    .kernarg_segment_size: 328
    .language:       OpenCL C
    .language_version:
      - 2
      - 0
    .max_flat_workgroup_size: 1024
    .name:           _ZN4vllm31rms_norm_per_block_quant_kernelIN3c108BFloat16ENS1_13Float8_e4m3fnELb0ELb0ELi128EEEvPT0_PfPKT_S9_PKffiiPS7_l
    .private_segment_fixed_size: 0
    .sgpr_count:     48
    .sgpr_spill_count: 0
    .symbol:         _ZN4vllm31rms_norm_per_block_quant_kernelIN3c108BFloat16ENS1_13Float8_e4m3fnELb0ELb0ELi128EEEvPT0_PfPKT_S9_PKffiiPS7_l.kd
    .uniform_work_group_size: 1
    .uses_dynamic_stack: false
    .vgpr_count:     48
    .vgpr_spill_count: 0
    .wavefront_size: 64
  - .agpr_count:     0
    .args:
      - .actual_access:  write_only
        .address_space:  global
        .offset:         0
        .size:           8
        .value_kind:     global_buffer
      - .address_space:  global
        .offset:         8
        .size:           8
        .value_kind:     global_buffer
      - .actual_access:  read_only
        .address_space:  global
        .offset:         16
        .size:           8
        .value_kind:     global_buffer
      - .actual_access:  read_only
        .address_space:  global
        .offset:         24
        .size:           8
        .value_kind:     global_buffer
      - .address_space:  global
        .offset:         32
        .size:           8
        .value_kind:     global_buffer
      - .offset:         40
        .size:           4
        .value_kind:     by_value
      - .offset:         44
        .size:           4
        .value_kind:     by_value
      - .offset:         48
        .size:           4
        .value_kind:     by_value
      - .actual_access:  read_only
        .address_space:  global
        .offset:         56
        .size:           8
        .value_kind:     global_buffer
      - .offset:         64
        .size:           8
        .value_kind:     by_value
      - .offset:         72
        .size:           4
        .value_kind:     hidden_block_count_x
      - .offset:         76
        .size:           4
        .value_kind:     hidden_block_count_y
      - .offset:         80
        .size:           4
        .value_kind:     hidden_block_count_z
      - .offset:         84
        .size:           2
        .value_kind:     hidden_group_size_x
      - .offset:         86
        .size:           2
        .value_kind:     hidden_group_size_y
      - .offset:         88
        .size:           2
        .value_kind:     hidden_group_size_z
      - .offset:         90
        .size:           2
        .value_kind:     hidden_remainder_x
      - .offset:         92
        .size:           2
        .value_kind:     hidden_remainder_y
      - .offset:         94
        .size:           2
        .value_kind:     hidden_remainder_z
      - .offset:         112
        .size:           8
        .value_kind:     hidden_global_offset_x
      - .offset:         120
        .size:           8
        .value_kind:     hidden_global_offset_y
      - .offset:         128
        .size:           8
        .value_kind:     hidden_global_offset_z
      - .offset:         136
        .size:           2
        .value_kind:     hidden_grid_dims
    .group_segment_fixed_size: 4164
    .kernarg_segment_align: 8
    .kernarg_segment_size: 328
    .language:       OpenCL C
    .language_version:
      - 2
      - 0
    .max_flat_workgroup_size: 1024
    .name:           _ZN4vllm31rms_norm_per_block_quant_kernelIN3c108BFloat16ENS1_15Float8_e4m3fnuzELb0ELb0ELi128EEEvPT0_PfPKT_S9_PKffiiPS7_l
    .private_segment_fixed_size: 0
    .sgpr_count:     48
    .sgpr_spill_count: 0
    .symbol:         _ZN4vllm31rms_norm_per_block_quant_kernelIN3c108BFloat16ENS1_15Float8_e4m3fnuzELb0ELb0ELi128EEEvPT0_PfPKT_S9_PKffiiPS7_l.kd
    .uniform_work_group_size: 1
    .uses_dynamic_stack: false
    .vgpr_count:     48
    .vgpr_spill_count: 0
    .wavefront_size: 64
  - .agpr_count:     0
    .args:
      - .actual_access:  write_only
        .address_space:  global
        .offset:         0
        .size:           8
        .value_kind:     global_buffer
      - .address_space:  global
        .offset:         8
        .size:           8
        .value_kind:     global_buffer
      - .actual_access:  read_only
        .address_space:  global
        .offset:         16
        .size:           8
        .value_kind:     global_buffer
      - .actual_access:  read_only
        .address_space:  global
        .offset:         24
        .size:           8
        .value_kind:     global_buffer
      - .address_space:  global
        .offset:         32
        .size:           8
        .value_kind:     global_buffer
      - .offset:         40
        .size:           4
        .value_kind:     by_value
      - .offset:         44
        .size:           4
        .value_kind:     by_value
      - .offset:         48
        .size:           4
        .value_kind:     by_value
      - .actual_access:  read_only
        .address_space:  global
        .offset:         56
        .size:           8
        .value_kind:     global_buffer
      - .offset:         64
        .size:           8
        .value_kind:     by_value
      - .offset:         72
        .size:           4
        .value_kind:     hidden_block_count_x
      - .offset:         76
        .size:           4
        .value_kind:     hidden_block_count_y
      - .offset:         80
        .size:           4
        .value_kind:     hidden_block_count_z
      - .offset:         84
        .size:           2
        .value_kind:     hidden_group_size_x
      - .offset:         86
        .size:           2
        .value_kind:     hidden_group_size_y
      - .offset:         88
        .size:           2
        .value_kind:     hidden_group_size_z
      - .offset:         90
        .size:           2
        .value_kind:     hidden_remainder_x
      - .offset:         92
        .size:           2
        .value_kind:     hidden_remainder_y
      - .offset:         94
        .size:           2
        .value_kind:     hidden_remainder_z
      - .offset:         112
        .size:           8
        .value_kind:     hidden_global_offset_x
      - .offset:         120
        .size:           8
        .value_kind:     hidden_global_offset_y
      - .offset:         128
        .size:           8
        .value_kind:     hidden_global_offset_z
      - .offset:         136
        .size:           2
        .value_kind:     hidden_grid_dims
    .group_segment_fixed_size: 4164
    .kernarg_segment_align: 8
    .kernarg_segment_size: 328
    .language:       OpenCL C
    .language_version:
      - 2
      - 0
    .max_flat_workgroup_size: 1024
    .name:           _ZN4vllm31rms_norm_per_block_quant_kernelIN3c108BFloat16EaLb0ELb0ELi128EEEvPT0_PfPKT_S8_PKffiiPS6_l
    .private_segment_fixed_size: 0
    .sgpr_count:     48
    .sgpr_spill_count: 0
    .symbol:         _ZN4vllm31rms_norm_per_block_quant_kernelIN3c108BFloat16EaLb0ELb0ELi128EEEvPT0_PfPKT_S8_PKffiiPS6_l.kd
    .uniform_work_group_size: 1
    .uses_dynamic_stack: false
    .vgpr_count:     48
    .vgpr_spill_count: 0
    .wavefront_size: 64
  - .agpr_count:     0
    .args:
      - .actual_access:  write_only
        .address_space:  global
        .offset:         0
        .size:           8
        .value_kind:     global_buffer
      - .address_space:  global
        .offset:         8
        .size:           8
        .value_kind:     global_buffer
      - .actual_access:  read_only
        .address_space:  global
        .offset:         16
        .size:           8
        .value_kind:     global_buffer
      - .actual_access:  read_only
        .address_space:  global
        .offset:         24
        .size:           8
        .value_kind:     global_buffer
      - .address_space:  global
        .offset:         32
        .size:           8
        .value_kind:     global_buffer
      - .offset:         40
        .size:           4
        .value_kind:     by_value
      - .offset:         44
        .size:           4
        .value_kind:     by_value
      - .offset:         48
        .size:           4
        .value_kind:     by_value
      - .address_space:  global
        .offset:         56
        .size:           8
        .value_kind:     global_buffer
      - .offset:         64
        .size:           8
        .value_kind:     by_value
      - .offset:         72
        .size:           4
        .value_kind:     hidden_block_count_x
      - .offset:         76
        .size:           4
        .value_kind:     hidden_block_count_y
      - .offset:         80
        .size:           4
        .value_kind:     hidden_block_count_z
      - .offset:         84
        .size:           2
        .value_kind:     hidden_group_size_x
      - .offset:         86
        .size:           2
        .value_kind:     hidden_group_size_y
      - .offset:         88
        .size:           2
        .value_kind:     hidden_group_size_z
      - .offset:         90
        .size:           2
        .value_kind:     hidden_remainder_x
      - .offset:         92
        .size:           2
        .value_kind:     hidden_remainder_y
      - .offset:         94
        .size:           2
        .value_kind:     hidden_remainder_z
      - .offset:         112
        .size:           8
        .value_kind:     hidden_global_offset_x
      - .offset:         120
        .size:           8
        .value_kind:     hidden_global_offset_y
      - .offset:         128
        .size:           8
        .value_kind:     hidden_global_offset_z
      - .offset:         136
        .size:           2
        .value_kind:     hidden_grid_dims
    .group_segment_fixed_size: 4164
    .kernarg_segment_align: 8
    .kernarg_segment_size: 328
    .language:       OpenCL C
    .language_version:
      - 2
      - 0
    .max_flat_workgroup_size: 1024
    .name:           _ZN4vllm31rms_norm_per_block_quant_kernelIN3c108BFloat16ENS1_13Float8_e4m3fnELb1ELb1ELi64EEEvPT0_PfPKT_S9_PKffiiPS7_l
    .private_segment_fixed_size: 0
    .sgpr_count:     54
    .sgpr_spill_count: 0
    .symbol:         _ZN4vllm31rms_norm_per_block_quant_kernelIN3c108BFloat16ENS1_13Float8_e4m3fnELb1ELb1ELi64EEEvPT0_PfPKT_S9_PKffiiPS7_l.kd
    .uniform_work_group_size: 1
    .uses_dynamic_stack: false
    .vgpr_count:     55
    .vgpr_spill_count: 0
    .wavefront_size: 64
  - .agpr_count:     0
    .args:
      - .actual_access:  write_only
        .address_space:  global
        .offset:         0
        .size:           8
        .value_kind:     global_buffer
      - .address_space:  global
        .offset:         8
        .size:           8
        .value_kind:     global_buffer
      - .actual_access:  read_only
        .address_space:  global
        .offset:         16
        .size:           8
        .value_kind:     global_buffer
      - .actual_access:  read_only
        .address_space:  global
        .offset:         24
        .size:           8
        .value_kind:     global_buffer
      - .address_space:  global
        .offset:         32
        .size:           8
        .value_kind:     global_buffer
      - .offset:         40
        .size:           4
        .value_kind:     by_value
      - .offset:         44
        .size:           4
        .value_kind:     by_value
      - .offset:         48
        .size:           4
        .value_kind:     by_value
      - .address_space:  global
        .offset:         56
        .size:           8
        .value_kind:     global_buffer
      - .offset:         64
        .size:           8
        .value_kind:     by_value
      - .offset:         72
        .size:           4
        .value_kind:     hidden_block_count_x
      - .offset:         76
        .size:           4
        .value_kind:     hidden_block_count_y
      - .offset:         80
        .size:           4
        .value_kind:     hidden_block_count_z
      - .offset:         84
        .size:           2
        .value_kind:     hidden_group_size_x
      - .offset:         86
        .size:           2
        .value_kind:     hidden_group_size_y
      - .offset:         88
        .size:           2
        .value_kind:     hidden_group_size_z
      - .offset:         90
        .size:           2
        .value_kind:     hidden_remainder_x
      - .offset:         92
        .size:           2
        .value_kind:     hidden_remainder_y
      - .offset:         94
        .size:           2
        .value_kind:     hidden_remainder_z
      - .offset:         112
        .size:           8
        .value_kind:     hidden_global_offset_x
      - .offset:         120
        .size:           8
        .value_kind:     hidden_global_offset_y
      - .offset:         128
        .size:           8
        .value_kind:     hidden_global_offset_z
      - .offset:         136
        .size:           2
        .value_kind:     hidden_grid_dims
    .group_segment_fixed_size: 4164
    .kernarg_segment_align: 8
    .kernarg_segment_size: 328
    .language:       OpenCL C
    .language_version:
      - 2
      - 0
    .max_flat_workgroup_size: 1024
    .name:           _ZN4vllm31rms_norm_per_block_quant_kernelIN3c108BFloat16ENS1_15Float8_e4m3fnuzELb1ELb1ELi64EEEvPT0_PfPKT_S9_PKffiiPS7_l
    .private_segment_fixed_size: 0
    .sgpr_count:     54
    .sgpr_spill_count: 0
    .symbol:         _ZN4vllm31rms_norm_per_block_quant_kernelIN3c108BFloat16ENS1_15Float8_e4m3fnuzELb1ELb1ELi64EEEvPT0_PfPKT_S9_PKffiiPS7_l.kd
    .uniform_work_group_size: 1
    .uses_dynamic_stack: false
    .vgpr_count:     55
    .vgpr_spill_count: 0
    .wavefront_size: 64
  - .agpr_count:     0
    .args:
      - .actual_access:  write_only
        .address_space:  global
        .offset:         0
        .size:           8
        .value_kind:     global_buffer
      - .address_space:  global
        .offset:         8
        .size:           8
        .value_kind:     global_buffer
      - .actual_access:  read_only
        .address_space:  global
        .offset:         16
        .size:           8
        .value_kind:     global_buffer
      - .actual_access:  read_only
        .address_space:  global
        .offset:         24
        .size:           8
        .value_kind:     global_buffer
      - .address_space:  global
        .offset:         32
        .size:           8
        .value_kind:     global_buffer
      - .offset:         40
        .size:           4
        .value_kind:     by_value
      - .offset:         44
        .size:           4
        .value_kind:     by_value
      - .offset:         48
        .size:           4
        .value_kind:     by_value
      - .address_space:  global
        .offset:         56
        .size:           8
        .value_kind:     global_buffer
      - .offset:         64
        .size:           8
        .value_kind:     by_value
      - .offset:         72
        .size:           4
        .value_kind:     hidden_block_count_x
      - .offset:         76
        .size:           4
        .value_kind:     hidden_block_count_y
      - .offset:         80
        .size:           4
        .value_kind:     hidden_block_count_z
      - .offset:         84
        .size:           2
        .value_kind:     hidden_group_size_x
      - .offset:         86
        .size:           2
        .value_kind:     hidden_group_size_y
      - .offset:         88
        .size:           2
        .value_kind:     hidden_group_size_z
      - .offset:         90
        .size:           2
        .value_kind:     hidden_remainder_x
      - .offset:         92
        .size:           2
        .value_kind:     hidden_remainder_y
      - .offset:         94
        .size:           2
        .value_kind:     hidden_remainder_z
      - .offset:         112
        .size:           8
        .value_kind:     hidden_global_offset_x
      - .offset:         120
        .size:           8
        .value_kind:     hidden_global_offset_y
      - .offset:         128
        .size:           8
        .value_kind:     hidden_global_offset_z
      - .offset:         136
        .size:           2
        .value_kind:     hidden_grid_dims
    .group_segment_fixed_size: 4164
    .kernarg_segment_align: 8
    .kernarg_segment_size: 328
    .language:       OpenCL C
    .language_version:
      - 2
      - 0
    .max_flat_workgroup_size: 1024
    .name:           _ZN4vllm31rms_norm_per_block_quant_kernelIN3c108BFloat16EaLb1ELb1ELi64EEEvPT0_PfPKT_S8_PKffiiPS6_l
    .private_segment_fixed_size: 0
    .sgpr_count:     54
    .sgpr_spill_count: 0
    .symbol:         _ZN4vllm31rms_norm_per_block_quant_kernelIN3c108BFloat16EaLb1ELb1ELi64EEEvPT0_PfPKT_S8_PKffiiPS6_l.kd
    .uniform_work_group_size: 1
    .uses_dynamic_stack: false
    .vgpr_count:     55
    .vgpr_spill_count: 0
    .wavefront_size: 64
  - .agpr_count:     0
    .args:
      - .actual_access:  write_only
        .address_space:  global
        .offset:         0
        .size:           8
        .value_kind:     global_buffer
      - .address_space:  global
        .offset:         8
        .size:           8
        .value_kind:     global_buffer
      - .actual_access:  read_only
        .address_space:  global
        .offset:         16
        .size:           8
        .value_kind:     global_buffer
      - .actual_access:  read_only
        .address_space:  global
        .offset:         24
        .size:           8
        .value_kind:     global_buffer
      - .address_space:  global
        .offset:         32
        .size:           8
        .value_kind:     global_buffer
      - .offset:         40
        .size:           4
        .value_kind:     by_value
      - .offset:         44
        .size:           4
        .value_kind:     by_value
      - .offset:         48
        .size:           4
        .value_kind:     by_value
      - .address_space:  global
        .offset:         56
        .size:           8
        .value_kind:     global_buffer
      - .offset:         64
        .size:           8
        .value_kind:     by_value
      - .offset:         72
        .size:           4
        .value_kind:     hidden_block_count_x
      - .offset:         76
        .size:           4
        .value_kind:     hidden_block_count_y
      - .offset:         80
        .size:           4
        .value_kind:     hidden_block_count_z
      - .offset:         84
        .size:           2
        .value_kind:     hidden_group_size_x
      - .offset:         86
        .size:           2
        .value_kind:     hidden_group_size_y
      - .offset:         88
        .size:           2
        .value_kind:     hidden_group_size_z
      - .offset:         90
        .size:           2
        .value_kind:     hidden_remainder_x
      - .offset:         92
        .size:           2
        .value_kind:     hidden_remainder_y
      - .offset:         94
        .size:           2
        .value_kind:     hidden_remainder_z
      - .offset:         112
        .size:           8
        .value_kind:     hidden_global_offset_x
      - .offset:         120
        .size:           8
        .value_kind:     hidden_global_offset_y
      - .offset:         128
        .size:           8
        .value_kind:     hidden_global_offset_z
      - .offset:         136
        .size:           2
        .value_kind:     hidden_grid_dims
    .group_segment_fixed_size: 4164
    .kernarg_segment_align: 8
    .kernarg_segment_size: 328
    .language:       OpenCL C
    .language_version:
      - 2
      - 0
    .max_flat_workgroup_size: 1024
    .name:           _ZN4vllm31rms_norm_per_block_quant_kernelIN3c108BFloat16ENS1_13Float8_e4m3fnELb1ELb0ELi64EEEvPT0_PfPKT_S9_PKffiiPS7_l
    .private_segment_fixed_size: 0
    .sgpr_count:     53
    .sgpr_spill_count: 0
    .symbol:         _ZN4vllm31rms_norm_per_block_quant_kernelIN3c108BFloat16ENS1_13Float8_e4m3fnELb1ELb0ELi64EEEvPT0_PfPKT_S9_PKffiiPS7_l.kd
    .uniform_work_group_size: 1
    .uses_dynamic_stack: false
    .vgpr_count:     55
    .vgpr_spill_count: 0
    .wavefront_size: 64
  - .agpr_count:     0
    .args:
      - .actual_access:  write_only
        .address_space:  global
        .offset:         0
        .size:           8
        .value_kind:     global_buffer
      - .address_space:  global
        .offset:         8
        .size:           8
        .value_kind:     global_buffer
      - .actual_access:  read_only
        .address_space:  global
        .offset:         16
        .size:           8
        .value_kind:     global_buffer
      - .actual_access:  read_only
        .address_space:  global
        .offset:         24
        .size:           8
        .value_kind:     global_buffer
      - .address_space:  global
        .offset:         32
        .size:           8
        .value_kind:     global_buffer
      - .offset:         40
        .size:           4
        .value_kind:     by_value
      - .offset:         44
        .size:           4
        .value_kind:     by_value
      - .offset:         48
        .size:           4
        .value_kind:     by_value
      - .address_space:  global
        .offset:         56
        .size:           8
        .value_kind:     global_buffer
      - .offset:         64
        .size:           8
        .value_kind:     by_value
      - .offset:         72
        .size:           4
        .value_kind:     hidden_block_count_x
      - .offset:         76
        .size:           4
        .value_kind:     hidden_block_count_y
      - .offset:         80
        .size:           4
        .value_kind:     hidden_block_count_z
      - .offset:         84
        .size:           2
        .value_kind:     hidden_group_size_x
      - .offset:         86
        .size:           2
        .value_kind:     hidden_group_size_y
      - .offset:         88
        .size:           2
        .value_kind:     hidden_group_size_z
      - .offset:         90
        .size:           2
        .value_kind:     hidden_remainder_x
      - .offset:         92
        .size:           2
        .value_kind:     hidden_remainder_y
      - .offset:         94
        .size:           2
        .value_kind:     hidden_remainder_z
      - .offset:         112
        .size:           8
        .value_kind:     hidden_global_offset_x
      - .offset:         120
        .size:           8
        .value_kind:     hidden_global_offset_y
      - .offset:         128
        .size:           8
        .value_kind:     hidden_global_offset_z
      - .offset:         136
        .size:           2
        .value_kind:     hidden_grid_dims
    .group_segment_fixed_size: 4164
    .kernarg_segment_align: 8
    .kernarg_segment_size: 328
    .language:       OpenCL C
    .language_version:
      - 2
      - 0
    .max_flat_workgroup_size: 1024
    .name:           _ZN4vllm31rms_norm_per_block_quant_kernelIN3c108BFloat16ENS1_15Float8_e4m3fnuzELb1ELb0ELi64EEEvPT0_PfPKT_S9_PKffiiPS7_l
    .private_segment_fixed_size: 0
    .sgpr_count:     53
    .sgpr_spill_count: 0
    .symbol:         _ZN4vllm31rms_norm_per_block_quant_kernelIN3c108BFloat16ENS1_15Float8_e4m3fnuzELb1ELb0ELi64EEEvPT0_PfPKT_S9_PKffiiPS7_l.kd
    .uniform_work_group_size: 1
    .uses_dynamic_stack: false
    .vgpr_count:     55
    .vgpr_spill_count: 0
    .wavefront_size: 64
  - .agpr_count:     0
    .args:
      - .actual_access:  write_only
        .address_space:  global
        .offset:         0
        .size:           8
        .value_kind:     global_buffer
      - .address_space:  global
        .offset:         8
        .size:           8
        .value_kind:     global_buffer
      - .actual_access:  read_only
        .address_space:  global
        .offset:         16
        .size:           8
        .value_kind:     global_buffer
      - .actual_access:  read_only
        .address_space:  global
        .offset:         24
        .size:           8
        .value_kind:     global_buffer
      - .address_space:  global
        .offset:         32
        .size:           8
        .value_kind:     global_buffer
      - .offset:         40
        .size:           4
        .value_kind:     by_value
      - .offset:         44
        .size:           4
        .value_kind:     by_value
      - .offset:         48
        .size:           4
        .value_kind:     by_value
      - .address_space:  global
        .offset:         56
        .size:           8
        .value_kind:     global_buffer
      - .offset:         64
        .size:           8
        .value_kind:     by_value
      - .offset:         72
        .size:           4
        .value_kind:     hidden_block_count_x
      - .offset:         76
        .size:           4
        .value_kind:     hidden_block_count_y
      - .offset:         80
        .size:           4
        .value_kind:     hidden_block_count_z
      - .offset:         84
        .size:           2
        .value_kind:     hidden_group_size_x
      - .offset:         86
        .size:           2
        .value_kind:     hidden_group_size_y
      - .offset:         88
        .size:           2
        .value_kind:     hidden_group_size_z
      - .offset:         90
        .size:           2
        .value_kind:     hidden_remainder_x
      - .offset:         92
        .size:           2
        .value_kind:     hidden_remainder_y
      - .offset:         94
        .size:           2
        .value_kind:     hidden_remainder_z
      - .offset:         112
        .size:           8
        .value_kind:     hidden_global_offset_x
      - .offset:         120
        .size:           8
        .value_kind:     hidden_global_offset_y
      - .offset:         128
        .size:           8
        .value_kind:     hidden_global_offset_z
      - .offset:         136
        .size:           2
        .value_kind:     hidden_grid_dims
    .group_segment_fixed_size: 4164
    .kernarg_segment_align: 8
    .kernarg_segment_size: 328
    .language:       OpenCL C
    .language_version:
      - 2
      - 0
    .max_flat_workgroup_size: 1024
    .name:           _ZN4vllm31rms_norm_per_block_quant_kernelIN3c108BFloat16EaLb1ELb0ELi64EEEvPT0_PfPKT_S8_PKffiiPS6_l
    .private_segment_fixed_size: 0
    .sgpr_count:     53
    .sgpr_spill_count: 0
    .symbol:         _ZN4vllm31rms_norm_per_block_quant_kernelIN3c108BFloat16EaLb1ELb0ELi64EEEvPT0_PfPKT_S8_PKffiiPS6_l.kd
    .uniform_work_group_size: 1
    .uses_dynamic_stack: false
    .vgpr_count:     55
    .vgpr_spill_count: 0
    .wavefront_size: 64
  - .agpr_count:     0
    .args:
      - .actual_access:  write_only
        .address_space:  global
        .offset:         0
        .size:           8
        .value_kind:     global_buffer
      - .address_space:  global
        .offset:         8
        .size:           8
        .value_kind:     global_buffer
      - .actual_access:  read_only
        .address_space:  global
        .offset:         16
        .size:           8
        .value_kind:     global_buffer
      - .actual_access:  read_only
        .address_space:  global
        .offset:         24
        .size:           8
        .value_kind:     global_buffer
      - .address_space:  global
        .offset:         32
        .size:           8
        .value_kind:     global_buffer
      - .offset:         40
        .size:           4
        .value_kind:     by_value
      - .offset:         44
        .size:           4
        .value_kind:     by_value
      - .offset:         48
        .size:           4
        .value_kind:     by_value
      - .actual_access:  read_only
        .address_space:  global
        .offset:         56
        .size:           8
        .value_kind:     global_buffer
      - .offset:         64
        .size:           8
        .value_kind:     by_value
      - .offset:         72
        .size:           4
        .value_kind:     hidden_block_count_x
      - .offset:         76
        .size:           4
        .value_kind:     hidden_block_count_y
      - .offset:         80
        .size:           4
        .value_kind:     hidden_block_count_z
      - .offset:         84
        .size:           2
        .value_kind:     hidden_group_size_x
      - .offset:         86
        .size:           2
        .value_kind:     hidden_group_size_y
      - .offset:         88
        .size:           2
        .value_kind:     hidden_group_size_z
      - .offset:         90
        .size:           2
        .value_kind:     hidden_remainder_x
      - .offset:         92
        .size:           2
        .value_kind:     hidden_remainder_y
      - .offset:         94
        .size:           2
        .value_kind:     hidden_remainder_z
      - .offset:         112
        .size:           8
        .value_kind:     hidden_global_offset_x
      - .offset:         120
        .size:           8
        .value_kind:     hidden_global_offset_y
      - .offset:         128
        .size:           8
        .value_kind:     hidden_global_offset_z
      - .offset:         136
        .size:           2
        .value_kind:     hidden_grid_dims
    .group_segment_fixed_size: 4164
    .kernarg_segment_align: 8
    .kernarg_segment_size: 328
    .language:       OpenCL C
    .language_version:
      - 2
      - 0
    .max_flat_workgroup_size: 1024
    .name:           _ZN4vllm31rms_norm_per_block_quant_kernelIN3c108BFloat16ENS1_13Float8_e4m3fnELb0ELb1ELi64EEEvPT0_PfPKT_S9_PKffiiPS7_l
    .private_segment_fixed_size: 0
    .sgpr_count:     49
    .sgpr_spill_count: 0
    .symbol:         _ZN4vllm31rms_norm_per_block_quant_kernelIN3c108BFloat16ENS1_13Float8_e4m3fnELb0ELb1ELi64EEEvPT0_PfPKT_S9_PKffiiPS7_l.kd
    .uniform_work_group_size: 1
    .uses_dynamic_stack: false
    .vgpr_count:     48
    .vgpr_spill_count: 0
    .wavefront_size: 64
  - .agpr_count:     0
    .args:
      - .actual_access:  write_only
        .address_space:  global
        .offset:         0
        .size:           8
        .value_kind:     global_buffer
      - .address_space:  global
        .offset:         8
        .size:           8
        .value_kind:     global_buffer
      - .actual_access:  read_only
        .address_space:  global
        .offset:         16
        .size:           8
        .value_kind:     global_buffer
      - .actual_access:  read_only
        .address_space:  global
        .offset:         24
        .size:           8
        .value_kind:     global_buffer
      - .address_space:  global
        .offset:         32
        .size:           8
        .value_kind:     global_buffer
      - .offset:         40
        .size:           4
        .value_kind:     by_value
      - .offset:         44
        .size:           4
        .value_kind:     by_value
      - .offset:         48
        .size:           4
        .value_kind:     by_value
      - .actual_access:  read_only
        .address_space:  global
        .offset:         56
        .size:           8
        .value_kind:     global_buffer
      - .offset:         64
        .size:           8
        .value_kind:     by_value
      - .offset:         72
        .size:           4
        .value_kind:     hidden_block_count_x
      - .offset:         76
        .size:           4
        .value_kind:     hidden_block_count_y
      - .offset:         80
        .size:           4
        .value_kind:     hidden_block_count_z
      - .offset:         84
        .size:           2
        .value_kind:     hidden_group_size_x
      - .offset:         86
        .size:           2
        .value_kind:     hidden_group_size_y
      - .offset:         88
        .size:           2
        .value_kind:     hidden_group_size_z
      - .offset:         90
        .size:           2
        .value_kind:     hidden_remainder_x
      - .offset:         92
        .size:           2
        .value_kind:     hidden_remainder_y
      - .offset:         94
        .size:           2
        .value_kind:     hidden_remainder_z
      - .offset:         112
        .size:           8
        .value_kind:     hidden_global_offset_x
      - .offset:         120
        .size:           8
        .value_kind:     hidden_global_offset_y
      - .offset:         128
        .size:           8
        .value_kind:     hidden_global_offset_z
      - .offset:         136
        .size:           2
        .value_kind:     hidden_grid_dims
    .group_segment_fixed_size: 4164
    .kernarg_segment_align: 8
    .kernarg_segment_size: 328
    .language:       OpenCL C
    .language_version:
      - 2
      - 0
    .max_flat_workgroup_size: 1024
    .name:           _ZN4vllm31rms_norm_per_block_quant_kernelIN3c108BFloat16ENS1_15Float8_e4m3fnuzELb0ELb1ELi64EEEvPT0_PfPKT_S9_PKffiiPS7_l
    .private_segment_fixed_size: 0
    .sgpr_count:     49
    .sgpr_spill_count: 0
    .symbol:         _ZN4vllm31rms_norm_per_block_quant_kernelIN3c108BFloat16ENS1_15Float8_e4m3fnuzELb0ELb1ELi64EEEvPT0_PfPKT_S9_PKffiiPS7_l.kd
    .uniform_work_group_size: 1
    .uses_dynamic_stack: false
    .vgpr_count:     48
    .vgpr_spill_count: 0
    .wavefront_size: 64
  - .agpr_count:     0
    .args:
      - .actual_access:  write_only
        .address_space:  global
        .offset:         0
        .size:           8
        .value_kind:     global_buffer
      - .address_space:  global
        .offset:         8
        .size:           8
        .value_kind:     global_buffer
      - .actual_access:  read_only
        .address_space:  global
        .offset:         16
        .size:           8
        .value_kind:     global_buffer
      - .actual_access:  read_only
        .address_space:  global
        .offset:         24
        .size:           8
        .value_kind:     global_buffer
      - .address_space:  global
        .offset:         32
        .size:           8
        .value_kind:     global_buffer
      - .offset:         40
        .size:           4
        .value_kind:     by_value
      - .offset:         44
        .size:           4
        .value_kind:     by_value
      - .offset:         48
        .size:           4
        .value_kind:     by_value
      - .actual_access:  read_only
        .address_space:  global
        .offset:         56
        .size:           8
        .value_kind:     global_buffer
      - .offset:         64
        .size:           8
        .value_kind:     by_value
      - .offset:         72
        .size:           4
        .value_kind:     hidden_block_count_x
      - .offset:         76
        .size:           4
        .value_kind:     hidden_block_count_y
      - .offset:         80
        .size:           4
        .value_kind:     hidden_block_count_z
      - .offset:         84
        .size:           2
        .value_kind:     hidden_group_size_x
      - .offset:         86
        .size:           2
        .value_kind:     hidden_group_size_y
      - .offset:         88
        .size:           2
        .value_kind:     hidden_group_size_z
      - .offset:         90
        .size:           2
        .value_kind:     hidden_remainder_x
      - .offset:         92
        .size:           2
        .value_kind:     hidden_remainder_y
      - .offset:         94
        .size:           2
        .value_kind:     hidden_remainder_z
      - .offset:         112
        .size:           8
        .value_kind:     hidden_global_offset_x
      - .offset:         120
        .size:           8
        .value_kind:     hidden_global_offset_y
      - .offset:         128
        .size:           8
        .value_kind:     hidden_global_offset_z
      - .offset:         136
        .size:           2
        .value_kind:     hidden_grid_dims
    .group_segment_fixed_size: 4164
    .kernarg_segment_align: 8
    .kernarg_segment_size: 328
    .language:       OpenCL C
    .language_version:
      - 2
      - 0
    .max_flat_workgroup_size: 1024
    .name:           _ZN4vllm31rms_norm_per_block_quant_kernelIN3c108BFloat16EaLb0ELb1ELi64EEEvPT0_PfPKT_S8_PKffiiPS6_l
    .private_segment_fixed_size: 0
    .sgpr_count:     49
    .sgpr_spill_count: 0
    .symbol:         _ZN4vllm31rms_norm_per_block_quant_kernelIN3c108BFloat16EaLb0ELb1ELi64EEEvPT0_PfPKT_S8_PKffiiPS6_l.kd
    .uniform_work_group_size: 1
    .uses_dynamic_stack: false
    .vgpr_count:     48
    .vgpr_spill_count: 0
    .wavefront_size: 64
  - .agpr_count:     0
    .args:
      - .actual_access:  write_only
        .address_space:  global
        .offset:         0
        .size:           8
        .value_kind:     global_buffer
      - .address_space:  global
        .offset:         8
        .size:           8
        .value_kind:     global_buffer
      - .actual_access:  read_only
        .address_space:  global
        .offset:         16
        .size:           8
        .value_kind:     global_buffer
      - .actual_access:  read_only
        .address_space:  global
        .offset:         24
        .size:           8
        .value_kind:     global_buffer
      - .address_space:  global
        .offset:         32
        .size:           8
        .value_kind:     global_buffer
      - .offset:         40
        .size:           4
        .value_kind:     by_value
      - .offset:         44
        .size:           4
        .value_kind:     by_value
      - .offset:         48
        .size:           4
        .value_kind:     by_value
      - .actual_access:  read_only
        .address_space:  global
        .offset:         56
        .size:           8
        .value_kind:     global_buffer
      - .offset:         64
        .size:           8
        .value_kind:     by_value
      - .offset:         72
        .size:           4
        .value_kind:     hidden_block_count_x
      - .offset:         76
        .size:           4
        .value_kind:     hidden_block_count_y
      - .offset:         80
        .size:           4
        .value_kind:     hidden_block_count_z
      - .offset:         84
        .size:           2
        .value_kind:     hidden_group_size_x
      - .offset:         86
        .size:           2
        .value_kind:     hidden_group_size_y
      - .offset:         88
        .size:           2
        .value_kind:     hidden_group_size_z
      - .offset:         90
        .size:           2
        .value_kind:     hidden_remainder_x
      - .offset:         92
        .size:           2
        .value_kind:     hidden_remainder_y
      - .offset:         94
        .size:           2
        .value_kind:     hidden_remainder_z
      - .offset:         112
        .size:           8
        .value_kind:     hidden_global_offset_x
      - .offset:         120
        .size:           8
        .value_kind:     hidden_global_offset_y
      - .offset:         128
        .size:           8
        .value_kind:     hidden_global_offset_z
      - .offset:         136
        .size:           2
        .value_kind:     hidden_grid_dims
    .group_segment_fixed_size: 4164
    .kernarg_segment_align: 8
    .kernarg_segment_size: 328
    .language:       OpenCL C
    .language_version:
      - 2
      - 0
    .max_flat_workgroup_size: 1024
    .name:           _ZN4vllm31rms_norm_per_block_quant_kernelIN3c108BFloat16ENS1_13Float8_e4m3fnELb0ELb0ELi64EEEvPT0_PfPKT_S9_PKffiiPS7_l
    .private_segment_fixed_size: 0
    .sgpr_count:     48
    .sgpr_spill_count: 0
    .symbol:         _ZN4vllm31rms_norm_per_block_quant_kernelIN3c108BFloat16ENS1_13Float8_e4m3fnELb0ELb0ELi64EEEvPT0_PfPKT_S9_PKffiiPS7_l.kd
    .uniform_work_group_size: 1
    .uses_dynamic_stack: false
    .vgpr_count:     48
    .vgpr_spill_count: 0
    .wavefront_size: 64
  - .agpr_count:     0
    .args:
      - .actual_access:  write_only
        .address_space:  global
        .offset:         0
        .size:           8
        .value_kind:     global_buffer
      - .address_space:  global
        .offset:         8
        .size:           8
        .value_kind:     global_buffer
      - .actual_access:  read_only
        .address_space:  global
        .offset:         16
        .size:           8
        .value_kind:     global_buffer
      - .actual_access:  read_only
        .address_space:  global
        .offset:         24
        .size:           8
        .value_kind:     global_buffer
      - .address_space:  global
        .offset:         32
        .size:           8
        .value_kind:     global_buffer
      - .offset:         40
        .size:           4
        .value_kind:     by_value
      - .offset:         44
        .size:           4
        .value_kind:     by_value
      - .offset:         48
        .size:           4
        .value_kind:     by_value
      - .actual_access:  read_only
        .address_space:  global
        .offset:         56
        .size:           8
        .value_kind:     global_buffer
      - .offset:         64
        .size:           8
        .value_kind:     by_value
      - .offset:         72
        .size:           4
        .value_kind:     hidden_block_count_x
      - .offset:         76
        .size:           4
        .value_kind:     hidden_block_count_y
      - .offset:         80
        .size:           4
        .value_kind:     hidden_block_count_z
      - .offset:         84
        .size:           2
        .value_kind:     hidden_group_size_x
      - .offset:         86
        .size:           2
        .value_kind:     hidden_group_size_y
      - .offset:         88
        .size:           2
        .value_kind:     hidden_group_size_z
      - .offset:         90
        .size:           2
        .value_kind:     hidden_remainder_x
      - .offset:         92
        .size:           2
        .value_kind:     hidden_remainder_y
      - .offset:         94
        .size:           2
        .value_kind:     hidden_remainder_z
      - .offset:         112
        .size:           8
        .value_kind:     hidden_global_offset_x
      - .offset:         120
        .size:           8
        .value_kind:     hidden_global_offset_y
      - .offset:         128
        .size:           8
        .value_kind:     hidden_global_offset_z
      - .offset:         136
        .size:           2
        .value_kind:     hidden_grid_dims
    .group_segment_fixed_size: 4164
    .kernarg_segment_align: 8
    .kernarg_segment_size: 328
    .language:       OpenCL C
    .language_version:
      - 2
      - 0
    .max_flat_workgroup_size: 1024
    .name:           _ZN4vllm31rms_norm_per_block_quant_kernelIN3c108BFloat16ENS1_15Float8_e4m3fnuzELb0ELb0ELi64EEEvPT0_PfPKT_S9_PKffiiPS7_l
    .private_segment_fixed_size: 0
    .sgpr_count:     48
    .sgpr_spill_count: 0
    .symbol:         _ZN4vllm31rms_norm_per_block_quant_kernelIN3c108BFloat16ENS1_15Float8_e4m3fnuzELb0ELb0ELi64EEEvPT0_PfPKT_S9_PKffiiPS7_l.kd
    .uniform_work_group_size: 1
    .uses_dynamic_stack: false
    .vgpr_count:     48
    .vgpr_spill_count: 0
    .wavefront_size: 64
  - .agpr_count:     0
    .args:
      - .actual_access:  write_only
        .address_space:  global
        .offset:         0
        .size:           8
        .value_kind:     global_buffer
      - .address_space:  global
        .offset:         8
        .size:           8
        .value_kind:     global_buffer
      - .actual_access:  read_only
        .address_space:  global
        .offset:         16
        .size:           8
        .value_kind:     global_buffer
      - .actual_access:  read_only
        .address_space:  global
        .offset:         24
        .size:           8
        .value_kind:     global_buffer
      - .address_space:  global
        .offset:         32
        .size:           8
        .value_kind:     global_buffer
      - .offset:         40
        .size:           4
        .value_kind:     by_value
      - .offset:         44
        .size:           4
        .value_kind:     by_value
      - .offset:         48
        .size:           4
        .value_kind:     by_value
      - .actual_access:  read_only
        .address_space:  global
        .offset:         56
        .size:           8
        .value_kind:     global_buffer
      - .offset:         64
        .size:           8
        .value_kind:     by_value
      - .offset:         72
        .size:           4
        .value_kind:     hidden_block_count_x
      - .offset:         76
        .size:           4
        .value_kind:     hidden_block_count_y
      - .offset:         80
        .size:           4
        .value_kind:     hidden_block_count_z
      - .offset:         84
        .size:           2
        .value_kind:     hidden_group_size_x
      - .offset:         86
        .size:           2
        .value_kind:     hidden_group_size_y
      - .offset:         88
        .size:           2
        .value_kind:     hidden_group_size_z
      - .offset:         90
        .size:           2
        .value_kind:     hidden_remainder_x
      - .offset:         92
        .size:           2
        .value_kind:     hidden_remainder_y
      - .offset:         94
        .size:           2
        .value_kind:     hidden_remainder_z
      - .offset:         112
        .size:           8
        .value_kind:     hidden_global_offset_x
      - .offset:         120
        .size:           8
        .value_kind:     hidden_global_offset_y
      - .offset:         128
        .size:           8
        .value_kind:     hidden_global_offset_z
      - .offset:         136
        .size:           2
        .value_kind:     hidden_grid_dims
    .group_segment_fixed_size: 4164
    .kernarg_segment_align: 8
    .kernarg_segment_size: 328
    .language:       OpenCL C
    .language_version:
      - 2
      - 0
    .max_flat_workgroup_size: 1024
    .name:           _ZN4vllm31rms_norm_per_block_quant_kernelIN3c108BFloat16EaLb0ELb0ELi64EEEvPT0_PfPKT_S8_PKffiiPS6_l
    .private_segment_fixed_size: 0
    .sgpr_count:     48
    .sgpr_spill_count: 0
    .symbol:         _ZN4vllm31rms_norm_per_block_quant_kernelIN3c108BFloat16EaLb0ELb0ELi64EEEvPT0_PfPKT_S8_PKffiiPS6_l.kd
    .uniform_work_group_size: 1
    .uses_dynamic_stack: false
    .vgpr_count:     48
    .vgpr_spill_count: 0
    .wavefront_size: 64
amdhsa.target:   amdgcn-amd-amdhsa--gfx90a
amdhsa.version:
  - 1
  - 2
...

	.end_amdgpu_metadata
